;; amdgpu-corpus repo=ROCm/rocSPARSE kind=compiled arch=gfx1100 opt=O3
	.text
	.amdgcn_target "amdgcn-amd-amdhsa--gfx1100"
	.amdhsa_code_object_version 6
	.section	.text._ZN9rocsparseL14kernel_freerunILi1024ELi1EfiiEEvT3_S1_T2_PKS2_S4_PKS1_PKT1_21rocsparse_index_base_S4_S4_S6_PS7_SB_SA_S4_S4_S6_SB_SB_SA_SB_SB_,"axG",@progbits,_ZN9rocsparseL14kernel_freerunILi1024ELi1EfiiEEvT3_S1_T2_PKS2_S4_PKS1_PKT1_21rocsparse_index_base_S4_S4_S6_PS7_SB_SA_S4_S4_S6_SB_SB_SA_SB_SB_,comdat
	.globl	_ZN9rocsparseL14kernel_freerunILi1024ELi1EfiiEEvT3_S1_T2_PKS2_S4_PKS1_PKT1_21rocsparse_index_base_S4_S4_S6_PS7_SB_SA_S4_S4_S6_SB_SB_SA_SB_SB_ ; -- Begin function _ZN9rocsparseL14kernel_freerunILi1024ELi1EfiiEEvT3_S1_T2_PKS2_S4_PKS1_PKT1_21rocsparse_index_base_S4_S4_S6_PS7_SB_SA_S4_S4_S6_SB_SB_SA_SB_SB_
	.p2align	8
	.type	_ZN9rocsparseL14kernel_freerunILi1024ELi1EfiiEEvT3_S1_T2_PKS2_S4_PKS1_PKT1_21rocsparse_index_base_S4_S4_S6_PS7_SB_SA_S4_S4_S6_SB_SB_SA_SB_SB_,@function
_ZN9rocsparseL14kernel_freerunILi1024ELi1EfiiEEvT3_S1_T2_PKS2_S4_PKS1_PKT1_21rocsparse_index_base_S4_S4_S6_PS7_SB_SA_S4_S4_S6_SB_SB_SA_SB_SB_: ; @_ZN9rocsparseL14kernel_freerunILi1024ELi1EfiiEEvT3_S1_T2_PKS2_S4_PKS1_PKT1_21rocsparse_index_base_S4_S4_S6_PS7_SB_SA_S4_S4_S6_SB_SB_SA_SB_SB_
; %bb.0:
	s_load_b64 s[28:29], s[0:1], 0x0
	s_lshl_b32 s38, s15, 10
	s_mov_b32 s33, 0
	v_or_b32_e32 v0, s38, v0
	s_waitcnt lgkmcnt(0)
	s_delay_alu instid0(VALU_DEP_1) | instskip(SKIP_2) | instid1(SALU_CYCLE_1)
	v_cmp_gt_i32_e32 vcc_lo, s29, v0
	s_cmp_gt_i32 s28, 0
	s_cselect_b32 s2, -1, 0
	s_and_b32 s2, vcc_lo, s2
	s_delay_alu instid0(SALU_CYCLE_1)
	s_and_saveexec_b32 s3, s2
	s_cbranch_execz .LBB0_56
; %bb.1:
	s_clause 0x1
	s_load_b256 s[4:11], s[0:1], 0x38
	s_load_b256 s[12:19], s[0:1], 0x10
	v_ashrrev_i32_e32 v1, 31, v0
	s_addk_i32 s38, 0x400
	s_delay_alu instid0(VALU_DEP_1) | instskip(SKIP_1) | instid1(VALU_DEP_1)
	v_lshlrev_b64 v[1:2], 2, v[0:1]
	s_waitcnt lgkmcnt(0)
	v_add_co_u32 v3, vcc_lo, s4, v1
	s_delay_alu instid0(VALU_DEP_2)
	v_add_co_ci_u32_e32 v4, vcc_lo, s5, v2, vcc_lo
	v_add_co_u32 v5, vcc_lo, s6, v1
	v_add_co_ci_u32_e32 v6, vcc_lo, s7, v2, vcc_lo
	global_load_b32 v7, v[3:4], off
	v_add_co_u32 v3, vcc_lo, s12, v1
	v_add_co_ci_u32_e32 v4, vcc_lo, s13, v2, vcc_lo
	v_add_co_u32 v1, vcc_lo, s14, v1
	v_add_co_ci_u32_e32 v2, vcc_lo, s15, v2, vcc_lo
	global_load_b32 v5, v[5:6], off
	global_load_b32 v4, v[3:4], off
	;; [unrolled: 1-line block ×3, first 2 shown]
	s_clause 0x6
	s_load_b32 s36, s[0:1], 0x60
	s_load_b32 s37, s[0:1], 0x30
	s_load_b64 s[30:31], s[0:1], 0x58
	s_load_b128 s[12:15], s[0:1], 0x98
	s_load_b256 s[20:27], s[0:1], 0x68
	s_load_b64 s[34:35], s[0:1], 0x88
	s_load_b32 s39, s[0:1], 0x90
	v_cmp_gt_u32_e64 s0, s38, v0
	s_waitcnt vmcnt(3) lgkmcnt(0)
	v_subrev_nc_u32_e32 v1, s36, v7
	s_delay_alu instid0(VALU_DEP_1)
	v_ashrrev_i32_e32 v2, 31, v1
	s_waitcnt vmcnt(2)
	v_sub_nc_u32_e32 v17, v5, v7
	s_waitcnt vmcnt(1)
	v_subrev_nc_u32_e32 v18, s37, v4
	v_lshlrev_b64 v[2:3], 2, v[1:2]
	s_waitcnt vmcnt(0)
	v_subrev_nc_u32_e32 v19, s37, v6
	v_cmp_lt_i32_e64 s1, v4, v6
	v_cmp_lt_i32_e64 s2, 0, v17
	s_delay_alu instid0(VALU_DEP_4)
	v_add_co_u32 v20, vcc_lo, s8, v2
	v_add_co_ci_u32_e32 v21, vcc_lo, s9, v3, vcc_lo
	v_add_co_u32 v22, vcc_lo, s10, v2
	v_add_co_ci_u32_e32 v23, vcc_lo, s11, v3, vcc_lo
	v_mov_b32_e32 v3, 0
	s_branch .LBB0_3
.LBB0_2:                                ;   in Loop: Header=BB0_3 Depth=1
	s_or_b32 exec_lo, exec_lo, s40
	s_add_i32 s33, s33, 1
	s_delay_alu instid0(SALU_CYCLE_1)
	s_cmp_eq_u32 s33, s28
	s_cbranch_scc1 .LBB0_56
.LBB0_3:                                ; =>This Loop Header: Depth=1
                                        ;     Child Loop BB0_6 Depth 2
                                        ;       Child Loop BB0_10 Depth 3
                                        ;       Child Loop BB0_28 Depth 3
	;; [unrolled: 1-line block ×3, first 2 shown]
                                        ;     Child Loop BB0_49 Depth 2
                                        ;       Child Loop BB0_52 Depth 3
                                        ;       Child Loop BB0_55 Depth 3
	s_and_saveexec_b32 s40, s1
	s_cbranch_execz .LBB0_45
; %bb.4:                                ;   in Loop: Header=BB0_3 Depth=1
	v_mov_b32_e32 v4, v18
	s_mov_b32 s41, 0
	s_branch .LBB0_6
.LBB0_5:                                ;   in Loop: Header=BB0_6 Depth=2
	s_or_b32 exec_lo, exec_lo, s42
	v_add_nc_u32_e32 v4, 1, v4
	s_delay_alu instid0(VALU_DEP_1) | instskip(SKIP_1) | instid1(SALU_CYCLE_1)
	v_cmp_ge_i32_e32 vcc_lo, v4, v19
	s_or_b32 s41, vcc_lo, s41
	s_and_not1_b32 exec_lo, exec_lo, s41
	s_cbranch_execz .LBB0_45
.LBB0_6:                                ;   Parent Loop BB0_3 Depth=1
                                        ; =>  This Loop Header: Depth=2
                                        ;       Child Loop BB0_10 Depth 3
                                        ;       Child Loop BB0_28 Depth 3
	;; [unrolled: 1-line block ×3, first 2 shown]
	s_delay_alu instid0(VALU_DEP_1) | instskip(SKIP_1) | instid1(VALU_DEP_2)
	v_ashrrev_i32_e32 v5, 31, v4
	v_mov_b32_e32 v25, 0
	v_lshlrev_b64 v[11:12], 2, v[4:5]
	s_delay_alu instid0(VALU_DEP_1) | instskip(NEXT) | instid1(VALU_DEP_2)
	v_add_co_u32 v5, vcc_lo, s16, v11
	v_add_co_ci_u32_e32 v6, vcc_lo, s17, v12, vcc_lo
	global_load_b32 v2, v[5:6], off
	s_waitcnt vmcnt(0)
	v_subrev_nc_u32_e32 v5, s37, v2
	s_delay_alu instid0(VALU_DEP_1) | instskip(NEXT) | instid1(VALU_DEP_1)
	v_ashrrev_i32_e32 v6, 31, v5
	v_lshlrev_b64 v[9:10], 2, v[5:6]
	s_delay_alu instid0(VALU_DEP_1) | instskip(NEXT) | instid1(VALU_DEP_2)
	v_add_co_u32 v6, vcc_lo, s20, v9
	v_add_co_ci_u32_e32 v7, vcc_lo, s21, v10, vcc_lo
	v_add_co_u32 v13, vcc_lo, s22, v9
	v_add_co_ci_u32_e32 v14, vcc_lo, s23, v10, vcc_lo
	global_load_b32 v2, v[6:7], off
	global_load_b32 v8, v[13:14], off
	v_mov_b32_e32 v7, 0
	s_waitcnt vmcnt(1)
	v_subrev_nc_u32_e32 v6, s39, v2
	s_waitcnt vmcnt(0)
	v_sub_nc_u32_e32 v24, v8, v2
	v_mov_b32_e32 v2, 0
	s_and_saveexec_b32 s42, s2
	s_cbranch_execz .LBB0_14
; %bb.7:                                ;   in Loop: Header=BB0_6 Depth=2
	v_ashrrev_i32_e32 v7, 31, v6
	v_dual_mov_b32 v2, 0 :: v_dual_mov_b32 v25, 0
	s_mov_b32 s43, 0
                                        ; implicit-def: $sgpr44
	s_delay_alu instid0(VALU_DEP_2) | instskip(NEXT) | instid1(VALU_DEP_1)
	v_lshlrev_b64 v[7:8], 2, v[6:7]
	v_add_co_u32 v26, vcc_lo, s24, v7
	s_delay_alu instid0(VALU_DEP_2)
	v_add_co_ci_u32_e32 v27, vcc_lo, s25, v8, vcc_lo
	v_add_co_u32 v28, vcc_lo, s26, v7
	v_add_co_ci_u32_e32 v29, vcc_lo, s27, v8, vcc_lo
	v_mov_b32_e32 v7, v2
	s_branch .LBB0_10
.LBB0_8:                                ;   in Loop: Header=BB0_10 Depth=3
	s_or_b32 exec_lo, exec_lo, s3
	v_cmp_le_i32_e32 vcc_lo, v8, v30
	v_cmp_ge_i32_e64 s3, v8, v30
	v_add_co_ci_u32_e32 v2, vcc_lo, 0, v2, vcc_lo
	s_delay_alu instid0(VALU_DEP_2) | instskip(SKIP_1) | instid1(VALU_DEP_2)
	v_add_co_ci_u32_e64 v7, s3, 0, v7, s3
	s_and_not1_b32 s3, s44, exec_lo
	v_cmp_ge_i32_e32 vcc_lo, v2, v17
	s_and_b32 s44, vcc_lo, exec_lo
	s_delay_alu instid0(SALU_CYCLE_1)
	s_or_b32 s44, s3, s44
.LBB0_9:                                ;   in Loop: Header=BB0_10 Depth=3
	s_or_b32 exec_lo, exec_lo, s45
	s_delay_alu instid0(SALU_CYCLE_1) | instskip(NEXT) | instid1(SALU_CYCLE_1)
	s_and_b32 s3, exec_lo, s44
	s_or_b32 s43, s3, s43
	s_delay_alu instid0(SALU_CYCLE_1)
	s_and_not1_b32 exec_lo, exec_lo, s43
	s_cbranch_execz .LBB0_13
.LBB0_10:                               ;   Parent Loop BB0_3 Depth=1
                                        ;     Parent Loop BB0_6 Depth=2
                                        ; =>    This Inner Loop Header: Depth=3
	s_or_b32 s44, s44, exec_lo
	s_mov_b32 s45, exec_lo
	s_delay_alu instid0(VALU_DEP_1)
	v_cmpx_lt_i32_e64 v7, v24
	s_cbranch_execz .LBB0_9
; %bb.11:                               ;   in Loop: Header=BB0_10 Depth=3
	v_mov_b32_e32 v8, v3
	v_lshlrev_b64 v[15:16], 2, v[2:3]
	s_mov_b32 s3, exec_lo
	s_delay_alu instid0(VALU_DEP_2) | instskip(NEXT) | instid1(VALU_DEP_2)
	v_lshlrev_b64 v[13:14], 2, v[7:8]
	v_add_co_u32 v30, vcc_lo, v20, v15
	s_delay_alu instid0(VALU_DEP_3) | instskip(NEXT) | instid1(VALU_DEP_3)
	v_add_co_ci_u32_e32 v31, vcc_lo, v21, v16, vcc_lo
	v_add_co_u32 v32, vcc_lo, v26, v13
	s_delay_alu instid0(VALU_DEP_4)
	v_add_co_ci_u32_e32 v33, vcc_lo, v27, v14, vcc_lo
	global_load_b32 v8, v[30:31], off
	global_load_b32 v30, v[32:33], off
	s_waitcnt vmcnt(1)
	v_subrev_nc_u32_e32 v8, s36, v8
	s_waitcnt vmcnt(0)
	v_subrev_nc_u32_e32 v30, s39, v30
	s_delay_alu instid0(VALU_DEP_1)
	v_cmpx_eq_u32_e64 v8, v30
	s_cbranch_execz .LBB0_8
; %bb.12:                               ;   in Loop: Header=BB0_10 Depth=3
	v_add_co_u32 v15, vcc_lo, v22, v15
	v_add_co_ci_u32_e32 v16, vcc_lo, v23, v16, vcc_lo
	v_add_co_u32 v13, vcc_lo, v28, v13
	v_add_co_ci_u32_e32 v14, vcc_lo, v29, v14, vcc_lo
	global_load_b32 v15, v[15:16], off
	global_load_b32 v13, v[13:14], off
	s_waitcnt vmcnt(0)
	v_fmac_f32_e32 v25, v15, v13
	s_branch .LBB0_8
.LBB0_13:                               ;   in Loop: Header=BB0_6 Depth=2
	s_or_b32 exec_lo, exec_lo, s43
.LBB0_14:                               ;   in Loop: Header=BB0_6 Depth=2
	s_delay_alu instid0(SALU_CYCLE_1)
	s_or_b32 exec_lo, exec_lo, s42
	v_add_co_u32 v11, vcc_lo, s18, v11
	v_add_co_ci_u32_e32 v12, vcc_lo, s19, v12, vcc_lo
	v_cmp_le_i32_e64 s3, v0, v5
	s_mov_b32 s42, exec_lo
	global_load_b32 v8, v[11:12], off
	s_waitcnt vmcnt(0)
	v_sub_f32_e32 v13, v8, v25
	v_cmpx_gt_i32_e64 v0, v5
	s_cbranch_execz .LBB0_18
; %bb.15:                               ;   in Loop: Header=BB0_6 Depth=2
	v_add_co_u32 v11, vcc_lo, s12, v9
	v_add_co_ci_u32_e32 v12, vcc_lo, s13, v10, vcc_lo
	s_mov_b32 s43, exec_lo
	global_load_b32 v8, v[11:12], off
	v_mov_b32_e32 v11, 0
	s_waitcnt vmcnt(0)
	v_cmpx_lg_f32_e32 0, v8
; %bb.16:                               ;   in Loop: Header=BB0_6 Depth=2
	v_div_scale_f32 v11, null, v8, v8, v13
	s_delay_alu instid0(VALU_DEP_1) | instskip(SKIP_2) | instid1(VALU_DEP_1)
	v_rcp_f32_e32 v12, v11
	s_waitcnt_depctr 0xfff
	v_fma_f32 v14, -v11, v12, 1.0
	v_fmac_f32_e32 v12, v14, v12
	v_div_scale_f32 v14, vcc_lo, v13, v8, v13
	s_delay_alu instid0(VALU_DEP_1) | instskip(NEXT) | instid1(VALU_DEP_1)
	v_mul_f32_e32 v15, v14, v12
	v_fma_f32 v16, -v11, v15, v14
	s_delay_alu instid0(VALU_DEP_1) | instskip(NEXT) | instid1(VALU_DEP_1)
	v_fmac_f32_e32 v15, v16, v12
	v_fma_f32 v11, -v11, v15, v14
	s_delay_alu instid0(VALU_DEP_1) | instskip(NEXT) | instid1(VALU_DEP_1)
	v_div_fmas_f32 v11, v11, v12, v15
	v_div_fixup_f32 v11, v11, v8, v13
; %bb.17:                               ;   in Loop: Header=BB0_6 Depth=2
	s_or_b32 exec_lo, exec_lo, s43
	s_delay_alu instid0(VALU_DEP_1)
	v_mov_b32_e32 v13, v11
.LBB0_18:                               ;   in Loop: Header=BB0_6 Depth=2
	s_or_b32 exec_lo, exec_lo, s42
	s_delay_alu instid0(VALU_DEP_1) | instskip(NEXT) | instid1(VALU_DEP_1)
	v_cmp_class_f32_e64 s43, v13, 0x1f8
	s_and_saveexec_b32 s42, s43
	s_cbranch_execz .LBB0_5
; %bb.19:                               ;   in Loop: Header=BB0_6 Depth=2
	s_mov_b32 s43, 0
                                        ; implicit-def: $vgpr11_vgpr12
	s_and_saveexec_b32 s44, s3
	s_delay_alu instid0(SALU_CYCLE_1)
	s_xor_b32 s3, exec_lo, s44
	s_cbranch_execnz .LBB0_22
; %bb.20:                               ;   in Loop: Header=BB0_6 Depth=2
	s_and_not1_saveexec_b32 s3, s3
	s_cbranch_execnz .LBB0_35
.LBB0_21:                               ;   in Loop: Header=BB0_6 Depth=2
	s_or_b32 exec_lo, exec_lo, s3
	s_delay_alu instid0(SALU_CYCLE_1)
	s_and_b32 exec_lo, exec_lo, s43
	s_cbranch_execz .LBB0_5
	s_branch .LBB0_44
.LBB0_22:                               ;   in Loop: Header=BB0_6 Depth=2
	s_mov_b32 s44, exec_lo
                                        ; implicit-def: $vgpr11_vgpr12
	v_cmpx_ge_i32_e64 v0, v5
	s_xor_b32 s44, exec_lo, s44
; %bb.23:                               ;   in Loop: Header=BB0_6 Depth=2
	v_add_co_u32 v11, vcc_lo, s14, v9
	s_mov_b32 s43, exec_lo
	v_add_co_ci_u32_e32 v12, vcc_lo, s15, v10, vcc_lo
                                        ; implicit-def: $vgpr7
                                        ; implicit-def: $vgpr24
                                        ; implicit-def: $vgpr6
; %bb.24:                               ;   in Loop: Header=BB0_6 Depth=2
	s_and_not1_saveexec_b32 s44, s44
	s_cbranch_execz .LBB0_34
; %bb.25:                               ;   in Loop: Header=BB0_6 Depth=2
	s_mov_b32 s46, s43
	s_mov_b32 s45, exec_lo
                                        ; implicit-def: $vgpr11_vgpr12
	v_cmpx_lt_i32_e64 v7, v24
	s_cbranch_execz .LBB0_33
; %bb.26:                               ;   in Loop: Header=BB0_6 Depth=2
	s_mov_b32 s47, 0
                                        ; implicit-def: $sgpr46
                                        ; implicit-def: $sgpr49
                                        ; implicit-def: $sgpr48
	s_set_inst_prefetch_distance 0x1
	s_branch .LBB0_28
	.p2align	6
.LBB0_27:                               ;   in Loop: Header=BB0_28 Depth=3
	s_or_b32 exec_lo, exec_lo, s50
	s_delay_alu instid0(SALU_CYCLE_1) | instskip(NEXT) | instid1(SALU_CYCLE_1)
	s_and_b32 s50, exec_lo, s49
	s_or_b32 s47, s50, s47
	s_and_not1_b32 s46, s46, exec_lo
	s_and_b32 s50, s48, exec_lo
	s_delay_alu instid0(SALU_CYCLE_1)
	s_or_b32 s46, s46, s50
	s_and_not1_b32 exec_lo, exec_lo, s47
	s_cbranch_execz .LBB0_30
.LBB0_28:                               ;   Parent Loop BB0_3 Depth=1
                                        ;     Parent Loop BB0_6 Depth=2
                                        ; =>    This Inner Loop Header: Depth=3
	v_add_nc_u32_e32 v8, v6, v7
	s_or_b32 s48, s48, exec_lo
	s_or_b32 s49, s49, exec_lo
	s_mov_b32 s50, exec_lo
	s_delay_alu instid0(VALU_DEP_1) | instskip(NEXT) | instid1(VALU_DEP_1)
	v_ashrrev_i32_e32 v9, 31, v8
	v_lshlrev_b64 v[8:9], 2, v[8:9]
	s_delay_alu instid0(VALU_DEP_1) | instskip(NEXT) | instid1(VALU_DEP_2)
	v_add_co_u32 v10, vcc_lo, s24, v8
	v_add_co_ci_u32_e32 v11, vcc_lo, s25, v9, vcc_lo
	global_load_b32 v2, v[10:11], off
	s_waitcnt vmcnt(0)
	v_subrev_nc_u32_e32 v2, s39, v2
	s_delay_alu instid0(VALU_DEP_1)
	v_cmpx_ne_u32_e64 v2, v0
	s_cbranch_execz .LBB0_27
; %bb.29:                               ;   in Loop: Header=BB0_28 Depth=3
	v_add_nc_u32_e32 v7, 1, v7
	s_and_not1_b32 s49, s49, exec_lo
	s_and_not1_b32 s48, s48, exec_lo
	s_delay_alu instid0(VALU_DEP_1) | instskip(SKIP_1) | instid1(SALU_CYCLE_1)
	v_cmp_ge_i32_e32 vcc_lo, v7, v24
	s_and_b32 s51, vcc_lo, exec_lo
	s_or_b32 s49, s49, s51
	s_branch .LBB0_27
.LBB0_30:                               ;   in Loop: Header=BB0_6 Depth=2
	s_set_inst_prefetch_distance 0x2
	s_or_b32 exec_lo, exec_lo, s47
	s_mov_b32 s47, s43
                                        ; implicit-def: $vgpr11_vgpr12
	s_and_saveexec_b32 s48, s46
	s_delay_alu instid0(SALU_CYCLE_1)
	s_xor_b32 s46, exec_lo, s48
; %bb.31:                               ;   in Loop: Header=BB0_6 Depth=2
	v_add_co_u32 v11, vcc_lo, s34, v8
	v_add_co_ci_u32_e32 v12, vcc_lo, s35, v9, vcc_lo
	s_or_b32 s47, s43, exec_lo
; %bb.32:                               ;   in Loop: Header=BB0_6 Depth=2
	s_or_b32 exec_lo, exec_lo, s46
	s_delay_alu instid0(SALU_CYCLE_1) | instskip(SKIP_1) | instid1(SALU_CYCLE_1)
	s_and_not1_b32 s46, s43, exec_lo
	s_and_b32 s47, s47, exec_lo
	s_or_b32 s46, s46, s47
.LBB0_33:                               ;   in Loop: Header=BB0_6 Depth=2
	s_or_b32 exec_lo, exec_lo, s45
	s_delay_alu instid0(SALU_CYCLE_1) | instskip(SKIP_1) | instid1(SALU_CYCLE_1)
	s_and_not1_b32 s43, s43, exec_lo
	s_and_b32 s45, s46, exec_lo
	s_or_b32 s43, s43, s45
.LBB0_34:                               ;   in Loop: Header=BB0_6 Depth=2
	s_or_b32 exec_lo, exec_lo, s44
	s_delay_alu instid0(SALU_CYCLE_1)
	s_and_b32 s43, s43, exec_lo
                                        ; implicit-def: $vgpr5_vgpr6
	s_and_not1_saveexec_b32 s3, s3
	s_cbranch_execz .LBB0_21
.LBB0_35:                               ;   in Loop: Header=BB0_6 Depth=2
	s_mov_b32 s45, s43
	s_mov_b32 s44, exec_lo
                                        ; implicit-def: $vgpr11_vgpr12
	v_cmpx_lt_i32_e64 v2, v17
	s_cbranch_execz .LBB0_43
; %bb.36:                               ;   in Loop: Header=BB0_6 Depth=2
	s_mov_b32 s46, 0
                                        ; implicit-def: $sgpr45
                                        ; implicit-def: $sgpr48
                                        ; implicit-def: $sgpr47
	s_set_inst_prefetch_distance 0x1
	s_branch .LBB0_38
	.p2align	6
.LBB0_37:                               ;   in Loop: Header=BB0_38 Depth=3
	s_or_b32 exec_lo, exec_lo, s49
	s_delay_alu instid0(SALU_CYCLE_1) | instskip(NEXT) | instid1(SALU_CYCLE_1)
	s_and_b32 s49, exec_lo, s48
	s_or_b32 s46, s49, s46
	s_and_not1_b32 s45, s45, exec_lo
	s_and_b32 s49, s47, exec_lo
	s_delay_alu instid0(SALU_CYCLE_1)
	s_or_b32 s45, s45, s49
	s_and_not1_b32 exec_lo, exec_lo, s46
	s_cbranch_execz .LBB0_40
.LBB0_38:                               ;   Parent Loop BB0_3 Depth=1
                                        ;     Parent Loop BB0_6 Depth=2
                                        ; =>    This Inner Loop Header: Depth=3
	v_add_nc_u32_e32 v6, v1, v2
	s_or_b32 s47, s47, exec_lo
	s_or_b32 s48, s48, exec_lo
	s_mov_b32 s49, exec_lo
	s_delay_alu instid0(VALU_DEP_1) | instskip(NEXT) | instid1(VALU_DEP_1)
	v_ashrrev_i32_e32 v7, 31, v6
	v_lshlrev_b64 v[6:7], 2, v[6:7]
	s_delay_alu instid0(VALU_DEP_1) | instskip(NEXT) | instid1(VALU_DEP_2)
	v_add_co_u32 v8, vcc_lo, s8, v6
	v_add_co_ci_u32_e32 v9, vcc_lo, s9, v7, vcc_lo
	global_load_b32 v8, v[8:9], off
	s_waitcnt vmcnt(0)
	v_subrev_nc_u32_e32 v8, s36, v8
	s_delay_alu instid0(VALU_DEP_1)
	v_cmpx_ne_u32_e64 v8, v5
	s_cbranch_execz .LBB0_37
; %bb.39:                               ;   in Loop: Header=BB0_38 Depth=3
	v_add_nc_u32_e32 v2, 1, v2
	s_and_not1_b32 s48, s48, exec_lo
	s_and_not1_b32 s47, s47, exec_lo
	s_delay_alu instid0(VALU_DEP_1) | instskip(SKIP_1) | instid1(SALU_CYCLE_1)
	v_cmp_ge_i32_e32 vcc_lo, v2, v17
	s_and_b32 s50, vcc_lo, exec_lo
	s_or_b32 s48, s48, s50
	s_branch .LBB0_37
.LBB0_40:                               ;   in Loop: Header=BB0_6 Depth=2
	s_set_inst_prefetch_distance 0x2
	s_or_b32 exec_lo, exec_lo, s46
	s_mov_b32 s46, s43
                                        ; implicit-def: $vgpr11_vgpr12
	s_and_saveexec_b32 s47, s45
	s_delay_alu instid0(SALU_CYCLE_1)
	s_xor_b32 s45, exec_lo, s47
; %bb.41:                               ;   in Loop: Header=BB0_6 Depth=2
	v_add_co_u32 v11, vcc_lo, s30, v6
	v_add_co_ci_u32_e32 v12, vcc_lo, s31, v7, vcc_lo
	s_or_b32 s46, s43, exec_lo
; %bb.42:                               ;   in Loop: Header=BB0_6 Depth=2
	s_or_b32 exec_lo, exec_lo, s45
	s_delay_alu instid0(SALU_CYCLE_1) | instskip(SKIP_1) | instid1(SALU_CYCLE_1)
	s_and_not1_b32 s45, s43, exec_lo
	s_and_b32 s46, s46, exec_lo
	s_or_b32 s45, s45, s46
.LBB0_43:                               ;   in Loop: Header=BB0_6 Depth=2
	s_or_b32 exec_lo, exec_lo, s44
	s_delay_alu instid0(SALU_CYCLE_1) | instskip(SKIP_1) | instid1(SALU_CYCLE_1)
	s_and_not1_b32 s43, s43, exec_lo
	s_and_b32 s44, s45, exec_lo
	s_or_b32 s43, s43, s44
	s_or_b32 exec_lo, exec_lo, s3
	s_delay_alu instid0(SALU_CYCLE_1)
	s_and_b32 exec_lo, exec_lo, s43
	s_cbranch_execz .LBB0_5
.LBB0_44:                               ;   in Loop: Header=BB0_6 Depth=2
	global_store_b32 v[11:12], v13, off
	s_branch .LBB0_5
.LBB0_45:                               ;   in Loop: Header=BB0_3 Depth=1
	s_or_b32 exec_lo, exec_lo, s40
	s_and_saveexec_b32 s40, s0
	s_cbranch_execz .LBB0_2
; %bb.46:                               ;   in Loop: Header=BB0_3 Depth=1
	v_mov_b32_e32 v4, v0
	s_mov_b32 s41, 0
	s_branch .LBB0_49
.LBB0_47:                               ;   in Loop: Header=BB0_49 Depth=2
	s_or_b32 exec_lo, exec_lo, s43
	v_add_co_u32 v7, vcc_lo, s14, v5
	v_add_co_ci_u32_e32 v8, vcc_lo, s15, v6, vcc_lo
	v_add_co_u32 v5, vcc_lo, s12, v5
	v_add_co_ci_u32_e32 v6, vcc_lo, s13, v6, vcc_lo
	global_load_b32 v2, v[7:8], off
	s_waitcnt vmcnt(0)
	global_store_b32 v[5:6], v2, off
.LBB0_48:                               ;   in Loop: Header=BB0_49 Depth=2
	s_or_b32 exec_lo, exec_lo, s42
	v_add_nc_u32_e32 v4, 0x400, v4
	s_delay_alu instid0(VALU_DEP_1) | instskip(SKIP_1) | instid1(SALU_CYCLE_1)
	v_cmp_le_u32_e32 vcc_lo, s38, v4
	s_or_b32 s41, vcc_lo, s41
	s_and_not1_b32 exec_lo, exec_lo, s41
	s_cbranch_execz .LBB0_2
.LBB0_49:                               ;   Parent Loop BB0_3 Depth=1
                                        ; =>  This Loop Header: Depth=2
                                        ;       Child Loop BB0_52 Depth 3
                                        ;       Child Loop BB0_55 Depth 3
	s_mov_b32 s42, exec_lo
	s_delay_alu instid0(VALU_DEP_1)
	v_cmpx_gt_i32_e64 s29, v4
	s_cbranch_execz .LBB0_48
; %bb.50:                               ;   in Loop: Header=BB0_49 Depth=2
	v_ashrrev_i32_e32 v5, 31, v4
	s_mov_b32 s43, exec_lo
	s_delay_alu instid0(VALU_DEP_1) | instskip(NEXT) | instid1(VALU_DEP_1)
	v_lshlrev_b64 v[5:6], 2, v[4:5]
	v_add_co_u32 v7, vcc_lo, s4, v5
	s_delay_alu instid0(VALU_DEP_2)
	v_add_co_ci_u32_e32 v8, vcc_lo, s5, v6, vcc_lo
	v_add_co_u32 v9, vcc_lo, s6, v5
	v_add_co_ci_u32_e32 v10, vcc_lo, s7, v6, vcc_lo
	global_load_b32 v7, v[7:8], off
	global_load_b32 v2, v[9:10], off
	s_waitcnt vmcnt(0)
	v_cmpx_lt_i32_e64 v7, v2
	s_cbranch_execz .LBB0_53
; %bb.51:                               ;   in Loop: Header=BB0_49 Depth=2
	v_subrev_nc_u32_e32 v7, s36, v7
	v_subrev_nc_u32_e32 v2, s36, v2
	s_mov_b32 s44, 0
	s_delay_alu instid0(VALU_DEP_2) | instskip(NEXT) | instid1(VALU_DEP_1)
	v_ashrrev_i32_e32 v8, 31, v7
	v_lshlrev_b64 v[10:11], 2, v[7:8]
	s_delay_alu instid0(VALU_DEP_1) | instskip(NEXT) | instid1(VALU_DEP_2)
	v_add_co_u32 v8, vcc_lo, s30, v10
	v_add_co_ci_u32_e32 v9, vcc_lo, s31, v11, vcc_lo
	v_add_co_u32 v10, vcc_lo, s10, v10
	v_add_co_ci_u32_e32 v11, vcc_lo, s11, v11, vcc_lo
.LBB0_52:                               ;   Parent Loop BB0_3 Depth=1
                                        ;     Parent Loop BB0_49 Depth=2
                                        ; =>    This Inner Loop Header: Depth=3
	global_load_b32 v12, v[8:9], off
	v_add_nc_u32_e32 v7, 1, v7
	v_add_co_u32 v8, vcc_lo, v8, 4
	v_add_co_ci_u32_e32 v9, vcc_lo, 0, v9, vcc_lo
	s_delay_alu instid0(VALU_DEP_3) | instskip(SKIP_4) | instid1(VALU_DEP_1)
	v_cmp_ge_i32_e32 vcc_lo, v7, v2
	s_or_b32 s44, vcc_lo, s44
	s_waitcnt vmcnt(0)
	global_store_b32 v[10:11], v12, off
	v_add_co_u32 v10, s3, v10, 4
	v_add_co_ci_u32_e64 v11, s3, 0, v11, s3
	s_and_not1_b32 exec_lo, exec_lo, s44
	s_cbranch_execnz .LBB0_52
.LBB0_53:                               ;   in Loop: Header=BB0_49 Depth=2
	s_or_b32 exec_lo, exec_lo, s43
	v_add_co_u32 v7, vcc_lo, s20, v5
	v_add_co_ci_u32_e32 v8, vcc_lo, s21, v6, vcc_lo
	v_add_co_u32 v9, vcc_lo, s22, v5
	v_add_co_ci_u32_e32 v10, vcc_lo, s23, v6, vcc_lo
	s_mov_b32 s43, exec_lo
	global_load_b32 v7, v[7:8], off
	global_load_b32 v2, v[9:10], off
	s_waitcnt vmcnt(0)
	v_cmpx_lt_i32_e64 v7, v2
	s_cbranch_execz .LBB0_47
; %bb.54:                               ;   in Loop: Header=BB0_49 Depth=2
	v_subrev_nc_u32_e32 v7, s39, v7
	v_subrev_nc_u32_e32 v2, s39, v2
	s_mov_b32 s44, 0
	s_delay_alu instid0(VALU_DEP_2) | instskip(NEXT) | instid1(VALU_DEP_1)
	v_ashrrev_i32_e32 v8, 31, v7
	v_lshlrev_b64 v[10:11], 2, v[7:8]
	s_delay_alu instid0(VALU_DEP_1) | instskip(NEXT) | instid1(VALU_DEP_2)
	v_add_co_u32 v8, vcc_lo, s34, v10
	v_add_co_ci_u32_e32 v9, vcc_lo, s35, v11, vcc_lo
	v_add_co_u32 v10, vcc_lo, s26, v10
	v_add_co_ci_u32_e32 v11, vcc_lo, s27, v11, vcc_lo
	.p2align	6
.LBB0_55:                               ;   Parent Loop BB0_3 Depth=1
                                        ;     Parent Loop BB0_49 Depth=2
                                        ; =>    This Inner Loop Header: Depth=3
	global_load_b32 v12, v[8:9], off
	v_add_nc_u32_e32 v7, 1, v7
	v_add_co_u32 v8, vcc_lo, v8, 4
	v_add_co_ci_u32_e32 v9, vcc_lo, 0, v9, vcc_lo
	s_delay_alu instid0(VALU_DEP_3) | instskip(SKIP_4) | instid1(VALU_DEP_1)
	v_cmp_ge_i32_e32 vcc_lo, v7, v2
	s_or_b32 s44, vcc_lo, s44
	s_waitcnt vmcnt(0)
	global_store_b32 v[10:11], v12, off
	v_add_co_u32 v10, s3, v10, 4
	v_add_co_ci_u32_e64 v11, s3, 0, v11, s3
	s_and_not1_b32 exec_lo, exec_lo, s44
	s_cbranch_execnz .LBB0_55
	s_branch .LBB0_47
.LBB0_56:
	s_nop 0
	s_sendmsg sendmsg(MSG_DEALLOC_VGPRS)
	s_endpgm
	.section	.rodata,"a",@progbits
	.p2align	6, 0x0
	.amdhsa_kernel _ZN9rocsparseL14kernel_freerunILi1024ELi1EfiiEEvT3_S1_T2_PKS2_S4_PKS1_PKT1_21rocsparse_index_base_S4_S4_S6_PS7_SB_SA_S4_S4_S6_SB_SB_SA_SB_SB_
		.amdhsa_group_segment_fixed_size 0
		.amdhsa_private_segment_fixed_size 0
		.amdhsa_kernarg_size 168
		.amdhsa_user_sgpr_count 15
		.amdhsa_user_sgpr_dispatch_ptr 0
		.amdhsa_user_sgpr_queue_ptr 0
		.amdhsa_user_sgpr_kernarg_segment_ptr 1
		.amdhsa_user_sgpr_dispatch_id 0
		.amdhsa_user_sgpr_private_segment_size 0
		.amdhsa_wavefront_size32 1
		.amdhsa_uses_dynamic_stack 0
		.amdhsa_enable_private_segment 0
		.amdhsa_system_sgpr_workgroup_id_x 1
		.amdhsa_system_sgpr_workgroup_id_y 0
		.amdhsa_system_sgpr_workgroup_id_z 0
		.amdhsa_system_sgpr_workgroup_info 0
		.amdhsa_system_vgpr_workitem_id 0
		.amdhsa_next_free_vgpr 34
		.amdhsa_next_free_sgpr 52
		.amdhsa_reserve_vcc 1
		.amdhsa_float_round_mode_32 0
		.amdhsa_float_round_mode_16_64 0
		.amdhsa_float_denorm_mode_32 3
		.amdhsa_float_denorm_mode_16_64 3
		.amdhsa_dx10_clamp 1
		.amdhsa_ieee_mode 1
		.amdhsa_fp16_overflow 0
		.amdhsa_workgroup_processor_mode 1
		.amdhsa_memory_ordered 1
		.amdhsa_forward_progress 0
		.amdhsa_shared_vgpr_count 0
		.amdhsa_exception_fp_ieee_invalid_op 0
		.amdhsa_exception_fp_denorm_src 0
		.amdhsa_exception_fp_ieee_div_zero 0
		.amdhsa_exception_fp_ieee_overflow 0
		.amdhsa_exception_fp_ieee_underflow 0
		.amdhsa_exception_fp_ieee_inexact 0
		.amdhsa_exception_int_div_zero 0
	.end_amdhsa_kernel
	.section	.text._ZN9rocsparseL14kernel_freerunILi1024ELi1EfiiEEvT3_S1_T2_PKS2_S4_PKS1_PKT1_21rocsparse_index_base_S4_S4_S6_PS7_SB_SA_S4_S4_S6_SB_SB_SA_SB_SB_,"axG",@progbits,_ZN9rocsparseL14kernel_freerunILi1024ELi1EfiiEEvT3_S1_T2_PKS2_S4_PKS1_PKT1_21rocsparse_index_base_S4_S4_S6_PS7_SB_SA_S4_S4_S6_SB_SB_SA_SB_SB_,comdat
.Lfunc_end0:
	.size	_ZN9rocsparseL14kernel_freerunILi1024ELi1EfiiEEvT3_S1_T2_PKS2_S4_PKS1_PKT1_21rocsparse_index_base_S4_S4_S6_PS7_SB_SA_S4_S4_S6_SB_SB_SA_SB_SB_, .Lfunc_end0-_ZN9rocsparseL14kernel_freerunILi1024ELi1EfiiEEvT3_S1_T2_PKS2_S4_PKS1_PKT1_21rocsparse_index_base_S4_S4_S6_PS7_SB_SA_S4_S4_S6_SB_SB_SA_SB_SB_
                                        ; -- End function
	.section	.AMDGPU.csdata,"",@progbits
; Kernel info:
; codeLenInByte = 2328
; NumSgprs: 54
; NumVgprs: 34
; ScratchSize: 0
; MemoryBound: 0
; FloatMode: 240
; IeeeMode: 1
; LDSByteSize: 0 bytes/workgroup (compile time only)
; SGPRBlocks: 6
; VGPRBlocks: 4
; NumSGPRsForWavesPerEU: 54
; NumVGPRsForWavesPerEU: 34
; Occupancy: 16
; WaveLimiterHint : 1
; COMPUTE_PGM_RSRC2:SCRATCH_EN: 0
; COMPUTE_PGM_RSRC2:USER_SGPR: 15
; COMPUTE_PGM_RSRC2:TRAP_HANDLER: 0
; COMPUTE_PGM_RSRC2:TGID_X_EN: 1
; COMPUTE_PGM_RSRC2:TGID_Y_EN: 0
; COMPUTE_PGM_RSRC2:TGID_Z_EN: 0
; COMPUTE_PGM_RSRC2:TIDIG_COMP_CNT: 0
	.section	.text._ZN9rocsparseL14kernel_freerunILi1024ELi2EfiiEEvT3_S1_T2_PKS2_S4_PKS1_PKT1_21rocsparse_index_base_S4_S4_S6_PS7_SB_SA_S4_S4_S6_SB_SB_SA_SB_SB_,"axG",@progbits,_ZN9rocsparseL14kernel_freerunILi1024ELi2EfiiEEvT3_S1_T2_PKS2_S4_PKS1_PKT1_21rocsparse_index_base_S4_S4_S6_PS7_SB_SA_S4_S4_S6_SB_SB_SA_SB_SB_,comdat
	.globl	_ZN9rocsparseL14kernel_freerunILi1024ELi2EfiiEEvT3_S1_T2_PKS2_S4_PKS1_PKT1_21rocsparse_index_base_S4_S4_S6_PS7_SB_SA_S4_S4_S6_SB_SB_SA_SB_SB_ ; -- Begin function _ZN9rocsparseL14kernel_freerunILi1024ELi2EfiiEEvT3_S1_T2_PKS2_S4_PKS1_PKT1_21rocsparse_index_base_S4_S4_S6_PS7_SB_SA_S4_S4_S6_SB_SB_SA_SB_SB_
	.p2align	8
	.type	_ZN9rocsparseL14kernel_freerunILi1024ELi2EfiiEEvT3_S1_T2_PKS2_S4_PKS1_PKT1_21rocsparse_index_base_S4_S4_S6_PS7_SB_SA_S4_S4_S6_SB_SB_SA_SB_SB_,@function
_ZN9rocsparseL14kernel_freerunILi1024ELi2EfiiEEvT3_S1_T2_PKS2_S4_PKS1_PKT1_21rocsparse_index_base_S4_S4_S6_PS7_SB_SA_S4_S4_S6_SB_SB_SA_SB_SB_: ; @_ZN9rocsparseL14kernel_freerunILi1024ELi2EfiiEEvT3_S1_T2_PKS2_S4_PKS1_PKT1_21rocsparse_index_base_S4_S4_S6_PS7_SB_SA_S4_S4_S6_SB_SB_SA_SB_SB_
; %bb.0:
	s_load_b64 s[34:35], s[0:1], 0x0
	v_lshrrev_b32_e32 v1, 1, v0
	s_lshl_b32 s42, s15, 10
	s_mov_b32 s7, 0
	s_delay_alu instid0(VALU_DEP_1) | instskip(SKIP_1) | instid1(VALU_DEP_1)
	v_or_b32_e32 v1, s42, v1
	s_waitcnt lgkmcnt(0)
	v_cmp_gt_i32_e32 vcc_lo, s35, v1
	s_cmp_gt_i32 s34, 0
	s_cselect_b32 s2, -1, 0
	s_delay_alu instid0(SALU_CYCLE_1) | instskip(NEXT) | instid1(SALU_CYCLE_1)
	s_and_b32 s2, vcc_lo, s2
	s_and_saveexec_b32 s3, s2
	s_cbranch_execz .LBB1_100
; %bb.1:
	s_clause 0x1
	s_load_b256 s[8:15], s[0:1], 0x38
	s_load_b256 s[16:23], s[0:1], 0x10
	v_ashrrev_i32_e32 v2, 31, v1
	v_and_b32_e32 v16, 1, v0
	s_load_b256 s[24:31], s[0:1], 0x68
	v_or_b32_e32 v0, 0x200, v1
	s_addk_i32 s42, 0x400
	v_lshlrev_b64 v[8:9], 2, v[1:2]
	s_delay_alu instid0(VALU_DEP_2) | instskip(SKIP_1) | instid1(VALU_DEP_2)
	v_cmp_gt_i32_e64 s2, s35, v0
	s_waitcnt lgkmcnt(0)
	v_add_co_u32 v2, vcc_lo, s8, v8
	s_delay_alu instid0(VALU_DEP_3)
	v_add_co_ci_u32_e32 v3, vcc_lo, s9, v9, vcc_lo
	v_add_co_u32 v4, vcc_lo, s16, v8
	v_add_co_ci_u32_e32 v5, vcc_lo, s17, v9, vcc_lo
	global_load_b32 v12, v[2:3], off
	v_add_co_u32 v6, vcc_lo, s18, v8
	v_add_co_ci_u32_e32 v7, vcc_lo, s19, v9, vcc_lo
	v_add_co_u32 v8, vcc_lo, s10, v8
	v_add_co_ci_u32_e32 v9, vcc_lo, s11, v9, vcc_lo
	global_load_b32 v13, v[4:5], off
	global_load_b32 v14, v[6:7], off
	;; [unrolled: 1-line block ×3, first 2 shown]
	s_clause 0x5
	s_load_b32 s33, s[0:1], 0x60
	s_load_b32 s40, s[0:1], 0x30
	;; [unrolled: 1-line block ×3, first 2 shown]
	s_load_b64 s[36:37], s[0:1], 0x58
	s_load_b64 s[38:39], s[0:1], 0x88
	s_load_b128 s[16:19], s[0:1], 0x98
	v_cmp_gt_u32_e64 s0, s42, v1
	v_cmp_eq_u32_e64 s1, 0, v16
	s_waitcnt lgkmcnt(0)
	v_subrev_nc_u32_e32 v32, s33, v16
	v_subrev_nc_u32_e32 v28, s40, v16
	;; [unrolled: 1-line block ×3, first 2 shown]
	s_waitcnt vmcnt(3)
	v_subrev_nc_u32_e32 v10, s33, v12
	s_delay_alu instid0(VALU_DEP_1)
	v_ashrrev_i32_e32 v11, 31, v10
	s_waitcnt vmcnt(2)
	v_add_nc_u32_e32 v29, v28, v13
	s_waitcnt vmcnt(1)
	v_subrev_nc_u32_e32 v30, s40, v14
	s_waitcnt vmcnt(0)
	v_sub_nc_u32_e32 v31, v15, v12
	v_lshlrev_b64 v[11:12], 2, v[10:11]
	s_delay_alu instid0(VALU_DEP_2) | instskip(NEXT) | instid1(VALU_DEP_2)
	v_cmp_lt_i32_e64 s4, 0, v31
	v_add_co_u32 v34, vcc_lo, s12, v11
	s_delay_alu instid0(VALU_DEP_3)
	v_add_co_ci_u32_e32 v35, vcc_lo, s13, v12, vcc_lo
	v_add_co_u32 v36, vcc_lo, s14, v11
	v_add_co_ci_u32_e32 v37, vcc_lo, s15, v12, vcc_lo
	v_mov_b32_e32 v12, 0
	v_cmp_lt_i32_e64 s3, v29, v30
	s_branch .LBB1_3
.LBB1_2:                                ;   in Loop: Header=BB1_3 Depth=1
	s_or_b32 exec_lo, exec_lo, s6
	s_add_i32 s7, s7, 1
	s_delay_alu instid0(SALU_CYCLE_1)
	s_cmp_eq_u32 s7, s34
	s_cbranch_scc1 .LBB1_100
.LBB1_3:                                ; =>This Loop Header: Depth=1
                                        ;     Child Loop BB1_6 Depth 2
                                        ;       Child Loop BB1_10 Depth 3
                                        ;       Child Loop BB1_28 Depth 3
	;; [unrolled: 1-line block ×3, first 2 shown]
                                        ;     Child Loop BB1_49 Depth 2
                                        ;       Child Loop BB1_53 Depth 3
                                        ;       Child Loop BB1_71 Depth 3
	;; [unrolled: 1-line block ×3, first 2 shown]
                                        ;     Child Loop BB1_91 Depth 2
                                        ;       Child Loop BB1_94 Depth 3
                                        ;       Child Loop BB1_97 Depth 3
	s_delay_alu instid0(VALU_DEP_1)
	s_and_saveexec_b32 s6, s3
	s_cbranch_execz .LBB1_45
; %bb.4:                                ;   in Loop: Header=BB1_3 Depth=1
	v_mov_b32_e32 v13, v29
	s_mov_b32 s43, 0
	s_branch .LBB1_6
.LBB1_5:                                ;   in Loop: Header=BB1_6 Depth=2
	s_or_b32 exec_lo, exec_lo, s44
	v_add_nc_u32_e32 v13, 2, v13
	s_delay_alu instid0(VALU_DEP_1) | instskip(SKIP_1) | instid1(SALU_CYCLE_1)
	v_cmp_ge_i32_e32 vcc_lo, v13, v30
	s_or_b32 s43, vcc_lo, s43
	s_and_not1_b32 exec_lo, exec_lo, s43
	s_cbranch_execz .LBB1_45
.LBB1_6:                                ;   Parent Loop BB1_3 Depth=1
                                        ; =>  This Loop Header: Depth=2
                                        ;       Child Loop BB1_10 Depth 3
                                        ;       Child Loop BB1_28 Depth 3
	;; [unrolled: 1-line block ×3, first 2 shown]
	s_delay_alu instid0(VALU_DEP_1) | instskip(SKIP_1) | instid1(VALU_DEP_2)
	v_ashrrev_i32_e32 v14, 31, v13
	v_mov_b32_e32 v27, 0
	v_lshlrev_b64 v[20:21], 2, v[13:14]
	s_delay_alu instid0(VALU_DEP_1) | instskip(NEXT) | instid1(VALU_DEP_2)
	v_add_co_u32 v14, vcc_lo, s20, v20
	v_add_co_ci_u32_e32 v15, vcc_lo, s21, v21, vcc_lo
	global_load_b32 v11, v[14:15], off
	s_waitcnt vmcnt(0)
	v_subrev_nc_u32_e32 v14, s40, v11
	s_delay_alu instid0(VALU_DEP_1) | instskip(NEXT) | instid1(VALU_DEP_1)
	v_ashrrev_i32_e32 v15, 31, v14
	v_lshlrev_b64 v[18:19], 2, v[14:15]
	s_delay_alu instid0(VALU_DEP_1) | instskip(NEXT) | instid1(VALU_DEP_2)
	v_add_co_u32 v15, vcc_lo, s24, v18
	v_add_co_ci_u32_e32 v16, vcc_lo, s25, v19, vcc_lo
	v_add_co_u32 v22, vcc_lo, s26, v18
	v_add_co_ci_u32_e32 v23, vcc_lo, s27, v19, vcc_lo
	global_load_b32 v11, v[15:16], off
	global_load_b32 v17, v[22:23], off
	v_mov_b32_e32 v16, 0
	s_waitcnt vmcnt(1)
	v_subrev_nc_u32_e32 v15, s41, v11
	s_waitcnt vmcnt(0)
	v_sub_nc_u32_e32 v26, v17, v11
	v_mov_b32_e32 v11, 0
	s_and_saveexec_b32 s44, s4
	s_cbranch_execz .LBB1_14
; %bb.7:                                ;   in Loop: Header=BB1_6 Depth=2
	v_ashrrev_i32_e32 v16, 31, v15
	v_mov_b32_e32 v11, 0
	v_mov_b32_e32 v27, 0
	s_mov_b32 s45, 0
                                        ; implicit-def: $sgpr46
	s_delay_alu instid0(VALU_DEP_3) | instskip(NEXT) | instid1(VALU_DEP_1)
	v_lshlrev_b64 v[16:17], 2, v[15:16]
	v_add_co_u32 v38, vcc_lo, s28, v16
	s_delay_alu instid0(VALU_DEP_2)
	v_add_co_ci_u32_e32 v39, vcc_lo, s29, v17, vcc_lo
	v_add_co_u32 v40, vcc_lo, s30, v16
	v_mov_b32_e32 v16, v11
	v_add_co_ci_u32_e32 v41, vcc_lo, s31, v17, vcc_lo
	s_branch .LBB1_10
.LBB1_8:                                ;   in Loop: Header=BB1_10 Depth=3
	s_or_b32 exec_lo, exec_lo, s5
	v_cmp_le_i32_e32 vcc_lo, v17, v42
	v_cmp_ge_i32_e64 s5, v17, v42
	v_add_co_ci_u32_e32 v11, vcc_lo, 0, v11, vcc_lo
	s_delay_alu instid0(VALU_DEP_2) | instskip(SKIP_1) | instid1(VALU_DEP_2)
	v_add_co_ci_u32_e64 v16, s5, 0, v16, s5
	s_and_not1_b32 s5, s46, exec_lo
	v_cmp_ge_i32_e32 vcc_lo, v11, v31
	s_and_b32 s46, vcc_lo, exec_lo
	s_delay_alu instid0(SALU_CYCLE_1)
	s_or_b32 s46, s5, s46
.LBB1_9:                                ;   in Loop: Header=BB1_10 Depth=3
	s_or_b32 exec_lo, exec_lo, s47
	s_delay_alu instid0(SALU_CYCLE_1) | instskip(NEXT) | instid1(SALU_CYCLE_1)
	s_and_b32 s5, exec_lo, s46
	s_or_b32 s45, s5, s45
	s_delay_alu instid0(SALU_CYCLE_1)
	s_and_not1_b32 exec_lo, exec_lo, s45
	s_cbranch_execz .LBB1_13
.LBB1_10:                               ;   Parent Loop BB1_3 Depth=1
                                        ;     Parent Loop BB1_6 Depth=2
                                        ; =>    This Inner Loop Header: Depth=3
	s_or_b32 s46, s46, exec_lo
	s_mov_b32 s47, exec_lo
	v_cmpx_lt_i32_e64 v16, v26
	s_cbranch_execz .LBB1_9
; %bb.11:                               ;   in Loop: Header=BB1_10 Depth=3
	v_mov_b32_e32 v17, v12
	v_lshlrev_b64 v[24:25], 2, v[11:12]
	s_mov_b32 s5, exec_lo
	s_delay_alu instid0(VALU_DEP_2) | instskip(NEXT) | instid1(VALU_DEP_2)
	v_lshlrev_b64 v[22:23], 2, v[16:17]
	v_add_co_u32 v42, vcc_lo, v34, v24
	s_delay_alu instid0(VALU_DEP_3) | instskip(NEXT) | instid1(VALU_DEP_3)
	v_add_co_ci_u32_e32 v43, vcc_lo, v35, v25, vcc_lo
	v_add_co_u32 v44, vcc_lo, v38, v22
	s_delay_alu instid0(VALU_DEP_4)
	v_add_co_ci_u32_e32 v45, vcc_lo, v39, v23, vcc_lo
	global_load_b32 v17, v[42:43], off
	global_load_b32 v42, v[44:45], off
	s_waitcnt vmcnt(1)
	v_subrev_nc_u32_e32 v17, s33, v17
	s_waitcnt vmcnt(0)
	v_subrev_nc_u32_e32 v42, s41, v42
	s_delay_alu instid0(VALU_DEP_1)
	v_cmpx_eq_u32_e64 v17, v42
	s_cbranch_execz .LBB1_8
; %bb.12:                               ;   in Loop: Header=BB1_10 Depth=3
	v_add_co_u32 v24, vcc_lo, v36, v24
	v_add_co_ci_u32_e32 v25, vcc_lo, v37, v25, vcc_lo
	v_add_co_u32 v22, vcc_lo, v40, v22
	v_add_co_ci_u32_e32 v23, vcc_lo, v41, v23, vcc_lo
	global_load_b32 v24, v[24:25], off
	global_load_b32 v22, v[22:23], off
	s_waitcnt vmcnt(0)
	v_fmac_f32_e32 v27, v24, v22
	s_branch .LBB1_8
.LBB1_13:                               ;   in Loop: Header=BB1_6 Depth=2
	s_or_b32 exec_lo, exec_lo, s45
.LBB1_14:                               ;   in Loop: Header=BB1_6 Depth=2
	s_delay_alu instid0(SALU_CYCLE_1)
	s_or_b32 exec_lo, exec_lo, s44
	v_add_co_u32 v20, vcc_lo, s22, v20
	v_add_co_ci_u32_e32 v21, vcc_lo, s23, v21, vcc_lo
	v_cmp_le_i32_e64 s5, v1, v14
	s_mov_b32 s44, exec_lo
	global_load_b32 v17, v[20:21], off
	s_waitcnt vmcnt(0)
	v_sub_f32_e32 v22, v17, v27
	v_cmpx_gt_i32_e64 v1, v14
	s_cbranch_execz .LBB1_18
; %bb.15:                               ;   in Loop: Header=BB1_6 Depth=2
	v_add_co_u32 v20, vcc_lo, s16, v18
	v_add_co_ci_u32_e32 v21, vcc_lo, s17, v19, vcc_lo
	s_mov_b32 s45, exec_lo
	global_load_b32 v17, v[20:21], off
	v_mov_b32_e32 v20, 0
	s_waitcnt vmcnt(0)
	v_cmpx_lg_f32_e32 0, v17
; %bb.16:                               ;   in Loop: Header=BB1_6 Depth=2
	v_div_scale_f32 v20, null, v17, v17, v22
	s_delay_alu instid0(VALU_DEP_1) | instskip(SKIP_2) | instid1(VALU_DEP_1)
	v_rcp_f32_e32 v21, v20
	s_waitcnt_depctr 0xfff
	v_fma_f32 v23, -v20, v21, 1.0
	v_fmac_f32_e32 v21, v23, v21
	v_div_scale_f32 v23, vcc_lo, v22, v17, v22
	s_delay_alu instid0(VALU_DEP_1) | instskip(NEXT) | instid1(VALU_DEP_1)
	v_mul_f32_e32 v24, v23, v21
	v_fma_f32 v25, -v20, v24, v23
	s_delay_alu instid0(VALU_DEP_1) | instskip(NEXT) | instid1(VALU_DEP_1)
	v_fmac_f32_e32 v24, v25, v21
	v_fma_f32 v20, -v20, v24, v23
	s_delay_alu instid0(VALU_DEP_1) | instskip(NEXT) | instid1(VALU_DEP_1)
	v_div_fmas_f32 v20, v20, v21, v24
	v_div_fixup_f32 v20, v20, v17, v22
; %bb.17:                               ;   in Loop: Header=BB1_6 Depth=2
	s_or_b32 exec_lo, exec_lo, s45
	s_delay_alu instid0(VALU_DEP_1)
	v_mov_b32_e32 v22, v20
.LBB1_18:                               ;   in Loop: Header=BB1_6 Depth=2
	s_or_b32 exec_lo, exec_lo, s44
	s_delay_alu instid0(VALU_DEP_1) | instskip(NEXT) | instid1(VALU_DEP_1)
	v_cmp_class_f32_e64 s45, v22, 0x1f8
	s_and_saveexec_b32 s44, s45
	s_cbranch_execz .LBB1_5
; %bb.19:                               ;   in Loop: Header=BB1_6 Depth=2
	s_mov_b32 s45, 0
                                        ; implicit-def: $vgpr20_vgpr21
	s_and_saveexec_b32 s46, s5
	s_delay_alu instid0(SALU_CYCLE_1)
	s_xor_b32 s5, exec_lo, s46
	s_cbranch_execnz .LBB1_22
; %bb.20:                               ;   in Loop: Header=BB1_6 Depth=2
	s_and_not1_saveexec_b32 s5, s5
	s_cbranch_execnz .LBB1_35
.LBB1_21:                               ;   in Loop: Header=BB1_6 Depth=2
	s_or_b32 exec_lo, exec_lo, s5
	s_delay_alu instid0(SALU_CYCLE_1)
	s_and_b32 exec_lo, exec_lo, s45
	s_cbranch_execz .LBB1_5
	s_branch .LBB1_44
.LBB1_22:                               ;   in Loop: Header=BB1_6 Depth=2
	s_mov_b32 s46, exec_lo
                                        ; implicit-def: $vgpr20_vgpr21
	v_cmpx_ge_i32_e64 v1, v14
	s_xor_b32 s46, exec_lo, s46
; %bb.23:                               ;   in Loop: Header=BB1_6 Depth=2
	v_add_co_u32 v20, vcc_lo, s18, v18
	s_mov_b32 s45, exec_lo
	v_add_co_ci_u32_e32 v21, vcc_lo, s19, v19, vcc_lo
                                        ; implicit-def: $vgpr16
                                        ; implicit-def: $vgpr26
                                        ; implicit-def: $vgpr15
; %bb.24:                               ;   in Loop: Header=BB1_6 Depth=2
	s_and_not1_saveexec_b32 s46, s46
	s_cbranch_execz .LBB1_34
; %bb.25:                               ;   in Loop: Header=BB1_6 Depth=2
	s_mov_b32 s48, s45
	s_mov_b32 s47, exec_lo
                                        ; implicit-def: $vgpr20_vgpr21
	v_cmpx_lt_i32_e64 v16, v26
	s_cbranch_execz .LBB1_33
; %bb.26:                               ;   in Loop: Header=BB1_6 Depth=2
	s_mov_b32 s49, 0
                                        ; implicit-def: $sgpr48
                                        ; implicit-def: $sgpr51
                                        ; implicit-def: $sgpr50
	s_set_inst_prefetch_distance 0x1
	s_branch .LBB1_28
	.p2align	6
.LBB1_27:                               ;   in Loop: Header=BB1_28 Depth=3
	s_or_b32 exec_lo, exec_lo, s52
	s_delay_alu instid0(SALU_CYCLE_1) | instskip(NEXT) | instid1(SALU_CYCLE_1)
	s_and_b32 s52, exec_lo, s51
	s_or_b32 s49, s52, s49
	s_and_not1_b32 s48, s48, exec_lo
	s_and_b32 s52, s50, exec_lo
	s_delay_alu instid0(SALU_CYCLE_1)
	s_or_b32 s48, s48, s52
	s_and_not1_b32 exec_lo, exec_lo, s49
	s_cbranch_execz .LBB1_30
.LBB1_28:                               ;   Parent Loop BB1_3 Depth=1
                                        ;     Parent Loop BB1_6 Depth=2
                                        ; =>    This Inner Loop Header: Depth=3
	v_add_nc_u32_e32 v17, v15, v16
	s_or_b32 s50, s50, exec_lo
	s_or_b32 s51, s51, exec_lo
	s_mov_b32 s52, exec_lo
	s_delay_alu instid0(VALU_DEP_1) | instskip(NEXT) | instid1(VALU_DEP_1)
	v_ashrrev_i32_e32 v18, 31, v17
	v_lshlrev_b64 v[17:18], 2, v[17:18]
	s_delay_alu instid0(VALU_DEP_1) | instskip(NEXT) | instid1(VALU_DEP_2)
	v_add_co_u32 v19, vcc_lo, s28, v17
	v_add_co_ci_u32_e32 v20, vcc_lo, s29, v18, vcc_lo
	global_load_b32 v11, v[19:20], off
	s_waitcnt vmcnt(0)
	v_subrev_nc_u32_e32 v11, s41, v11
	s_delay_alu instid0(VALU_DEP_1)
	v_cmpx_ne_u32_e64 v11, v1
	s_cbranch_execz .LBB1_27
; %bb.29:                               ;   in Loop: Header=BB1_28 Depth=3
	v_add_nc_u32_e32 v16, 1, v16
	s_and_not1_b32 s51, s51, exec_lo
	s_and_not1_b32 s50, s50, exec_lo
	s_delay_alu instid0(VALU_DEP_1) | instskip(SKIP_1) | instid1(SALU_CYCLE_1)
	v_cmp_ge_i32_e32 vcc_lo, v16, v26
	s_and_b32 s53, vcc_lo, exec_lo
	s_or_b32 s51, s51, s53
	s_branch .LBB1_27
.LBB1_30:                               ;   in Loop: Header=BB1_6 Depth=2
	s_set_inst_prefetch_distance 0x2
	s_or_b32 exec_lo, exec_lo, s49
	s_mov_b32 s49, s45
                                        ; implicit-def: $vgpr20_vgpr21
	s_and_saveexec_b32 s50, s48
	s_delay_alu instid0(SALU_CYCLE_1)
	s_xor_b32 s48, exec_lo, s50
; %bb.31:                               ;   in Loop: Header=BB1_6 Depth=2
	v_add_co_u32 v20, vcc_lo, s38, v17
	v_add_co_ci_u32_e32 v21, vcc_lo, s39, v18, vcc_lo
	s_or_b32 s49, s45, exec_lo
; %bb.32:                               ;   in Loop: Header=BB1_6 Depth=2
	s_or_b32 exec_lo, exec_lo, s48
	s_delay_alu instid0(SALU_CYCLE_1) | instskip(SKIP_1) | instid1(SALU_CYCLE_1)
	s_and_not1_b32 s48, s45, exec_lo
	s_and_b32 s49, s49, exec_lo
	s_or_b32 s48, s48, s49
.LBB1_33:                               ;   in Loop: Header=BB1_6 Depth=2
	s_or_b32 exec_lo, exec_lo, s47
	s_delay_alu instid0(SALU_CYCLE_1) | instskip(SKIP_1) | instid1(SALU_CYCLE_1)
	s_and_not1_b32 s45, s45, exec_lo
	s_and_b32 s47, s48, exec_lo
	s_or_b32 s45, s45, s47
.LBB1_34:                               ;   in Loop: Header=BB1_6 Depth=2
	s_or_b32 exec_lo, exec_lo, s46
	s_delay_alu instid0(SALU_CYCLE_1)
	s_and_b32 s45, s45, exec_lo
                                        ; implicit-def: $vgpr14_vgpr15
	s_and_not1_saveexec_b32 s5, s5
	s_cbranch_execz .LBB1_21
.LBB1_35:                               ;   in Loop: Header=BB1_6 Depth=2
	s_mov_b32 s47, s45
	s_mov_b32 s46, exec_lo
                                        ; implicit-def: $vgpr20_vgpr21
	v_cmpx_lt_i32_e64 v11, v31
	s_cbranch_execz .LBB1_43
; %bb.36:                               ;   in Loop: Header=BB1_6 Depth=2
	s_mov_b32 s48, 0
                                        ; implicit-def: $sgpr47
                                        ; implicit-def: $sgpr50
                                        ; implicit-def: $sgpr49
	s_set_inst_prefetch_distance 0x1
	s_branch .LBB1_38
	.p2align	6
.LBB1_37:                               ;   in Loop: Header=BB1_38 Depth=3
	s_or_b32 exec_lo, exec_lo, s51
	s_delay_alu instid0(SALU_CYCLE_1) | instskip(NEXT) | instid1(SALU_CYCLE_1)
	s_and_b32 s51, exec_lo, s50
	s_or_b32 s48, s51, s48
	s_and_not1_b32 s47, s47, exec_lo
	s_and_b32 s51, s49, exec_lo
	s_delay_alu instid0(SALU_CYCLE_1)
	s_or_b32 s47, s47, s51
	s_and_not1_b32 exec_lo, exec_lo, s48
	s_cbranch_execz .LBB1_40
.LBB1_38:                               ;   Parent Loop BB1_3 Depth=1
                                        ;     Parent Loop BB1_6 Depth=2
                                        ; =>    This Inner Loop Header: Depth=3
	v_add_nc_u32_e32 v15, v10, v11
	s_or_b32 s49, s49, exec_lo
	s_or_b32 s50, s50, exec_lo
	s_mov_b32 s51, exec_lo
	s_delay_alu instid0(VALU_DEP_1) | instskip(NEXT) | instid1(VALU_DEP_1)
	v_ashrrev_i32_e32 v16, 31, v15
	v_lshlrev_b64 v[15:16], 2, v[15:16]
	s_delay_alu instid0(VALU_DEP_1) | instskip(NEXT) | instid1(VALU_DEP_2)
	v_add_co_u32 v17, vcc_lo, s12, v15
	v_add_co_ci_u32_e32 v18, vcc_lo, s13, v16, vcc_lo
	global_load_b32 v17, v[17:18], off
	s_waitcnt vmcnt(0)
	v_subrev_nc_u32_e32 v17, s33, v17
	s_delay_alu instid0(VALU_DEP_1)
	v_cmpx_ne_u32_e64 v17, v14
	s_cbranch_execz .LBB1_37
; %bb.39:                               ;   in Loop: Header=BB1_38 Depth=3
	v_add_nc_u32_e32 v11, 1, v11
	s_and_not1_b32 s50, s50, exec_lo
	s_and_not1_b32 s49, s49, exec_lo
	s_delay_alu instid0(VALU_DEP_1) | instskip(SKIP_1) | instid1(SALU_CYCLE_1)
	v_cmp_ge_i32_e32 vcc_lo, v11, v31
	s_and_b32 s52, vcc_lo, exec_lo
	s_or_b32 s50, s50, s52
	s_branch .LBB1_37
.LBB1_40:                               ;   in Loop: Header=BB1_6 Depth=2
	s_set_inst_prefetch_distance 0x2
	s_or_b32 exec_lo, exec_lo, s48
	s_mov_b32 s48, s45
                                        ; implicit-def: $vgpr20_vgpr21
	s_and_saveexec_b32 s49, s47
	s_delay_alu instid0(SALU_CYCLE_1)
	s_xor_b32 s47, exec_lo, s49
; %bb.41:                               ;   in Loop: Header=BB1_6 Depth=2
	v_add_co_u32 v20, vcc_lo, s36, v15
	v_add_co_ci_u32_e32 v21, vcc_lo, s37, v16, vcc_lo
	s_or_b32 s48, s45, exec_lo
; %bb.42:                               ;   in Loop: Header=BB1_6 Depth=2
	s_or_b32 exec_lo, exec_lo, s47
	s_delay_alu instid0(SALU_CYCLE_1) | instskip(SKIP_1) | instid1(SALU_CYCLE_1)
	s_and_not1_b32 s47, s45, exec_lo
	s_and_b32 s48, s48, exec_lo
	s_or_b32 s47, s47, s48
.LBB1_43:                               ;   in Loop: Header=BB1_6 Depth=2
	s_or_b32 exec_lo, exec_lo, s46
	s_delay_alu instid0(SALU_CYCLE_1) | instskip(SKIP_1) | instid1(SALU_CYCLE_1)
	s_and_not1_b32 s45, s45, exec_lo
	s_and_b32 s46, s47, exec_lo
	s_or_b32 s45, s45, s46
	s_or_b32 exec_lo, exec_lo, s5
	s_delay_alu instid0(SALU_CYCLE_1)
	s_and_b32 exec_lo, exec_lo, s45
	s_cbranch_execz .LBB1_5
.LBB1_44:                               ;   in Loop: Header=BB1_6 Depth=2
	global_store_b32 v[20:21], v22, off
	s_branch .LBB1_5
.LBB1_45:                               ;   in Loop: Header=BB1_3 Depth=1
	s_or_b32 exec_lo, exec_lo, s6
	s_and_saveexec_b32 s43, s2
	s_cbranch_execz .LBB1_88
; %bb.46:                               ;   in Loop: Header=BB1_3 Depth=1
	global_load_b32 v11, v[4:5], off offset:2048
	global_load_b32 v14, v[6:7], off offset:2048
	s_waitcnt vmcnt(1)
	v_add_nc_u32_e32 v13, v28, v11
	s_waitcnt vmcnt(0)
	v_subrev_nc_u32_e32 v38, s40, v14
	s_delay_alu instid0(VALU_DEP_1)
	v_cmp_lt_i32_e32 vcc_lo, v13, v38
	s_and_b32 exec_lo, exec_lo, vcc_lo
	s_cbranch_execz .LBB1_88
; %bb.47:                               ;   in Loop: Header=BB1_3 Depth=1
	global_load_b32 v11, v[2:3], off offset:2048
	global_load_b32 v14, v[8:9], off offset:2048
	s_mov_b32 s44, 0
	s_waitcnt vmcnt(1)
	v_subrev_nc_u32_e32 v15, s33, v11
	s_waitcnt vmcnt(0)
	v_sub_nc_u32_e32 v39, v14, v11
	s_delay_alu instid0(VALU_DEP_2) | instskip(NEXT) | instid1(VALU_DEP_2)
	v_ashrrev_i32_e32 v16, 31, v15
	v_cmp_lt_i32_e64 s5, 0, v39
	s_delay_alu instid0(VALU_DEP_2) | instskip(NEXT) | instid1(VALU_DEP_1)
	v_lshlrev_b64 v[16:17], 2, v[15:16]
	v_add_co_u32 v40, vcc_lo, s12, v16
	s_delay_alu instid0(VALU_DEP_2)
	v_add_co_ci_u32_e32 v41, vcc_lo, s13, v17, vcc_lo
	v_add_co_u32 v42, vcc_lo, s14, v16
	v_add_co_ci_u32_e32 v43, vcc_lo, s15, v17, vcc_lo
	s_branch .LBB1_49
.LBB1_48:                               ;   in Loop: Header=BB1_49 Depth=2
	s_or_b32 exec_lo, exec_lo, s45
	v_add_nc_u32_e32 v13, 2, v13
	s_delay_alu instid0(VALU_DEP_1) | instskip(SKIP_1) | instid1(SALU_CYCLE_1)
	v_cmp_ge_i32_e32 vcc_lo, v13, v38
	s_or_b32 s44, vcc_lo, s44
	s_and_not1_b32 exec_lo, exec_lo, s44
	s_cbranch_execz .LBB1_88
.LBB1_49:                               ;   Parent Loop BB1_3 Depth=1
                                        ; =>  This Loop Header: Depth=2
                                        ;       Child Loop BB1_53 Depth 3
                                        ;       Child Loop BB1_71 Depth 3
	;; [unrolled: 1-line block ×3, first 2 shown]
	v_ashrrev_i32_e32 v14, 31, v13
	s_delay_alu instid0(VALU_DEP_1) | instskip(SKIP_1) | instid1(VALU_DEP_2)
	v_lshlrev_b64 v[22:23], 2, v[13:14]
	v_mov_b32_e32 v14, 0
	v_add_co_u32 v16, vcc_lo, s20, v22
	s_delay_alu instid0(VALU_DEP_3) | instskip(SKIP_3) | instid1(VALU_DEP_1)
	v_add_co_ci_u32_e32 v17, vcc_lo, s21, v23, vcc_lo
	global_load_b32 v11, v[16:17], off
	s_waitcnt vmcnt(0)
	v_subrev_nc_u32_e32 v16, s40, v11
	v_ashrrev_i32_e32 v17, 31, v16
	s_delay_alu instid0(VALU_DEP_1) | instskip(NEXT) | instid1(VALU_DEP_1)
	v_lshlrev_b64 v[20:21], 2, v[16:17]
	v_add_co_u32 v17, vcc_lo, s24, v20
	s_delay_alu instid0(VALU_DEP_2)
	v_add_co_ci_u32_e32 v18, vcc_lo, s25, v21, vcc_lo
	v_add_co_u32 v24, vcc_lo, s26, v20
	v_add_co_ci_u32_e32 v25, vcc_lo, s27, v21, vcc_lo
	global_load_b32 v11, v[17:18], off
	global_load_b32 v19, v[24:25], off
	v_mov_b32_e32 v18, 0
	s_waitcnt vmcnt(1)
	v_subrev_nc_u32_e32 v17, s41, v11
	s_waitcnt vmcnt(0)
	v_sub_nc_u32_e32 v44, v19, v11
	v_mov_b32_e32 v11, 0
	s_and_saveexec_b32 s45, s5
	s_cbranch_execz .LBB1_57
; %bb.50:                               ;   in Loop: Header=BB1_49 Depth=2
	v_ashrrev_i32_e32 v18, 31, v17
	v_dual_mov_b32 v11, 0 :: v_dual_mov_b32 v14, 0
	s_mov_b32 s46, 0
                                        ; implicit-def: $sgpr47
	s_delay_alu instid0(VALU_DEP_2) | instskip(NEXT) | instid1(VALU_DEP_1)
	v_lshlrev_b64 v[18:19], 2, v[17:18]
	v_add_co_u32 v45, vcc_lo, s28, v18
	s_delay_alu instid0(VALU_DEP_2)
	v_add_co_ci_u32_e32 v46, vcc_lo, s29, v19, vcc_lo
	v_add_co_u32 v47, vcc_lo, s30, v18
	v_add_co_ci_u32_e32 v48, vcc_lo, s31, v19, vcc_lo
	v_mov_b32_e32 v18, v11
	s_branch .LBB1_53
.LBB1_51:                               ;   in Loop: Header=BB1_53 Depth=3
	s_or_b32 exec_lo, exec_lo, s6
	v_cmp_le_i32_e32 vcc_lo, v19, v49
	v_cmp_ge_i32_e64 s6, v19, v49
	v_add_co_ci_u32_e32 v11, vcc_lo, 0, v11, vcc_lo
	s_delay_alu instid0(VALU_DEP_2) | instskip(SKIP_1) | instid1(VALU_DEP_2)
	v_add_co_ci_u32_e64 v18, s6, 0, v18, s6
	s_and_not1_b32 s6, s47, exec_lo
	v_cmp_ge_i32_e32 vcc_lo, v11, v39
	s_and_b32 s47, vcc_lo, exec_lo
	s_delay_alu instid0(SALU_CYCLE_1)
	s_or_b32 s47, s6, s47
.LBB1_52:                               ;   in Loop: Header=BB1_53 Depth=3
	s_or_b32 exec_lo, exec_lo, s48
	s_delay_alu instid0(SALU_CYCLE_1) | instskip(NEXT) | instid1(SALU_CYCLE_1)
	s_and_b32 s6, exec_lo, s47
	s_or_b32 s46, s6, s46
	s_delay_alu instid0(SALU_CYCLE_1)
	s_and_not1_b32 exec_lo, exec_lo, s46
	s_cbranch_execz .LBB1_56
.LBB1_53:                               ;   Parent Loop BB1_3 Depth=1
                                        ;     Parent Loop BB1_49 Depth=2
                                        ; =>    This Inner Loop Header: Depth=3
	s_or_b32 s47, s47, exec_lo
	s_mov_b32 s48, exec_lo
	s_delay_alu instid0(VALU_DEP_1)
	v_cmpx_lt_i32_e64 v18, v44
	s_cbranch_execz .LBB1_52
; %bb.54:                               ;   in Loop: Header=BB1_53 Depth=3
	v_mov_b32_e32 v19, v12
	v_lshlrev_b64 v[26:27], 2, v[11:12]
	s_mov_b32 s6, exec_lo
	s_delay_alu instid0(VALU_DEP_2) | instskip(NEXT) | instid1(VALU_DEP_2)
	v_lshlrev_b64 v[24:25], 2, v[18:19]
	v_add_co_u32 v49, vcc_lo, v40, v26
	s_delay_alu instid0(VALU_DEP_3) | instskip(NEXT) | instid1(VALU_DEP_3)
	v_add_co_ci_u32_e32 v50, vcc_lo, v41, v27, vcc_lo
	v_add_co_u32 v51, vcc_lo, v45, v24
	s_delay_alu instid0(VALU_DEP_4)
	v_add_co_ci_u32_e32 v52, vcc_lo, v46, v25, vcc_lo
	global_load_b32 v19, v[49:50], off
	global_load_b32 v49, v[51:52], off
	s_waitcnt vmcnt(1)
	v_subrev_nc_u32_e32 v19, s33, v19
	s_waitcnt vmcnt(0)
	v_subrev_nc_u32_e32 v49, s41, v49
	s_delay_alu instid0(VALU_DEP_1)
	v_cmpx_eq_u32_e64 v19, v49
	s_cbranch_execz .LBB1_51
; %bb.55:                               ;   in Loop: Header=BB1_53 Depth=3
	v_add_co_u32 v26, vcc_lo, v42, v26
	v_add_co_ci_u32_e32 v27, vcc_lo, v43, v27, vcc_lo
	v_add_co_u32 v24, vcc_lo, v47, v24
	v_add_co_ci_u32_e32 v25, vcc_lo, v48, v25, vcc_lo
	global_load_b32 v26, v[26:27], off
	global_load_b32 v24, v[24:25], off
	s_waitcnt vmcnt(0)
	v_fmac_f32_e32 v14, v26, v24
	s_branch .LBB1_51
.LBB1_56:                               ;   in Loop: Header=BB1_49 Depth=2
	s_or_b32 exec_lo, exec_lo, s46
.LBB1_57:                               ;   in Loop: Header=BB1_49 Depth=2
	s_delay_alu instid0(SALU_CYCLE_1)
	s_or_b32 exec_lo, exec_lo, s45
	v_add_co_u32 v22, vcc_lo, s22, v22
	v_add_co_ci_u32_e32 v23, vcc_lo, s23, v23, vcc_lo
	v_cmp_le_i32_e64 s6, v0, v16
	s_mov_b32 s45, exec_lo
	global_load_b32 v19, v[22:23], off
	s_waitcnt vmcnt(0)
	v_sub_f32_e32 v14, v19, v14
	v_cmpx_gt_i32_e64 v0, v16
	s_cbranch_execz .LBB1_61
; %bb.58:                               ;   in Loop: Header=BB1_49 Depth=2
	v_add_co_u32 v22, vcc_lo, s16, v20
	v_add_co_ci_u32_e32 v23, vcc_lo, s17, v21, vcc_lo
	s_mov_b32 s46, exec_lo
	global_load_b32 v19, v[22:23], off
	v_mov_b32_e32 v22, 0
	s_waitcnt vmcnt(0)
	v_cmpx_lg_f32_e32 0, v19
; %bb.59:                               ;   in Loop: Header=BB1_49 Depth=2
	v_div_scale_f32 v22, null, v19, v19, v14
	s_delay_alu instid0(VALU_DEP_1) | instskip(SKIP_2) | instid1(VALU_DEP_1)
	v_rcp_f32_e32 v23, v22
	s_waitcnt_depctr 0xfff
	v_fma_f32 v24, -v22, v23, 1.0
	v_fmac_f32_e32 v23, v24, v23
	v_div_scale_f32 v24, vcc_lo, v14, v19, v14
	s_delay_alu instid0(VALU_DEP_1) | instskip(NEXT) | instid1(VALU_DEP_1)
	v_mul_f32_e32 v25, v24, v23
	v_fma_f32 v26, -v22, v25, v24
	s_delay_alu instid0(VALU_DEP_1) | instskip(NEXT) | instid1(VALU_DEP_1)
	v_fmac_f32_e32 v25, v26, v23
	v_fma_f32 v22, -v22, v25, v24
	s_delay_alu instid0(VALU_DEP_1) | instskip(NEXT) | instid1(VALU_DEP_1)
	v_div_fmas_f32 v22, v22, v23, v25
	v_div_fixup_f32 v22, v22, v19, v14
; %bb.60:                               ;   in Loop: Header=BB1_49 Depth=2
	s_or_b32 exec_lo, exec_lo, s46
	s_delay_alu instid0(VALU_DEP_1)
	v_mov_b32_e32 v14, v22
.LBB1_61:                               ;   in Loop: Header=BB1_49 Depth=2
	s_or_b32 exec_lo, exec_lo, s45
	s_delay_alu instid0(VALU_DEP_1) | instskip(NEXT) | instid1(VALU_DEP_1)
	v_cmp_class_f32_e64 s46, v14, 0x1f8
	s_and_saveexec_b32 s45, s46
	s_cbranch_execz .LBB1_48
; %bb.62:                               ;   in Loop: Header=BB1_49 Depth=2
	s_mov_b32 s46, 0
                                        ; implicit-def: $vgpr22_vgpr23
	s_and_saveexec_b32 s47, s6
	s_delay_alu instid0(SALU_CYCLE_1)
	s_xor_b32 s6, exec_lo, s47
	s_cbranch_execnz .LBB1_65
; %bb.63:                               ;   in Loop: Header=BB1_49 Depth=2
	s_and_not1_saveexec_b32 s6, s6
	s_cbranch_execnz .LBB1_78
.LBB1_64:                               ;   in Loop: Header=BB1_49 Depth=2
	s_or_b32 exec_lo, exec_lo, s6
	s_delay_alu instid0(SALU_CYCLE_1)
	s_and_b32 exec_lo, exec_lo, s46
	s_cbranch_execz .LBB1_48
	s_branch .LBB1_87
.LBB1_65:                               ;   in Loop: Header=BB1_49 Depth=2
	s_mov_b32 s47, exec_lo
                                        ; implicit-def: $vgpr22_vgpr23
	v_cmpx_ge_i32_e64 v0, v16
	s_xor_b32 s47, exec_lo, s47
; %bb.66:                               ;   in Loop: Header=BB1_49 Depth=2
	v_add_co_u32 v22, vcc_lo, s18, v20
	v_add_co_ci_u32_e32 v23, vcc_lo, s19, v21, vcc_lo
	s_mov_b32 s46, exec_lo
                                        ; implicit-def: $vgpr18
                                        ; implicit-def: $vgpr44
                                        ; implicit-def: $vgpr17
; %bb.67:                               ;   in Loop: Header=BB1_49 Depth=2
	s_and_not1_saveexec_b32 s47, s47
	s_cbranch_execz .LBB1_77
; %bb.68:                               ;   in Loop: Header=BB1_49 Depth=2
	s_mov_b32 s49, s46
	s_mov_b32 s48, exec_lo
                                        ; implicit-def: $vgpr22_vgpr23
	v_cmpx_lt_i32_e64 v18, v44
	s_cbranch_execz .LBB1_76
; %bb.69:                               ;   in Loop: Header=BB1_49 Depth=2
	s_mov_b32 s50, 0
                                        ; implicit-def: $sgpr49
                                        ; implicit-def: $sgpr52
                                        ; implicit-def: $sgpr51
	s_set_inst_prefetch_distance 0x1
	s_branch .LBB1_71
	.p2align	6
.LBB1_70:                               ;   in Loop: Header=BB1_71 Depth=3
	s_or_b32 exec_lo, exec_lo, s53
	s_delay_alu instid0(SALU_CYCLE_1) | instskip(NEXT) | instid1(SALU_CYCLE_1)
	s_and_b32 s53, exec_lo, s52
	s_or_b32 s50, s53, s50
	s_and_not1_b32 s49, s49, exec_lo
	s_and_b32 s53, s51, exec_lo
	s_delay_alu instid0(SALU_CYCLE_1)
	s_or_b32 s49, s49, s53
	s_and_not1_b32 exec_lo, exec_lo, s50
	s_cbranch_execz .LBB1_73
.LBB1_71:                               ;   Parent Loop BB1_3 Depth=1
                                        ;     Parent Loop BB1_49 Depth=2
                                        ; =>    This Inner Loop Header: Depth=3
	v_add_nc_u32_e32 v19, v17, v18
	s_or_b32 s51, s51, exec_lo
	s_or_b32 s52, s52, exec_lo
	s_mov_b32 s53, exec_lo
	s_delay_alu instid0(VALU_DEP_1) | instskip(NEXT) | instid1(VALU_DEP_1)
	v_ashrrev_i32_e32 v20, 31, v19
	v_lshlrev_b64 v[19:20], 2, v[19:20]
	s_delay_alu instid0(VALU_DEP_1) | instskip(NEXT) | instid1(VALU_DEP_2)
	v_add_co_u32 v21, vcc_lo, s28, v19
	v_add_co_ci_u32_e32 v22, vcc_lo, s29, v20, vcc_lo
	global_load_b32 v11, v[21:22], off
	s_waitcnt vmcnt(0)
	v_subrev_nc_u32_e32 v11, s41, v11
	s_delay_alu instid0(VALU_DEP_1)
	v_cmpx_ne_u32_e64 v11, v0
	s_cbranch_execz .LBB1_70
; %bb.72:                               ;   in Loop: Header=BB1_71 Depth=3
	v_add_nc_u32_e32 v18, 1, v18
	s_and_not1_b32 s52, s52, exec_lo
	s_and_not1_b32 s51, s51, exec_lo
	s_delay_alu instid0(VALU_DEP_1) | instskip(SKIP_1) | instid1(SALU_CYCLE_1)
	v_cmp_ge_i32_e32 vcc_lo, v18, v44
	s_and_b32 s54, vcc_lo, exec_lo
	s_or_b32 s52, s52, s54
	s_branch .LBB1_70
.LBB1_73:                               ;   in Loop: Header=BB1_49 Depth=2
	s_set_inst_prefetch_distance 0x2
	s_or_b32 exec_lo, exec_lo, s50
	s_mov_b32 s50, s46
                                        ; implicit-def: $vgpr22_vgpr23
	s_and_saveexec_b32 s51, s49
	s_delay_alu instid0(SALU_CYCLE_1)
	s_xor_b32 s49, exec_lo, s51
; %bb.74:                               ;   in Loop: Header=BB1_49 Depth=2
	v_add_co_u32 v22, vcc_lo, s38, v19
	v_add_co_ci_u32_e32 v23, vcc_lo, s39, v20, vcc_lo
	s_or_b32 s50, s46, exec_lo
; %bb.75:                               ;   in Loop: Header=BB1_49 Depth=2
	s_or_b32 exec_lo, exec_lo, s49
	s_delay_alu instid0(SALU_CYCLE_1) | instskip(SKIP_1) | instid1(SALU_CYCLE_1)
	s_and_not1_b32 s49, s46, exec_lo
	s_and_b32 s50, s50, exec_lo
	s_or_b32 s49, s49, s50
.LBB1_76:                               ;   in Loop: Header=BB1_49 Depth=2
	s_or_b32 exec_lo, exec_lo, s48
	s_delay_alu instid0(SALU_CYCLE_1) | instskip(SKIP_1) | instid1(SALU_CYCLE_1)
	s_and_not1_b32 s46, s46, exec_lo
	s_and_b32 s48, s49, exec_lo
	s_or_b32 s46, s46, s48
.LBB1_77:                               ;   in Loop: Header=BB1_49 Depth=2
	s_or_b32 exec_lo, exec_lo, s47
	s_delay_alu instid0(SALU_CYCLE_1)
	s_and_b32 s46, s46, exec_lo
                                        ; implicit-def: $vgpr16_vgpr17
	s_and_not1_saveexec_b32 s6, s6
	s_cbranch_execz .LBB1_64
.LBB1_78:                               ;   in Loop: Header=BB1_49 Depth=2
	s_mov_b32 s48, s46
	s_mov_b32 s47, exec_lo
                                        ; implicit-def: $vgpr22_vgpr23
	v_cmpx_lt_i32_e64 v11, v39
	s_cbranch_execz .LBB1_86
; %bb.79:                               ;   in Loop: Header=BB1_49 Depth=2
	s_mov_b32 s49, 0
                                        ; implicit-def: $sgpr48
                                        ; implicit-def: $sgpr51
                                        ; implicit-def: $sgpr50
	s_set_inst_prefetch_distance 0x1
	s_branch .LBB1_81
	.p2align	6
.LBB1_80:                               ;   in Loop: Header=BB1_81 Depth=3
	s_or_b32 exec_lo, exec_lo, s52
	s_delay_alu instid0(SALU_CYCLE_1) | instskip(NEXT) | instid1(SALU_CYCLE_1)
	s_and_b32 s52, exec_lo, s51
	s_or_b32 s49, s52, s49
	s_and_not1_b32 s48, s48, exec_lo
	s_and_b32 s52, s50, exec_lo
	s_delay_alu instid0(SALU_CYCLE_1)
	s_or_b32 s48, s48, s52
	s_and_not1_b32 exec_lo, exec_lo, s49
	s_cbranch_execz .LBB1_83
.LBB1_81:                               ;   Parent Loop BB1_3 Depth=1
                                        ;     Parent Loop BB1_49 Depth=2
                                        ; =>    This Inner Loop Header: Depth=3
	v_add_nc_u32_e32 v17, v15, v11
	s_or_b32 s50, s50, exec_lo
	s_or_b32 s51, s51, exec_lo
	s_mov_b32 s52, exec_lo
	s_delay_alu instid0(VALU_DEP_1) | instskip(NEXT) | instid1(VALU_DEP_1)
	v_ashrrev_i32_e32 v18, 31, v17
	v_lshlrev_b64 v[17:18], 2, v[17:18]
	s_delay_alu instid0(VALU_DEP_1) | instskip(NEXT) | instid1(VALU_DEP_2)
	v_add_co_u32 v19, vcc_lo, s12, v17
	v_add_co_ci_u32_e32 v20, vcc_lo, s13, v18, vcc_lo
	global_load_b32 v19, v[19:20], off
	s_waitcnt vmcnt(0)
	v_subrev_nc_u32_e32 v19, s33, v19
	s_delay_alu instid0(VALU_DEP_1)
	v_cmpx_ne_u32_e64 v19, v16
	s_cbranch_execz .LBB1_80
; %bb.82:                               ;   in Loop: Header=BB1_81 Depth=3
	v_add_nc_u32_e32 v11, 1, v11
	s_and_not1_b32 s51, s51, exec_lo
	s_and_not1_b32 s50, s50, exec_lo
	s_delay_alu instid0(VALU_DEP_1) | instskip(SKIP_1) | instid1(SALU_CYCLE_1)
	v_cmp_ge_i32_e32 vcc_lo, v11, v39
	s_and_b32 s53, vcc_lo, exec_lo
	s_or_b32 s51, s51, s53
	s_branch .LBB1_80
.LBB1_83:                               ;   in Loop: Header=BB1_49 Depth=2
	s_set_inst_prefetch_distance 0x2
	s_or_b32 exec_lo, exec_lo, s49
	s_mov_b32 s49, s46
                                        ; implicit-def: $vgpr22_vgpr23
	s_and_saveexec_b32 s50, s48
	s_delay_alu instid0(SALU_CYCLE_1)
	s_xor_b32 s48, exec_lo, s50
; %bb.84:                               ;   in Loop: Header=BB1_49 Depth=2
	v_add_co_u32 v22, vcc_lo, s36, v17
	v_add_co_ci_u32_e32 v23, vcc_lo, s37, v18, vcc_lo
	s_or_b32 s49, s46, exec_lo
; %bb.85:                               ;   in Loop: Header=BB1_49 Depth=2
	s_or_b32 exec_lo, exec_lo, s48
	s_delay_alu instid0(SALU_CYCLE_1) | instskip(SKIP_1) | instid1(SALU_CYCLE_1)
	s_and_not1_b32 s48, s46, exec_lo
	s_and_b32 s49, s49, exec_lo
	s_or_b32 s48, s48, s49
.LBB1_86:                               ;   in Loop: Header=BB1_49 Depth=2
	s_or_b32 exec_lo, exec_lo, s47
	s_delay_alu instid0(SALU_CYCLE_1) | instskip(SKIP_1) | instid1(SALU_CYCLE_1)
	s_and_not1_b32 s46, s46, exec_lo
	s_and_b32 s47, s48, exec_lo
	s_or_b32 s46, s46, s47
	s_or_b32 exec_lo, exec_lo, s6
	s_delay_alu instid0(SALU_CYCLE_1)
	s_and_b32 exec_lo, exec_lo, s46
	s_cbranch_execz .LBB1_48
.LBB1_87:                               ;   in Loop: Header=BB1_49 Depth=2
	global_store_b32 v[22:23], v14, off
	s_branch .LBB1_48
.LBB1_88:                               ;   in Loop: Header=BB1_3 Depth=1
	s_or_b32 exec_lo, exec_lo, s43
	s_and_saveexec_b32 s6, s0
	s_cbranch_execz .LBB1_2
; %bb.89:                               ;   in Loop: Header=BB1_3 Depth=1
	v_mov_b32_e32 v13, v1
	s_mov_b32 s43, 0
	s_branch .LBB1_91
.LBB1_90:                               ;   in Loop: Header=BB1_91 Depth=2
	s_or_b32 exec_lo, exec_lo, s44
	v_add_nc_u32_e32 v13, 0x200, v13
	s_delay_alu instid0(VALU_DEP_1) | instskip(SKIP_1) | instid1(SALU_CYCLE_1)
	v_cmp_le_u32_e32 vcc_lo, s42, v13
	s_or_b32 s43, vcc_lo, s43
	s_and_not1_b32 exec_lo, exec_lo, s43
	s_cbranch_execz .LBB1_2
.LBB1_91:                               ;   Parent Loop BB1_3 Depth=1
                                        ; =>  This Loop Header: Depth=2
                                        ;       Child Loop BB1_94 Depth 3
                                        ;       Child Loop BB1_97 Depth 3
	s_mov_b32 s44, exec_lo
	s_delay_alu instid0(VALU_DEP_1)
	v_cmpx_gt_i32_e64 s35, v13
	s_cbranch_execz .LBB1_90
; %bb.92:                               ;   in Loop: Header=BB1_91 Depth=2
	v_ashrrev_i32_e32 v14, 31, v13
	s_mov_b32 s45, exec_lo
	s_delay_alu instid0(VALU_DEP_1) | instskip(NEXT) | instid1(VALU_DEP_1)
	v_lshlrev_b64 v[14:15], 2, v[13:14]
	v_add_co_u32 v16, vcc_lo, s8, v14
	s_delay_alu instid0(VALU_DEP_2)
	v_add_co_ci_u32_e32 v17, vcc_lo, s9, v15, vcc_lo
	v_add_co_u32 v18, vcc_lo, s10, v14
	v_add_co_ci_u32_e32 v19, vcc_lo, s11, v15, vcc_lo
	global_load_b32 v11, v[16:17], off
	global_load_b32 v17, v[18:19], off
	s_waitcnt vmcnt(1)
	v_add_nc_u32_e32 v16, v32, v11
	s_waitcnt vmcnt(0)
	v_subrev_nc_u32_e32 v11, s33, v17
	s_delay_alu instid0(VALU_DEP_1)
	v_cmpx_lt_i32_e64 v16, v11
	s_cbranch_execz .LBB1_95
; %bb.93:                               ;   in Loop: Header=BB1_91 Depth=2
	v_ashrrev_i32_e32 v17, 31, v16
	s_mov_b32 s46, 0
	s_delay_alu instid0(VALU_DEP_1) | instskip(NEXT) | instid1(VALU_DEP_1)
	v_lshlrev_b64 v[19:20], 2, v[16:17]
	v_add_co_u32 v17, vcc_lo, s36, v19
	s_delay_alu instid0(VALU_DEP_2)
	v_add_co_ci_u32_e32 v18, vcc_lo, s37, v20, vcc_lo
	v_add_co_u32 v19, vcc_lo, s14, v19
	v_add_co_ci_u32_e32 v20, vcc_lo, s15, v20, vcc_lo
.LBB1_94:                               ;   Parent Loop BB1_3 Depth=1
                                        ;     Parent Loop BB1_91 Depth=2
                                        ; =>    This Inner Loop Header: Depth=3
	global_load_b32 v21, v[17:18], off
	v_add_nc_u32_e32 v16, 2, v16
	v_add_co_u32 v17, vcc_lo, v17, 8
	v_add_co_ci_u32_e32 v18, vcc_lo, 0, v18, vcc_lo
	s_delay_alu instid0(VALU_DEP_3) | instskip(SKIP_4) | instid1(VALU_DEP_1)
	v_cmp_ge_i32_e32 vcc_lo, v16, v11
	s_or_b32 s46, vcc_lo, s46
	s_waitcnt vmcnt(0)
	global_store_b32 v[19:20], v21, off
	v_add_co_u32 v19, s5, v19, 8
	v_add_co_ci_u32_e64 v20, s5, 0, v20, s5
	s_and_not1_b32 exec_lo, exec_lo, s46
	s_cbranch_execnz .LBB1_94
.LBB1_95:                               ;   in Loop: Header=BB1_91 Depth=2
	s_or_b32 exec_lo, exec_lo, s45
	v_add_co_u32 v16, vcc_lo, s24, v14
	v_add_co_ci_u32_e32 v17, vcc_lo, s25, v15, vcc_lo
	v_add_co_u32 v18, vcc_lo, s26, v14
	v_add_co_ci_u32_e32 v19, vcc_lo, s27, v15, vcc_lo
	s_mov_b32 s45, exec_lo
	global_load_b32 v11, v[16:17], off
	global_load_b32 v17, v[18:19], off
	s_waitcnt vmcnt(1)
	v_add_nc_u32_e32 v16, v33, v11
	s_waitcnt vmcnt(0)
	v_subrev_nc_u32_e32 v11, s41, v17
	s_delay_alu instid0(VALU_DEP_1)
	v_cmpx_lt_i32_e64 v16, v11
	s_cbranch_execz .LBB1_98
; %bb.96:                               ;   in Loop: Header=BB1_91 Depth=2
	v_ashrrev_i32_e32 v17, 31, v16
	s_mov_b32 s46, 0
	s_delay_alu instid0(VALU_DEP_1) | instskip(NEXT) | instid1(VALU_DEP_1)
	v_lshlrev_b64 v[19:20], 2, v[16:17]
	v_add_co_u32 v17, vcc_lo, s38, v19
	s_delay_alu instid0(VALU_DEP_2)
	v_add_co_ci_u32_e32 v18, vcc_lo, s39, v20, vcc_lo
	v_add_co_u32 v19, vcc_lo, s30, v19
	v_add_co_ci_u32_e32 v20, vcc_lo, s31, v20, vcc_lo
.LBB1_97:                               ;   Parent Loop BB1_3 Depth=1
                                        ;     Parent Loop BB1_91 Depth=2
                                        ; =>    This Inner Loop Header: Depth=3
	global_load_b32 v21, v[17:18], off
	v_add_nc_u32_e32 v16, 2, v16
	v_add_co_u32 v17, vcc_lo, v17, 8
	v_add_co_ci_u32_e32 v18, vcc_lo, 0, v18, vcc_lo
	s_delay_alu instid0(VALU_DEP_3) | instskip(SKIP_4) | instid1(VALU_DEP_1)
	v_cmp_ge_i32_e32 vcc_lo, v16, v11
	s_or_b32 s46, vcc_lo, s46
	s_waitcnt vmcnt(0)
	global_store_b32 v[19:20], v21, off
	v_add_co_u32 v19, s5, v19, 8
	v_add_co_ci_u32_e64 v20, s5, 0, v20, s5
	s_and_not1_b32 exec_lo, exec_lo, s46
	s_cbranch_execnz .LBB1_97
.LBB1_98:                               ;   in Loop: Header=BB1_91 Depth=2
	s_or_b32 exec_lo, exec_lo, s45
	s_delay_alu instid0(SALU_CYCLE_1)
	s_and_b32 exec_lo, exec_lo, s1
	s_cbranch_execz .LBB1_90
; %bb.99:                               ;   in Loop: Header=BB1_91 Depth=2
	v_add_co_u32 v16, vcc_lo, s18, v14
	v_add_co_ci_u32_e32 v17, vcc_lo, s19, v15, vcc_lo
	v_add_co_u32 v14, vcc_lo, s16, v14
	v_add_co_ci_u32_e32 v15, vcc_lo, s17, v15, vcc_lo
	global_load_b32 v11, v[16:17], off
	s_waitcnt vmcnt(0)
	global_store_b32 v[14:15], v11, off
	s_branch .LBB1_90
.LBB1_100:
	s_nop 0
	s_sendmsg sendmsg(MSG_DEALLOC_VGPRS)
	s_endpgm
	.section	.rodata,"a",@progbits
	.p2align	6, 0x0
	.amdhsa_kernel _ZN9rocsparseL14kernel_freerunILi1024ELi2EfiiEEvT3_S1_T2_PKS2_S4_PKS1_PKT1_21rocsparse_index_base_S4_S4_S6_PS7_SB_SA_S4_S4_S6_SB_SB_SA_SB_SB_
		.amdhsa_group_segment_fixed_size 0
		.amdhsa_private_segment_fixed_size 0
		.amdhsa_kernarg_size 168
		.amdhsa_user_sgpr_count 15
		.amdhsa_user_sgpr_dispatch_ptr 0
		.amdhsa_user_sgpr_queue_ptr 0
		.amdhsa_user_sgpr_kernarg_segment_ptr 1
		.amdhsa_user_sgpr_dispatch_id 0
		.amdhsa_user_sgpr_private_segment_size 0
		.amdhsa_wavefront_size32 1
		.amdhsa_uses_dynamic_stack 0
		.amdhsa_enable_private_segment 0
		.amdhsa_system_sgpr_workgroup_id_x 1
		.amdhsa_system_sgpr_workgroup_id_y 0
		.amdhsa_system_sgpr_workgroup_id_z 0
		.amdhsa_system_sgpr_workgroup_info 0
		.amdhsa_system_vgpr_workitem_id 0
		.amdhsa_next_free_vgpr 53
		.amdhsa_next_free_sgpr 55
		.amdhsa_reserve_vcc 1
		.amdhsa_float_round_mode_32 0
		.amdhsa_float_round_mode_16_64 0
		.amdhsa_float_denorm_mode_32 3
		.amdhsa_float_denorm_mode_16_64 3
		.amdhsa_dx10_clamp 1
		.amdhsa_ieee_mode 1
		.amdhsa_fp16_overflow 0
		.amdhsa_workgroup_processor_mode 1
		.amdhsa_memory_ordered 1
		.amdhsa_forward_progress 0
		.amdhsa_shared_vgpr_count 0
		.amdhsa_exception_fp_ieee_invalid_op 0
		.amdhsa_exception_fp_denorm_src 0
		.amdhsa_exception_fp_ieee_div_zero 0
		.amdhsa_exception_fp_ieee_overflow 0
		.amdhsa_exception_fp_ieee_underflow 0
		.amdhsa_exception_fp_ieee_inexact 0
		.amdhsa_exception_int_div_zero 0
	.end_amdhsa_kernel
	.section	.text._ZN9rocsparseL14kernel_freerunILi1024ELi2EfiiEEvT3_S1_T2_PKS2_S4_PKS1_PKT1_21rocsparse_index_base_S4_S4_S6_PS7_SB_SA_S4_S4_S6_SB_SB_SA_SB_SB_,"axG",@progbits,_ZN9rocsparseL14kernel_freerunILi1024ELi2EfiiEEvT3_S1_T2_PKS2_S4_PKS1_PKT1_21rocsparse_index_base_S4_S4_S6_PS7_SB_SA_S4_S4_S6_SB_SB_SA_SB_SB_,comdat
.Lfunc_end1:
	.size	_ZN9rocsparseL14kernel_freerunILi1024ELi2EfiiEEvT3_S1_T2_PKS2_S4_PKS1_PKT1_21rocsparse_index_base_S4_S4_S6_PS7_SB_SA_S4_S4_S6_SB_SB_SA_SB_SB_, .Lfunc_end1-_ZN9rocsparseL14kernel_freerunILi1024ELi2EfiiEEvT3_S1_T2_PKS2_S4_PKS1_PKT1_21rocsparse_index_base_S4_S4_S6_PS7_SB_SA_S4_S4_S6_SB_SB_SA_SB_SB_
                                        ; -- End function
	.section	.AMDGPU.csdata,"",@progbits
; Kernel info:
; codeLenInByte = 3960
; NumSgprs: 57
; NumVgprs: 53
; ScratchSize: 0
; MemoryBound: 0
; FloatMode: 240
; IeeeMode: 1
; LDSByteSize: 0 bytes/workgroup (compile time only)
; SGPRBlocks: 7
; VGPRBlocks: 6
; NumSGPRsForWavesPerEU: 57
; NumVGPRsForWavesPerEU: 53
; Occupancy: 16
; WaveLimiterHint : 1
; COMPUTE_PGM_RSRC2:SCRATCH_EN: 0
; COMPUTE_PGM_RSRC2:USER_SGPR: 15
; COMPUTE_PGM_RSRC2:TRAP_HANDLER: 0
; COMPUTE_PGM_RSRC2:TGID_X_EN: 1
; COMPUTE_PGM_RSRC2:TGID_Y_EN: 0
; COMPUTE_PGM_RSRC2:TGID_Z_EN: 0
; COMPUTE_PGM_RSRC2:TIDIG_COMP_CNT: 0
	.section	.text._ZN9rocsparseL14kernel_freerunILi1024ELi4EfiiEEvT3_S1_T2_PKS2_S4_PKS1_PKT1_21rocsparse_index_base_S4_S4_S6_PS7_SB_SA_S4_S4_S6_SB_SB_SA_SB_SB_,"axG",@progbits,_ZN9rocsparseL14kernel_freerunILi1024ELi4EfiiEEvT3_S1_T2_PKS2_S4_PKS1_PKT1_21rocsparse_index_base_S4_S4_S6_PS7_SB_SA_S4_S4_S6_SB_SB_SA_SB_SB_,comdat
	.globl	_ZN9rocsparseL14kernel_freerunILi1024ELi4EfiiEEvT3_S1_T2_PKS2_S4_PKS1_PKT1_21rocsparse_index_base_S4_S4_S6_PS7_SB_SA_S4_S4_S6_SB_SB_SA_SB_SB_ ; -- Begin function _ZN9rocsparseL14kernel_freerunILi1024ELi4EfiiEEvT3_S1_T2_PKS2_S4_PKS1_PKT1_21rocsparse_index_base_S4_S4_S6_PS7_SB_SA_S4_S4_S6_SB_SB_SA_SB_SB_
	.p2align	8
	.type	_ZN9rocsparseL14kernel_freerunILi1024ELi4EfiiEEvT3_S1_T2_PKS2_S4_PKS1_PKT1_21rocsparse_index_base_S4_S4_S6_PS7_SB_SA_S4_S4_S6_SB_SB_SA_SB_SB_,@function
_ZN9rocsparseL14kernel_freerunILi1024ELi4EfiiEEvT3_S1_T2_PKS2_S4_PKS1_PKT1_21rocsparse_index_base_S4_S4_S6_PS7_SB_SA_S4_S4_S6_SB_SB_SA_SB_SB_: ; @_ZN9rocsparseL14kernel_freerunILi1024ELi4EfiiEEvT3_S1_T2_PKS2_S4_PKS1_PKT1_21rocsparse_index_base_S4_S4_S6_PS7_SB_SA_S4_S4_S6_SB_SB_SA_SB_SB_
; %bb.0:
	s_load_b64 s[34:35], s[0:1], 0x0
	v_lshrrev_b32_e32 v1, 2, v0
	s_lshl_b32 s43, s15, 10
	s_mov_b32 s33, 0
	s_delay_alu instid0(VALU_DEP_1) | instskip(SKIP_1) | instid1(VALU_DEP_1)
	v_or_b32_e32 v18, s43, v1
	s_waitcnt lgkmcnt(0)
	v_cmp_gt_i32_e32 vcc_lo, s35, v18
	s_cmp_gt_i32 s34, 0
	s_cselect_b32 s2, -1, 0
	s_delay_alu instid0(SALU_CYCLE_1) | instskip(NEXT) | instid1(SALU_CYCLE_1)
	s_and_b32 s2, vcc_lo, s2
	s_and_saveexec_b32 s3, s2
	s_cbranch_execz .LBB2_60
; %bb.1:
	s_clause 0x8
	s_load_b32 s40, s[0:1], 0x30
	s_load_b32 s41, s[0:1], 0x60
	;; [unrolled: 1-line block ×3, first 2 shown]
	s_load_b64 s[36:37], s[0:1], 0x88
	s_load_b64 s[38:39], s[0:1], 0x58
	s_load_b128 s[28:31], s[0:1], 0x98
	s_load_b256 s[4:11], s[0:1], 0x68
	s_load_b256 s[12:19], s[0:1], 0x38
	;; [unrolled: 1-line block ×3, first 2 shown]
	v_dual_mov_b32 v1, 0 :: v_dual_and_b32 v0, 3, v0
	s_addk_i32 s43, 0x400
	s_delay_alu instid0(SALU_CYCLE_1) | instskip(NEXT) | instid1(VALU_DEP_2)
	v_cmp_gt_u32_e64 s0, s43, v18
	v_cmp_eq_u32_e64 s1, 0, v0
	s_waitcnt lgkmcnt(0)
	v_subrev_nc_u32_e32 v19, s40, v0
	v_subrev_nc_u32_e32 v20, s41, v0
	;; [unrolled: 1-line block ×3, first 2 shown]
	s_branch .LBB2_3
.LBB2_2:                                ;   in Loop: Header=BB2_3 Depth=1
	s_or_b32 exec_lo, exec_lo, s3
	s_add_i32 s33, s33, 1
	s_delay_alu instid0(SALU_CYCLE_1)
	s_cmp_eq_u32 s33, s34
	s_cbranch_scc1 .LBB2_60
.LBB2_3:                                ; =>This Loop Header: Depth=1
                                        ;     Child Loop BB2_5 Depth 2
                                        ;       Child Loop BB2_9 Depth 3
                                        ;         Child Loop BB2_13 Depth 4
                                        ;         Child Loop BB2_31 Depth 4
	;; [unrolled: 1-line block ×3, first 2 shown]
                                        ;     Child Loop BB2_51 Depth 2
                                        ;       Child Loop BB2_54 Depth 3
                                        ;       Child Loop BB2_57 Depth 3
	s_mov_b32 s44, 0
	s_branch .LBB2_5
.LBB2_4:                                ;   in Loop: Header=BB2_5 Depth=2
	s_or_b32 exec_lo, exec_lo, s45
	s_add_i32 s44, s44, 1
	s_delay_alu instid0(SALU_CYCLE_1)
	s_cmp_eq_u32 s44, 4
	s_cbranch_scc1 .LBB2_48
.LBB2_5:                                ;   Parent Loop BB2_3 Depth=1
                                        ; =>  This Loop Header: Depth=2
                                        ;       Child Loop BB2_9 Depth 3
                                        ;         Child Loop BB2_13 Depth 4
                                        ;         Child Loop BB2_31 Depth 4
	;; [unrolled: 1-line block ×3, first 2 shown]
	v_lshl_add_u32 v2, s44, 8, v18
	s_mov_b32 s45, exec_lo
	s_delay_alu instid0(VALU_DEP_1)
	v_cmpx_gt_i32_e64 s35, v2
	s_cbranch_execz .LBB2_4
; %bb.6:                                ;   in Loop: Header=BB2_5 Depth=2
	v_ashrrev_i32_e32 v3, 31, v2
	s_delay_alu instid0(VALU_DEP_1) | instskip(NEXT) | instid1(VALU_DEP_1)
	v_lshlrev_b64 v[4:5], 2, v[2:3]
	v_add_co_u32 v6, vcc_lo, s20, v4
	s_delay_alu instid0(VALU_DEP_2)
	v_add_co_ci_u32_e32 v7, vcc_lo, s21, v5, vcc_lo
	v_add_co_u32 v8, vcc_lo, s22, v4
	v_add_co_ci_u32_e32 v9, vcc_lo, s23, v5, vcc_lo
	global_load_b32 v0, v[6:7], off
	global_load_b32 v6, v[8:9], off
	s_waitcnt vmcnt(1)
	v_add_nc_u32_e32 v3, v19, v0
	s_waitcnt vmcnt(0)
	v_subrev_nc_u32_e32 v22, s40, v6
	s_delay_alu instid0(VALU_DEP_1)
	v_cmp_lt_i32_e32 vcc_lo, v3, v22
	s_and_b32 exec_lo, exec_lo, vcc_lo
	s_cbranch_execz .LBB2_4
; %bb.7:                                ;   in Loop: Header=BB2_5 Depth=2
	v_add_co_u32 v6, vcc_lo, s12, v4
	v_add_co_ci_u32_e32 v7, vcc_lo, s13, v5, vcc_lo
	v_add_co_u32 v4, vcc_lo, s14, v4
	v_add_co_ci_u32_e32 v5, vcc_lo, s15, v5, vcc_lo
	global_load_b32 v0, v[6:7], off
	s_mov_b32 s46, 0
	global_load_b32 v4, v[4:5], off
	s_waitcnt vmcnt(1)
	v_subrev_nc_u32_e32 v5, s41, v0
	s_waitcnt vmcnt(0)
	v_sub_nc_u32_e32 v23, v4, v0
	s_delay_alu instid0(VALU_DEP_2) | instskip(NEXT) | instid1(VALU_DEP_2)
	v_ashrrev_i32_e32 v6, 31, v5
	v_cmp_lt_i32_e64 s2, 0, v23
	s_delay_alu instid0(VALU_DEP_2) | instskip(NEXT) | instid1(VALU_DEP_1)
	v_lshlrev_b64 v[6:7], 2, v[5:6]
	v_add_co_u32 v24, vcc_lo, s16, v6
	s_delay_alu instid0(VALU_DEP_2)
	v_add_co_ci_u32_e32 v25, vcc_lo, s17, v7, vcc_lo
	v_add_co_u32 v26, vcc_lo, s18, v6
	v_add_co_ci_u32_e32 v27, vcc_lo, s19, v7, vcc_lo
	s_branch .LBB2_9
.LBB2_8:                                ;   in Loop: Header=BB2_9 Depth=3
	s_or_b32 exec_lo, exec_lo, s47
	v_add_nc_u32_e32 v3, 4, v3
	s_delay_alu instid0(VALU_DEP_1) | instskip(SKIP_1) | instid1(SALU_CYCLE_1)
	v_cmp_ge_i32_e32 vcc_lo, v3, v22
	s_or_b32 s46, vcc_lo, s46
	s_and_not1_b32 exec_lo, exec_lo, s46
	s_cbranch_execz .LBB2_4
.LBB2_9:                                ;   Parent Loop BB2_3 Depth=1
                                        ;     Parent Loop BB2_5 Depth=2
                                        ; =>    This Loop Header: Depth=3
                                        ;         Child Loop BB2_13 Depth 4
                                        ;         Child Loop BB2_31 Depth 4
	;; [unrolled: 1-line block ×3, first 2 shown]
	v_ashrrev_i32_e32 v4, 31, v3
	s_delay_alu instid0(VALU_DEP_1) | instskip(SKIP_1) | instid1(VALU_DEP_2)
	v_lshlrev_b64 v[12:13], 2, v[3:4]
	v_mov_b32_e32 v4, 0
	v_add_co_u32 v6, vcc_lo, s24, v12
	s_delay_alu instid0(VALU_DEP_3) | instskip(SKIP_3) | instid1(VALU_DEP_1)
	v_add_co_ci_u32_e32 v7, vcc_lo, s25, v13, vcc_lo
	global_load_b32 v0, v[6:7], off
	s_waitcnt vmcnt(0)
	v_subrev_nc_u32_e32 v6, s40, v0
	v_ashrrev_i32_e32 v7, 31, v6
	s_delay_alu instid0(VALU_DEP_1) | instskip(NEXT) | instid1(VALU_DEP_1)
	v_lshlrev_b64 v[10:11], 2, v[6:7]
	v_add_co_u32 v7, vcc_lo, s4, v10
	s_delay_alu instid0(VALU_DEP_2)
	v_add_co_ci_u32_e32 v8, vcc_lo, s5, v11, vcc_lo
	v_add_co_u32 v14, vcc_lo, s6, v10
	v_add_co_ci_u32_e32 v15, vcc_lo, s7, v11, vcc_lo
	global_load_b32 v0, v[7:8], off
	global_load_b32 v9, v[14:15], off
	v_mov_b32_e32 v8, 0
	s_waitcnt vmcnt(1)
	v_subrev_nc_u32_e32 v7, s42, v0
	s_waitcnt vmcnt(0)
	v_sub_nc_u32_e32 v28, v9, v0
	v_mov_b32_e32 v0, 0
	s_and_saveexec_b32 s47, s2
	s_cbranch_execz .LBB2_17
; %bb.10:                               ;   in Loop: Header=BB2_9 Depth=3
	v_ashrrev_i32_e32 v8, 31, v7
	v_mov_b32_e32 v0, 0
	v_mov_b32_e32 v4, 0
	s_mov_b32 s48, 0
                                        ; implicit-def: $sgpr49
	s_delay_alu instid0(VALU_DEP_3) | instskip(NEXT) | instid1(VALU_DEP_1)
	v_lshlrev_b64 v[8:9], 2, v[7:8]
	v_add_co_u32 v29, vcc_lo, s8, v8
	s_delay_alu instid0(VALU_DEP_2)
	v_add_co_ci_u32_e32 v30, vcc_lo, s9, v9, vcc_lo
	v_add_co_u32 v31, vcc_lo, s10, v8
	v_add_co_ci_u32_e32 v32, vcc_lo, s11, v9, vcc_lo
	v_mov_b32_e32 v8, v0
	s_branch .LBB2_13
.LBB2_11:                               ;   in Loop: Header=BB2_13 Depth=4
	s_or_b32 exec_lo, exec_lo, s3
	v_cmp_le_i32_e32 vcc_lo, v9, v33
	v_cmp_ge_i32_e64 s3, v9, v33
	v_add_co_ci_u32_e32 v0, vcc_lo, 0, v0, vcc_lo
	s_delay_alu instid0(VALU_DEP_2) | instskip(SKIP_1) | instid1(VALU_DEP_2)
	v_add_co_ci_u32_e64 v8, s3, 0, v8, s3
	s_and_not1_b32 s3, s49, exec_lo
	v_cmp_ge_i32_e32 vcc_lo, v0, v23
	s_and_b32 s49, vcc_lo, exec_lo
	s_delay_alu instid0(SALU_CYCLE_1)
	s_or_b32 s49, s3, s49
.LBB2_12:                               ;   in Loop: Header=BB2_13 Depth=4
	s_or_b32 exec_lo, exec_lo, s50
	s_delay_alu instid0(SALU_CYCLE_1) | instskip(NEXT) | instid1(SALU_CYCLE_1)
	s_and_b32 s3, exec_lo, s49
	s_or_b32 s48, s3, s48
	s_delay_alu instid0(SALU_CYCLE_1)
	s_and_not1_b32 exec_lo, exec_lo, s48
	s_cbranch_execz .LBB2_16
.LBB2_13:                               ;   Parent Loop BB2_3 Depth=1
                                        ;     Parent Loop BB2_5 Depth=2
                                        ;       Parent Loop BB2_9 Depth=3
                                        ; =>      This Inner Loop Header: Depth=4
	s_or_b32 s49, s49, exec_lo
	s_mov_b32 s50, exec_lo
	s_delay_alu instid0(VALU_DEP_1)
	v_cmpx_lt_i32_e64 v8, v28
	s_cbranch_execz .LBB2_12
; %bb.14:                               ;   in Loop: Header=BB2_13 Depth=4
	v_mov_b32_e32 v9, v1
	v_lshlrev_b64 v[16:17], 2, v[0:1]
	s_mov_b32 s3, exec_lo
	s_delay_alu instid0(VALU_DEP_2) | instskip(NEXT) | instid1(VALU_DEP_2)
	v_lshlrev_b64 v[14:15], 2, v[8:9]
	v_add_co_u32 v33, vcc_lo, v24, v16
	s_delay_alu instid0(VALU_DEP_3) | instskip(NEXT) | instid1(VALU_DEP_3)
	v_add_co_ci_u32_e32 v34, vcc_lo, v25, v17, vcc_lo
	v_add_co_u32 v35, vcc_lo, v29, v14
	s_delay_alu instid0(VALU_DEP_4)
	v_add_co_ci_u32_e32 v36, vcc_lo, v30, v15, vcc_lo
	global_load_b32 v9, v[33:34], off
	global_load_b32 v33, v[35:36], off
	s_waitcnt vmcnt(1)
	v_subrev_nc_u32_e32 v9, s41, v9
	s_waitcnt vmcnt(0)
	v_subrev_nc_u32_e32 v33, s42, v33
	s_delay_alu instid0(VALU_DEP_1)
	v_cmpx_eq_u32_e64 v9, v33
	s_cbranch_execz .LBB2_11
; %bb.15:                               ;   in Loop: Header=BB2_13 Depth=4
	v_add_co_u32 v16, vcc_lo, v26, v16
	v_add_co_ci_u32_e32 v17, vcc_lo, v27, v17, vcc_lo
	v_add_co_u32 v14, vcc_lo, v31, v14
	v_add_co_ci_u32_e32 v15, vcc_lo, v32, v15, vcc_lo
	global_load_b32 v16, v[16:17], off
	global_load_b32 v14, v[14:15], off
	s_waitcnt vmcnt(0)
	v_fmac_f32_e32 v4, v16, v14
	s_branch .LBB2_11
.LBB2_16:                               ;   in Loop: Header=BB2_9 Depth=3
	s_or_b32 exec_lo, exec_lo, s48
.LBB2_17:                               ;   in Loop: Header=BB2_9 Depth=3
	s_delay_alu instid0(SALU_CYCLE_1)
	s_or_b32 exec_lo, exec_lo, s47
	v_add_co_u32 v12, vcc_lo, s26, v12
	v_add_co_ci_u32_e32 v13, vcc_lo, s27, v13, vcc_lo
	v_cmp_le_i32_e64 s3, v2, v6
	s_mov_b32 s47, exec_lo
	global_load_b32 v9, v[12:13], off
	s_waitcnt vmcnt(0)
	v_sub_f32_e32 v4, v9, v4
	v_cmpx_gt_i32_e64 v2, v6
	s_cbranch_execz .LBB2_21
; %bb.18:                               ;   in Loop: Header=BB2_9 Depth=3
	v_add_co_u32 v12, vcc_lo, s28, v10
	v_add_co_ci_u32_e32 v13, vcc_lo, s29, v11, vcc_lo
	s_mov_b32 s48, exec_lo
	global_load_b32 v9, v[12:13], off
	v_mov_b32_e32 v12, 0
	s_waitcnt vmcnt(0)
	v_cmpx_lg_f32_e32 0, v9
; %bb.19:                               ;   in Loop: Header=BB2_9 Depth=3
	v_div_scale_f32 v12, null, v9, v9, v4
	s_delay_alu instid0(VALU_DEP_1) | instskip(SKIP_2) | instid1(VALU_DEP_1)
	v_rcp_f32_e32 v13, v12
	s_waitcnt_depctr 0xfff
	v_fma_f32 v14, -v12, v13, 1.0
	v_fmac_f32_e32 v13, v14, v13
	v_div_scale_f32 v14, vcc_lo, v4, v9, v4
	s_delay_alu instid0(VALU_DEP_1) | instskip(NEXT) | instid1(VALU_DEP_1)
	v_mul_f32_e32 v15, v14, v13
	v_fma_f32 v16, -v12, v15, v14
	s_delay_alu instid0(VALU_DEP_1) | instskip(NEXT) | instid1(VALU_DEP_1)
	v_fmac_f32_e32 v15, v16, v13
	v_fma_f32 v12, -v12, v15, v14
	s_delay_alu instid0(VALU_DEP_1) | instskip(NEXT) | instid1(VALU_DEP_1)
	v_div_fmas_f32 v12, v12, v13, v15
	v_div_fixup_f32 v12, v12, v9, v4
; %bb.20:                               ;   in Loop: Header=BB2_9 Depth=3
	s_or_b32 exec_lo, exec_lo, s48
	s_delay_alu instid0(VALU_DEP_1)
	v_mov_b32_e32 v4, v12
.LBB2_21:                               ;   in Loop: Header=BB2_9 Depth=3
	s_or_b32 exec_lo, exec_lo, s47
	s_delay_alu instid0(VALU_DEP_1) | instskip(NEXT) | instid1(VALU_DEP_1)
	v_cmp_class_f32_e64 s48, v4, 0x1f8
	s_and_saveexec_b32 s47, s48
	s_cbranch_execz .LBB2_8
; %bb.22:                               ;   in Loop: Header=BB2_9 Depth=3
	s_mov_b32 s48, 0
                                        ; implicit-def: $vgpr12_vgpr13
	s_and_saveexec_b32 s49, s3
	s_delay_alu instid0(SALU_CYCLE_1)
	s_xor_b32 s3, exec_lo, s49
	s_cbranch_execnz .LBB2_25
; %bb.23:                               ;   in Loop: Header=BB2_9 Depth=3
	s_and_not1_saveexec_b32 s3, s3
	s_cbranch_execnz .LBB2_38
.LBB2_24:                               ;   in Loop: Header=BB2_9 Depth=3
	s_or_b32 exec_lo, exec_lo, s3
	s_delay_alu instid0(SALU_CYCLE_1)
	s_and_b32 exec_lo, exec_lo, s48
	s_cbranch_execz .LBB2_8
	s_branch .LBB2_47
.LBB2_25:                               ;   in Loop: Header=BB2_9 Depth=3
	s_mov_b32 s49, exec_lo
                                        ; implicit-def: $vgpr12_vgpr13
	v_cmpx_ge_i32_e64 v2, v6
	s_xor_b32 s49, exec_lo, s49
; %bb.26:                               ;   in Loop: Header=BB2_9 Depth=3
	v_add_co_u32 v12, vcc_lo, s30, v10
	s_mov_b32 s48, exec_lo
	v_add_co_ci_u32_e32 v13, vcc_lo, s31, v11, vcc_lo
                                        ; implicit-def: $vgpr8
                                        ; implicit-def: $vgpr28
                                        ; implicit-def: $vgpr7
; %bb.27:                               ;   in Loop: Header=BB2_9 Depth=3
	s_and_not1_saveexec_b32 s49, s49
	s_cbranch_execz .LBB2_37
; %bb.28:                               ;   in Loop: Header=BB2_9 Depth=3
	s_mov_b32 s51, s48
	s_mov_b32 s50, exec_lo
                                        ; implicit-def: $vgpr12_vgpr13
	v_cmpx_lt_i32_e64 v8, v28
	s_cbranch_execz .LBB2_36
; %bb.29:                               ;   in Loop: Header=BB2_9 Depth=3
	s_mov_b32 s52, 0
                                        ; implicit-def: $sgpr51
                                        ; implicit-def: $sgpr54
                                        ; implicit-def: $sgpr53
	s_set_inst_prefetch_distance 0x1
	s_branch .LBB2_31
	.p2align	6
.LBB2_30:                               ;   in Loop: Header=BB2_31 Depth=4
	s_or_b32 exec_lo, exec_lo, s55
	s_delay_alu instid0(SALU_CYCLE_1) | instskip(NEXT) | instid1(SALU_CYCLE_1)
	s_and_b32 s55, exec_lo, s54
	s_or_b32 s52, s55, s52
	s_and_not1_b32 s51, s51, exec_lo
	s_and_b32 s55, s53, exec_lo
	s_delay_alu instid0(SALU_CYCLE_1)
	s_or_b32 s51, s51, s55
	s_and_not1_b32 exec_lo, exec_lo, s52
	s_cbranch_execz .LBB2_33
.LBB2_31:                               ;   Parent Loop BB2_3 Depth=1
                                        ;     Parent Loop BB2_5 Depth=2
                                        ;       Parent Loop BB2_9 Depth=3
                                        ; =>      This Inner Loop Header: Depth=4
	v_add_nc_u32_e32 v9, v7, v8
	s_or_b32 s53, s53, exec_lo
	s_or_b32 s54, s54, exec_lo
	s_mov_b32 s55, exec_lo
	s_delay_alu instid0(VALU_DEP_1) | instskip(NEXT) | instid1(VALU_DEP_1)
	v_ashrrev_i32_e32 v10, 31, v9
	v_lshlrev_b64 v[9:10], 2, v[9:10]
	s_delay_alu instid0(VALU_DEP_1) | instskip(NEXT) | instid1(VALU_DEP_2)
	v_add_co_u32 v11, vcc_lo, s8, v9
	v_add_co_ci_u32_e32 v12, vcc_lo, s9, v10, vcc_lo
	global_load_b32 v0, v[11:12], off
	s_waitcnt vmcnt(0)
	v_subrev_nc_u32_e32 v0, s42, v0
	s_delay_alu instid0(VALU_DEP_1)
	v_cmpx_ne_u32_e64 v0, v2
	s_cbranch_execz .LBB2_30
; %bb.32:                               ;   in Loop: Header=BB2_31 Depth=4
	v_add_nc_u32_e32 v8, 1, v8
	s_and_not1_b32 s54, s54, exec_lo
	s_and_not1_b32 s53, s53, exec_lo
	s_delay_alu instid0(VALU_DEP_1) | instskip(SKIP_1) | instid1(SALU_CYCLE_1)
	v_cmp_ge_i32_e32 vcc_lo, v8, v28
	s_and_b32 s56, vcc_lo, exec_lo
	s_or_b32 s54, s54, s56
	s_branch .LBB2_30
.LBB2_33:                               ;   in Loop: Header=BB2_9 Depth=3
	s_set_inst_prefetch_distance 0x2
	s_or_b32 exec_lo, exec_lo, s52
	s_mov_b32 s52, s48
                                        ; implicit-def: $vgpr12_vgpr13
	s_and_saveexec_b32 s53, s51
	s_delay_alu instid0(SALU_CYCLE_1)
	s_xor_b32 s51, exec_lo, s53
; %bb.34:                               ;   in Loop: Header=BB2_9 Depth=3
	v_add_co_u32 v12, vcc_lo, s36, v9
	v_add_co_ci_u32_e32 v13, vcc_lo, s37, v10, vcc_lo
	s_or_b32 s52, s48, exec_lo
; %bb.35:                               ;   in Loop: Header=BB2_9 Depth=3
	s_or_b32 exec_lo, exec_lo, s51
	s_delay_alu instid0(SALU_CYCLE_1) | instskip(SKIP_1) | instid1(SALU_CYCLE_1)
	s_and_not1_b32 s51, s48, exec_lo
	s_and_b32 s52, s52, exec_lo
	s_or_b32 s51, s51, s52
.LBB2_36:                               ;   in Loop: Header=BB2_9 Depth=3
	s_or_b32 exec_lo, exec_lo, s50
	s_delay_alu instid0(SALU_CYCLE_1) | instskip(SKIP_1) | instid1(SALU_CYCLE_1)
	s_and_not1_b32 s48, s48, exec_lo
	s_and_b32 s50, s51, exec_lo
	s_or_b32 s48, s48, s50
.LBB2_37:                               ;   in Loop: Header=BB2_9 Depth=3
	s_or_b32 exec_lo, exec_lo, s49
	s_delay_alu instid0(SALU_CYCLE_1)
	s_and_b32 s48, s48, exec_lo
                                        ; implicit-def: $vgpr6_vgpr7
	s_and_not1_saveexec_b32 s3, s3
	s_cbranch_execz .LBB2_24
.LBB2_38:                               ;   in Loop: Header=BB2_9 Depth=3
	s_mov_b32 s50, s48
	s_mov_b32 s49, exec_lo
                                        ; implicit-def: $vgpr12_vgpr13
	v_cmpx_lt_i32_e64 v0, v23
	s_cbranch_execz .LBB2_46
; %bb.39:                               ;   in Loop: Header=BB2_9 Depth=3
	s_mov_b32 s51, 0
                                        ; implicit-def: $sgpr50
                                        ; implicit-def: $sgpr53
                                        ; implicit-def: $sgpr52
	s_set_inst_prefetch_distance 0x1
	s_branch .LBB2_41
	.p2align	6
.LBB2_40:                               ;   in Loop: Header=BB2_41 Depth=4
	s_or_b32 exec_lo, exec_lo, s54
	s_delay_alu instid0(SALU_CYCLE_1) | instskip(NEXT) | instid1(SALU_CYCLE_1)
	s_and_b32 s54, exec_lo, s53
	s_or_b32 s51, s54, s51
	s_and_not1_b32 s50, s50, exec_lo
	s_and_b32 s54, s52, exec_lo
	s_delay_alu instid0(SALU_CYCLE_1)
	s_or_b32 s50, s50, s54
	s_and_not1_b32 exec_lo, exec_lo, s51
	s_cbranch_execz .LBB2_43
.LBB2_41:                               ;   Parent Loop BB2_3 Depth=1
                                        ;     Parent Loop BB2_5 Depth=2
                                        ;       Parent Loop BB2_9 Depth=3
                                        ; =>      This Inner Loop Header: Depth=4
	v_add_nc_u32_e32 v7, v5, v0
	s_or_b32 s52, s52, exec_lo
	s_or_b32 s53, s53, exec_lo
	s_mov_b32 s54, exec_lo
	s_delay_alu instid0(VALU_DEP_1) | instskip(NEXT) | instid1(VALU_DEP_1)
	v_ashrrev_i32_e32 v8, 31, v7
	v_lshlrev_b64 v[7:8], 2, v[7:8]
	s_delay_alu instid0(VALU_DEP_1) | instskip(NEXT) | instid1(VALU_DEP_2)
	v_add_co_u32 v9, vcc_lo, s16, v7
	v_add_co_ci_u32_e32 v10, vcc_lo, s17, v8, vcc_lo
	global_load_b32 v9, v[9:10], off
	s_waitcnt vmcnt(0)
	v_subrev_nc_u32_e32 v9, s41, v9
	s_delay_alu instid0(VALU_DEP_1)
	v_cmpx_ne_u32_e64 v9, v6
	s_cbranch_execz .LBB2_40
; %bb.42:                               ;   in Loop: Header=BB2_41 Depth=4
	v_add_nc_u32_e32 v0, 1, v0
	s_and_not1_b32 s53, s53, exec_lo
	s_and_not1_b32 s52, s52, exec_lo
	s_delay_alu instid0(VALU_DEP_1) | instskip(SKIP_1) | instid1(SALU_CYCLE_1)
	v_cmp_ge_i32_e32 vcc_lo, v0, v23
	s_and_b32 s55, vcc_lo, exec_lo
	s_or_b32 s53, s53, s55
	s_branch .LBB2_40
.LBB2_43:                               ;   in Loop: Header=BB2_9 Depth=3
	s_set_inst_prefetch_distance 0x2
	s_or_b32 exec_lo, exec_lo, s51
	s_mov_b32 s51, s48
                                        ; implicit-def: $vgpr12_vgpr13
	s_and_saveexec_b32 s52, s50
	s_delay_alu instid0(SALU_CYCLE_1)
	s_xor_b32 s50, exec_lo, s52
; %bb.44:                               ;   in Loop: Header=BB2_9 Depth=3
	v_add_co_u32 v12, vcc_lo, s38, v7
	v_add_co_ci_u32_e32 v13, vcc_lo, s39, v8, vcc_lo
	s_or_b32 s51, s48, exec_lo
; %bb.45:                               ;   in Loop: Header=BB2_9 Depth=3
	s_or_b32 exec_lo, exec_lo, s50
	s_delay_alu instid0(SALU_CYCLE_1) | instskip(SKIP_1) | instid1(SALU_CYCLE_1)
	s_and_not1_b32 s50, s48, exec_lo
	s_and_b32 s51, s51, exec_lo
	s_or_b32 s50, s50, s51
.LBB2_46:                               ;   in Loop: Header=BB2_9 Depth=3
	s_or_b32 exec_lo, exec_lo, s49
	s_delay_alu instid0(SALU_CYCLE_1) | instskip(SKIP_1) | instid1(SALU_CYCLE_1)
	s_and_not1_b32 s48, s48, exec_lo
	s_and_b32 s49, s50, exec_lo
	s_or_b32 s48, s48, s49
	s_or_b32 exec_lo, exec_lo, s3
	s_delay_alu instid0(SALU_CYCLE_1)
	s_and_b32 exec_lo, exec_lo, s48
	s_cbranch_execz .LBB2_8
.LBB2_47:                               ;   in Loop: Header=BB2_9 Depth=3
	global_store_b32 v[12:13], v4, off
	s_branch .LBB2_8
.LBB2_48:                               ;   in Loop: Header=BB2_3 Depth=1
	s_and_saveexec_b32 s3, s0
	s_cbranch_execz .LBB2_2
; %bb.49:                               ;   in Loop: Header=BB2_3 Depth=1
	v_mov_b32_e32 v2, v18
	s_mov_b32 s44, 0
	s_branch .LBB2_51
.LBB2_50:                               ;   in Loop: Header=BB2_51 Depth=2
	s_or_b32 exec_lo, exec_lo, s45
	v_add_nc_u32_e32 v2, 0x100, v2
	s_delay_alu instid0(VALU_DEP_1) | instskip(SKIP_1) | instid1(SALU_CYCLE_1)
	v_cmp_le_u32_e32 vcc_lo, s43, v2
	s_or_b32 s44, vcc_lo, s44
	s_and_not1_b32 exec_lo, exec_lo, s44
	s_cbranch_execz .LBB2_2
.LBB2_51:                               ;   Parent Loop BB2_3 Depth=1
                                        ; =>  This Loop Header: Depth=2
                                        ;       Child Loop BB2_54 Depth 3
                                        ;       Child Loop BB2_57 Depth 3
	s_mov_b32 s45, exec_lo
	s_delay_alu instid0(VALU_DEP_1)
	v_cmpx_gt_i32_e64 s35, v2
	s_cbranch_execz .LBB2_50
; %bb.52:                               ;   in Loop: Header=BB2_51 Depth=2
	v_ashrrev_i32_e32 v3, 31, v2
	s_mov_b32 s46, exec_lo
	s_delay_alu instid0(VALU_DEP_1) | instskip(NEXT) | instid1(VALU_DEP_1)
	v_lshlrev_b64 v[3:4], 2, v[2:3]
	v_add_co_u32 v5, vcc_lo, s12, v3
	s_delay_alu instid0(VALU_DEP_2)
	v_add_co_ci_u32_e32 v6, vcc_lo, s13, v4, vcc_lo
	v_add_co_u32 v7, vcc_lo, s14, v3
	v_add_co_ci_u32_e32 v8, vcc_lo, s15, v4, vcc_lo
	global_load_b32 v0, v[5:6], off
	global_load_b32 v6, v[7:8], off
	s_waitcnt vmcnt(1)
	v_add_nc_u32_e32 v5, v20, v0
	s_waitcnt vmcnt(0)
	v_subrev_nc_u32_e32 v0, s41, v6
	s_delay_alu instid0(VALU_DEP_1)
	v_cmpx_lt_i32_e64 v5, v0
	s_cbranch_execz .LBB2_55
; %bb.53:                               ;   in Loop: Header=BB2_51 Depth=2
	v_ashrrev_i32_e32 v6, 31, v5
	s_mov_b32 s47, 0
	s_delay_alu instid0(VALU_DEP_1) | instskip(NEXT) | instid1(VALU_DEP_1)
	v_lshlrev_b64 v[8:9], 2, v[5:6]
	v_add_co_u32 v6, vcc_lo, s38, v8
	s_delay_alu instid0(VALU_DEP_2)
	v_add_co_ci_u32_e32 v7, vcc_lo, s39, v9, vcc_lo
	v_add_co_u32 v8, vcc_lo, s18, v8
	v_add_co_ci_u32_e32 v9, vcc_lo, s19, v9, vcc_lo
.LBB2_54:                               ;   Parent Loop BB2_3 Depth=1
                                        ;     Parent Loop BB2_51 Depth=2
                                        ; =>    This Inner Loop Header: Depth=3
	global_load_b32 v10, v[6:7], off
	v_add_nc_u32_e32 v5, 4, v5
	v_add_co_u32 v6, vcc_lo, v6, 16
	v_add_co_ci_u32_e32 v7, vcc_lo, 0, v7, vcc_lo
	s_delay_alu instid0(VALU_DEP_3) | instskip(SKIP_4) | instid1(VALU_DEP_1)
	v_cmp_ge_i32_e32 vcc_lo, v5, v0
	s_or_b32 s47, vcc_lo, s47
	s_waitcnt vmcnt(0)
	global_store_b32 v[8:9], v10, off
	v_add_co_u32 v8, s2, v8, 16
	v_add_co_ci_u32_e64 v9, s2, 0, v9, s2
	s_and_not1_b32 exec_lo, exec_lo, s47
	s_cbranch_execnz .LBB2_54
.LBB2_55:                               ;   in Loop: Header=BB2_51 Depth=2
	s_or_b32 exec_lo, exec_lo, s46
	v_add_co_u32 v5, vcc_lo, s4, v3
	v_add_co_ci_u32_e32 v6, vcc_lo, s5, v4, vcc_lo
	v_add_co_u32 v7, vcc_lo, s6, v3
	v_add_co_ci_u32_e32 v8, vcc_lo, s7, v4, vcc_lo
	s_mov_b32 s46, exec_lo
	global_load_b32 v0, v[5:6], off
	global_load_b32 v6, v[7:8], off
	s_waitcnt vmcnt(1)
	v_add_nc_u32_e32 v5, v21, v0
	s_waitcnt vmcnt(0)
	v_subrev_nc_u32_e32 v0, s42, v6
	s_delay_alu instid0(VALU_DEP_1)
	v_cmpx_lt_i32_e64 v5, v0
	s_cbranch_execz .LBB2_58
; %bb.56:                               ;   in Loop: Header=BB2_51 Depth=2
	v_ashrrev_i32_e32 v6, 31, v5
	s_mov_b32 s47, 0
	s_delay_alu instid0(VALU_DEP_1) | instskip(NEXT) | instid1(VALU_DEP_1)
	v_lshlrev_b64 v[8:9], 2, v[5:6]
	v_add_co_u32 v6, vcc_lo, s36, v8
	s_delay_alu instid0(VALU_DEP_2)
	v_add_co_ci_u32_e32 v7, vcc_lo, s37, v9, vcc_lo
	v_add_co_u32 v8, vcc_lo, s10, v8
	v_add_co_ci_u32_e32 v9, vcc_lo, s11, v9, vcc_lo
.LBB2_57:                               ;   Parent Loop BB2_3 Depth=1
                                        ;     Parent Loop BB2_51 Depth=2
                                        ; =>    This Inner Loop Header: Depth=3
	global_load_b32 v10, v[6:7], off
	v_add_nc_u32_e32 v5, 4, v5
	v_add_co_u32 v6, vcc_lo, v6, 16
	v_add_co_ci_u32_e32 v7, vcc_lo, 0, v7, vcc_lo
	s_delay_alu instid0(VALU_DEP_3) | instskip(SKIP_4) | instid1(VALU_DEP_1)
	v_cmp_ge_i32_e32 vcc_lo, v5, v0
	s_or_b32 s47, vcc_lo, s47
	s_waitcnt vmcnt(0)
	global_store_b32 v[8:9], v10, off
	v_add_co_u32 v8, s2, v8, 16
	v_add_co_ci_u32_e64 v9, s2, 0, v9, s2
	s_and_not1_b32 exec_lo, exec_lo, s47
	s_cbranch_execnz .LBB2_57
.LBB2_58:                               ;   in Loop: Header=BB2_51 Depth=2
	s_or_b32 exec_lo, exec_lo, s46
	s_delay_alu instid0(SALU_CYCLE_1)
	s_and_b32 exec_lo, exec_lo, s1
	s_cbranch_execz .LBB2_50
; %bb.59:                               ;   in Loop: Header=BB2_51 Depth=2
	v_add_co_u32 v5, vcc_lo, s30, v3
	v_add_co_ci_u32_e32 v6, vcc_lo, s31, v4, vcc_lo
	v_add_co_u32 v3, vcc_lo, s28, v3
	v_add_co_ci_u32_e32 v4, vcc_lo, s29, v4, vcc_lo
	global_load_b32 v0, v[5:6], off
	s_waitcnt vmcnt(0)
	global_store_b32 v[3:4], v0, off
	s_branch .LBB2_50
.LBB2_60:
	s_nop 0
	s_sendmsg sendmsg(MSG_DEALLOC_VGPRS)
	s_endpgm
	.section	.rodata,"a",@progbits
	.p2align	6, 0x0
	.amdhsa_kernel _ZN9rocsparseL14kernel_freerunILi1024ELi4EfiiEEvT3_S1_T2_PKS2_S4_PKS1_PKT1_21rocsparse_index_base_S4_S4_S6_PS7_SB_SA_S4_S4_S6_SB_SB_SA_SB_SB_
		.amdhsa_group_segment_fixed_size 0
		.amdhsa_private_segment_fixed_size 0
		.amdhsa_kernarg_size 168
		.amdhsa_user_sgpr_count 15
		.amdhsa_user_sgpr_dispatch_ptr 0
		.amdhsa_user_sgpr_queue_ptr 0
		.amdhsa_user_sgpr_kernarg_segment_ptr 1
		.amdhsa_user_sgpr_dispatch_id 0
		.amdhsa_user_sgpr_private_segment_size 0
		.amdhsa_wavefront_size32 1
		.amdhsa_uses_dynamic_stack 0
		.amdhsa_enable_private_segment 0
		.amdhsa_system_sgpr_workgroup_id_x 1
		.amdhsa_system_sgpr_workgroup_id_y 0
		.amdhsa_system_sgpr_workgroup_id_z 0
		.amdhsa_system_sgpr_workgroup_info 0
		.amdhsa_system_vgpr_workitem_id 0
		.amdhsa_next_free_vgpr 37
		.amdhsa_next_free_sgpr 57
		.amdhsa_reserve_vcc 1
		.amdhsa_float_round_mode_32 0
		.amdhsa_float_round_mode_16_64 0
		.amdhsa_float_denorm_mode_32 3
		.amdhsa_float_denorm_mode_16_64 3
		.amdhsa_dx10_clamp 1
		.amdhsa_ieee_mode 1
		.amdhsa_fp16_overflow 0
		.amdhsa_workgroup_processor_mode 1
		.amdhsa_memory_ordered 1
		.amdhsa_forward_progress 0
		.amdhsa_shared_vgpr_count 0
		.amdhsa_exception_fp_ieee_invalid_op 0
		.amdhsa_exception_fp_denorm_src 0
		.amdhsa_exception_fp_ieee_div_zero 0
		.amdhsa_exception_fp_ieee_overflow 0
		.amdhsa_exception_fp_ieee_underflow 0
		.amdhsa_exception_fp_ieee_inexact 0
		.amdhsa_exception_int_div_zero 0
	.end_amdhsa_kernel
	.section	.text._ZN9rocsparseL14kernel_freerunILi1024ELi4EfiiEEvT3_S1_T2_PKS2_S4_PKS1_PKT1_21rocsparse_index_base_S4_S4_S6_PS7_SB_SA_S4_S4_S6_SB_SB_SA_SB_SB_,"axG",@progbits,_ZN9rocsparseL14kernel_freerunILi1024ELi4EfiiEEvT3_S1_T2_PKS2_S4_PKS1_PKT1_21rocsparse_index_base_S4_S4_S6_PS7_SB_SA_S4_S4_S6_SB_SB_SA_SB_SB_,comdat
.Lfunc_end2:
	.size	_ZN9rocsparseL14kernel_freerunILi1024ELi4EfiiEEvT3_S1_T2_PKS2_S4_PKS1_PKT1_21rocsparse_index_base_S4_S4_S6_PS7_SB_SA_S4_S4_S6_SB_SB_SA_SB_SB_, .Lfunc_end2-_ZN9rocsparseL14kernel_freerunILi1024ELi4EfiiEEvT3_S1_T2_PKS2_S4_PKS1_PKT1_21rocsparse_index_base_S4_S4_S6_PS7_SB_SA_S4_S4_S6_SB_SB_SA_SB_SB_
                                        ; -- End function
	.section	.AMDGPU.csdata,"",@progbits
; Kernel info:
; codeLenInByte = 2436
; NumSgprs: 59
; NumVgprs: 37
; ScratchSize: 0
; MemoryBound: 0
; FloatMode: 240
; IeeeMode: 1
; LDSByteSize: 0 bytes/workgroup (compile time only)
; SGPRBlocks: 7
; VGPRBlocks: 4
; NumSGPRsForWavesPerEU: 59
; NumVGPRsForWavesPerEU: 37
; Occupancy: 16
; WaveLimiterHint : 1
; COMPUTE_PGM_RSRC2:SCRATCH_EN: 0
; COMPUTE_PGM_RSRC2:USER_SGPR: 15
; COMPUTE_PGM_RSRC2:TRAP_HANDLER: 0
; COMPUTE_PGM_RSRC2:TGID_X_EN: 1
; COMPUTE_PGM_RSRC2:TGID_Y_EN: 0
; COMPUTE_PGM_RSRC2:TGID_Z_EN: 0
; COMPUTE_PGM_RSRC2:TIDIG_COMP_CNT: 0
	.section	.text._ZN9rocsparseL14kernel_freerunILi1024ELi8EfiiEEvT3_S1_T2_PKS2_S4_PKS1_PKT1_21rocsparse_index_base_S4_S4_S6_PS7_SB_SA_S4_S4_S6_SB_SB_SA_SB_SB_,"axG",@progbits,_ZN9rocsparseL14kernel_freerunILi1024ELi8EfiiEEvT3_S1_T2_PKS2_S4_PKS1_PKT1_21rocsparse_index_base_S4_S4_S6_PS7_SB_SA_S4_S4_S6_SB_SB_SA_SB_SB_,comdat
	.globl	_ZN9rocsparseL14kernel_freerunILi1024ELi8EfiiEEvT3_S1_T2_PKS2_S4_PKS1_PKT1_21rocsparse_index_base_S4_S4_S6_PS7_SB_SA_S4_S4_S6_SB_SB_SA_SB_SB_ ; -- Begin function _ZN9rocsparseL14kernel_freerunILi1024ELi8EfiiEEvT3_S1_T2_PKS2_S4_PKS1_PKT1_21rocsparse_index_base_S4_S4_S6_PS7_SB_SA_S4_S4_S6_SB_SB_SA_SB_SB_
	.p2align	8
	.type	_ZN9rocsparseL14kernel_freerunILi1024ELi8EfiiEEvT3_S1_T2_PKS2_S4_PKS1_PKT1_21rocsparse_index_base_S4_S4_S6_PS7_SB_SA_S4_S4_S6_SB_SB_SA_SB_SB_,@function
_ZN9rocsparseL14kernel_freerunILi1024ELi8EfiiEEvT3_S1_T2_PKS2_S4_PKS1_PKT1_21rocsparse_index_base_S4_S4_S6_PS7_SB_SA_S4_S4_S6_SB_SB_SA_SB_SB_: ; @_ZN9rocsparseL14kernel_freerunILi1024ELi8EfiiEEvT3_S1_T2_PKS2_S4_PKS1_PKT1_21rocsparse_index_base_S4_S4_S6_PS7_SB_SA_S4_S4_S6_SB_SB_SA_SB_SB_
; %bb.0:
	s_load_b64 s[34:35], s[0:1], 0x0
	v_lshrrev_b32_e32 v1, 3, v0
	s_lshl_b32 s43, s15, 10
	s_mov_b32 s33, 0
	s_delay_alu instid0(VALU_DEP_1) | instskip(SKIP_1) | instid1(VALU_DEP_1)
	v_or_b32_e32 v18, s43, v1
	s_waitcnt lgkmcnt(0)
	v_cmp_gt_i32_e32 vcc_lo, s35, v18
	s_cmp_gt_i32 s34, 0
	s_cselect_b32 s2, -1, 0
	s_delay_alu instid0(SALU_CYCLE_1) | instskip(NEXT) | instid1(SALU_CYCLE_1)
	s_and_b32 s2, vcc_lo, s2
	s_and_saveexec_b32 s3, s2
	s_cbranch_execz .LBB3_60
; %bb.1:
	s_clause 0x8
	s_load_b32 s40, s[0:1], 0x30
	s_load_b32 s41, s[0:1], 0x60
	;; [unrolled: 1-line block ×3, first 2 shown]
	s_load_b64 s[36:37], s[0:1], 0x88
	s_load_b64 s[38:39], s[0:1], 0x58
	s_load_b128 s[28:31], s[0:1], 0x98
	s_load_b256 s[4:11], s[0:1], 0x68
	s_load_b256 s[12:19], s[0:1], 0x38
	s_load_b256 s[20:27], s[0:1], 0x10
	v_dual_mov_b32 v1, 0 :: v_dual_and_b32 v0, 7, v0
	s_addk_i32 s43, 0x400
	s_delay_alu instid0(SALU_CYCLE_1) | instskip(NEXT) | instid1(VALU_DEP_2)
	v_cmp_gt_u32_e64 s0, s43, v18
	v_cmp_eq_u32_e64 s1, 0, v0
	s_waitcnt lgkmcnt(0)
	v_subrev_nc_u32_e32 v19, s40, v0
	v_subrev_nc_u32_e32 v20, s41, v0
	;; [unrolled: 1-line block ×3, first 2 shown]
	s_branch .LBB3_3
.LBB3_2:                                ;   in Loop: Header=BB3_3 Depth=1
	s_or_b32 exec_lo, exec_lo, s3
	s_add_i32 s33, s33, 1
	s_delay_alu instid0(SALU_CYCLE_1)
	s_cmp_eq_u32 s33, s34
	s_cbranch_scc1 .LBB3_60
.LBB3_3:                                ; =>This Loop Header: Depth=1
                                        ;     Child Loop BB3_5 Depth 2
                                        ;       Child Loop BB3_9 Depth 3
                                        ;         Child Loop BB3_13 Depth 4
                                        ;         Child Loop BB3_31 Depth 4
                                        ;         Child Loop BB3_41 Depth 4
                                        ;     Child Loop BB3_51 Depth 2
                                        ;       Child Loop BB3_54 Depth 3
                                        ;       Child Loop BB3_57 Depth 3
	s_mov_b32 s44, 0
	s_branch .LBB3_5
.LBB3_4:                                ;   in Loop: Header=BB3_5 Depth=2
	s_or_b32 exec_lo, exec_lo, s45
	s_add_i32 s44, s44, 1
	s_delay_alu instid0(SALU_CYCLE_1)
	s_cmp_eq_u32 s44, 8
	s_cbranch_scc1 .LBB3_48
.LBB3_5:                                ;   Parent Loop BB3_3 Depth=1
                                        ; =>  This Loop Header: Depth=2
                                        ;       Child Loop BB3_9 Depth 3
                                        ;         Child Loop BB3_13 Depth 4
                                        ;         Child Loop BB3_31 Depth 4
	;; [unrolled: 1-line block ×3, first 2 shown]
	v_lshl_add_u32 v2, s44, 7, v18
	s_mov_b32 s45, exec_lo
	s_delay_alu instid0(VALU_DEP_1)
	v_cmpx_gt_i32_e64 s35, v2
	s_cbranch_execz .LBB3_4
; %bb.6:                                ;   in Loop: Header=BB3_5 Depth=2
	v_ashrrev_i32_e32 v3, 31, v2
	s_delay_alu instid0(VALU_DEP_1) | instskip(NEXT) | instid1(VALU_DEP_1)
	v_lshlrev_b64 v[4:5], 2, v[2:3]
	v_add_co_u32 v6, vcc_lo, s20, v4
	s_delay_alu instid0(VALU_DEP_2)
	v_add_co_ci_u32_e32 v7, vcc_lo, s21, v5, vcc_lo
	v_add_co_u32 v8, vcc_lo, s22, v4
	v_add_co_ci_u32_e32 v9, vcc_lo, s23, v5, vcc_lo
	global_load_b32 v0, v[6:7], off
	global_load_b32 v6, v[8:9], off
	s_waitcnt vmcnt(1)
	v_add_nc_u32_e32 v3, v19, v0
	s_waitcnt vmcnt(0)
	v_subrev_nc_u32_e32 v22, s40, v6
	s_delay_alu instid0(VALU_DEP_1)
	v_cmp_lt_i32_e32 vcc_lo, v3, v22
	s_and_b32 exec_lo, exec_lo, vcc_lo
	s_cbranch_execz .LBB3_4
; %bb.7:                                ;   in Loop: Header=BB3_5 Depth=2
	v_add_co_u32 v6, vcc_lo, s12, v4
	v_add_co_ci_u32_e32 v7, vcc_lo, s13, v5, vcc_lo
	v_add_co_u32 v4, vcc_lo, s14, v4
	v_add_co_ci_u32_e32 v5, vcc_lo, s15, v5, vcc_lo
	global_load_b32 v0, v[6:7], off
	s_mov_b32 s46, 0
	global_load_b32 v4, v[4:5], off
	s_waitcnt vmcnt(1)
	v_subrev_nc_u32_e32 v5, s41, v0
	s_waitcnt vmcnt(0)
	v_sub_nc_u32_e32 v23, v4, v0
	s_delay_alu instid0(VALU_DEP_2) | instskip(NEXT) | instid1(VALU_DEP_2)
	v_ashrrev_i32_e32 v6, 31, v5
	v_cmp_lt_i32_e64 s2, 0, v23
	s_delay_alu instid0(VALU_DEP_2) | instskip(NEXT) | instid1(VALU_DEP_1)
	v_lshlrev_b64 v[6:7], 2, v[5:6]
	v_add_co_u32 v24, vcc_lo, s16, v6
	s_delay_alu instid0(VALU_DEP_2)
	v_add_co_ci_u32_e32 v25, vcc_lo, s17, v7, vcc_lo
	v_add_co_u32 v26, vcc_lo, s18, v6
	v_add_co_ci_u32_e32 v27, vcc_lo, s19, v7, vcc_lo
	s_branch .LBB3_9
.LBB3_8:                                ;   in Loop: Header=BB3_9 Depth=3
	s_or_b32 exec_lo, exec_lo, s47
	v_add_nc_u32_e32 v3, 8, v3
	s_delay_alu instid0(VALU_DEP_1) | instskip(SKIP_1) | instid1(SALU_CYCLE_1)
	v_cmp_ge_i32_e32 vcc_lo, v3, v22
	s_or_b32 s46, vcc_lo, s46
	s_and_not1_b32 exec_lo, exec_lo, s46
	s_cbranch_execz .LBB3_4
.LBB3_9:                                ;   Parent Loop BB3_3 Depth=1
                                        ;     Parent Loop BB3_5 Depth=2
                                        ; =>    This Loop Header: Depth=3
                                        ;         Child Loop BB3_13 Depth 4
                                        ;         Child Loop BB3_31 Depth 4
	;; [unrolled: 1-line block ×3, first 2 shown]
	v_ashrrev_i32_e32 v4, 31, v3
	s_delay_alu instid0(VALU_DEP_1) | instskip(SKIP_1) | instid1(VALU_DEP_2)
	v_lshlrev_b64 v[12:13], 2, v[3:4]
	v_mov_b32_e32 v4, 0
	v_add_co_u32 v6, vcc_lo, s24, v12
	s_delay_alu instid0(VALU_DEP_3) | instskip(SKIP_3) | instid1(VALU_DEP_1)
	v_add_co_ci_u32_e32 v7, vcc_lo, s25, v13, vcc_lo
	global_load_b32 v0, v[6:7], off
	s_waitcnt vmcnt(0)
	v_subrev_nc_u32_e32 v6, s40, v0
	v_ashrrev_i32_e32 v7, 31, v6
	s_delay_alu instid0(VALU_DEP_1) | instskip(NEXT) | instid1(VALU_DEP_1)
	v_lshlrev_b64 v[10:11], 2, v[6:7]
	v_add_co_u32 v7, vcc_lo, s4, v10
	s_delay_alu instid0(VALU_DEP_2)
	v_add_co_ci_u32_e32 v8, vcc_lo, s5, v11, vcc_lo
	v_add_co_u32 v14, vcc_lo, s6, v10
	v_add_co_ci_u32_e32 v15, vcc_lo, s7, v11, vcc_lo
	global_load_b32 v0, v[7:8], off
	global_load_b32 v9, v[14:15], off
	v_mov_b32_e32 v8, 0
	s_waitcnt vmcnt(1)
	v_subrev_nc_u32_e32 v7, s42, v0
	s_waitcnt vmcnt(0)
	v_sub_nc_u32_e32 v28, v9, v0
	v_mov_b32_e32 v0, 0
	s_and_saveexec_b32 s47, s2
	s_cbranch_execz .LBB3_17
; %bb.10:                               ;   in Loop: Header=BB3_9 Depth=3
	v_ashrrev_i32_e32 v8, 31, v7
	v_mov_b32_e32 v0, 0
	v_mov_b32_e32 v4, 0
	s_mov_b32 s48, 0
                                        ; implicit-def: $sgpr49
	s_delay_alu instid0(VALU_DEP_3) | instskip(NEXT) | instid1(VALU_DEP_1)
	v_lshlrev_b64 v[8:9], 2, v[7:8]
	v_add_co_u32 v29, vcc_lo, s8, v8
	s_delay_alu instid0(VALU_DEP_2)
	v_add_co_ci_u32_e32 v30, vcc_lo, s9, v9, vcc_lo
	v_add_co_u32 v31, vcc_lo, s10, v8
	v_add_co_ci_u32_e32 v32, vcc_lo, s11, v9, vcc_lo
	v_mov_b32_e32 v8, v0
	s_branch .LBB3_13
.LBB3_11:                               ;   in Loop: Header=BB3_13 Depth=4
	s_or_b32 exec_lo, exec_lo, s3
	v_cmp_le_i32_e32 vcc_lo, v9, v33
	v_cmp_ge_i32_e64 s3, v9, v33
	v_add_co_ci_u32_e32 v0, vcc_lo, 0, v0, vcc_lo
	s_delay_alu instid0(VALU_DEP_2) | instskip(SKIP_1) | instid1(VALU_DEP_2)
	v_add_co_ci_u32_e64 v8, s3, 0, v8, s3
	s_and_not1_b32 s3, s49, exec_lo
	v_cmp_ge_i32_e32 vcc_lo, v0, v23
	s_and_b32 s49, vcc_lo, exec_lo
	s_delay_alu instid0(SALU_CYCLE_1)
	s_or_b32 s49, s3, s49
.LBB3_12:                               ;   in Loop: Header=BB3_13 Depth=4
	s_or_b32 exec_lo, exec_lo, s50
	s_delay_alu instid0(SALU_CYCLE_1) | instskip(NEXT) | instid1(SALU_CYCLE_1)
	s_and_b32 s3, exec_lo, s49
	s_or_b32 s48, s3, s48
	s_delay_alu instid0(SALU_CYCLE_1)
	s_and_not1_b32 exec_lo, exec_lo, s48
	s_cbranch_execz .LBB3_16
.LBB3_13:                               ;   Parent Loop BB3_3 Depth=1
                                        ;     Parent Loop BB3_5 Depth=2
                                        ;       Parent Loop BB3_9 Depth=3
                                        ; =>      This Inner Loop Header: Depth=4
	s_or_b32 s49, s49, exec_lo
	s_mov_b32 s50, exec_lo
	s_delay_alu instid0(VALU_DEP_1)
	v_cmpx_lt_i32_e64 v8, v28
	s_cbranch_execz .LBB3_12
; %bb.14:                               ;   in Loop: Header=BB3_13 Depth=4
	v_mov_b32_e32 v9, v1
	v_lshlrev_b64 v[16:17], 2, v[0:1]
	s_mov_b32 s3, exec_lo
	s_delay_alu instid0(VALU_DEP_2) | instskip(NEXT) | instid1(VALU_DEP_2)
	v_lshlrev_b64 v[14:15], 2, v[8:9]
	v_add_co_u32 v33, vcc_lo, v24, v16
	s_delay_alu instid0(VALU_DEP_3) | instskip(NEXT) | instid1(VALU_DEP_3)
	v_add_co_ci_u32_e32 v34, vcc_lo, v25, v17, vcc_lo
	v_add_co_u32 v35, vcc_lo, v29, v14
	s_delay_alu instid0(VALU_DEP_4)
	v_add_co_ci_u32_e32 v36, vcc_lo, v30, v15, vcc_lo
	global_load_b32 v9, v[33:34], off
	global_load_b32 v33, v[35:36], off
	s_waitcnt vmcnt(1)
	v_subrev_nc_u32_e32 v9, s41, v9
	s_waitcnt vmcnt(0)
	v_subrev_nc_u32_e32 v33, s42, v33
	s_delay_alu instid0(VALU_DEP_1)
	v_cmpx_eq_u32_e64 v9, v33
	s_cbranch_execz .LBB3_11
; %bb.15:                               ;   in Loop: Header=BB3_13 Depth=4
	v_add_co_u32 v16, vcc_lo, v26, v16
	v_add_co_ci_u32_e32 v17, vcc_lo, v27, v17, vcc_lo
	v_add_co_u32 v14, vcc_lo, v31, v14
	v_add_co_ci_u32_e32 v15, vcc_lo, v32, v15, vcc_lo
	global_load_b32 v16, v[16:17], off
	global_load_b32 v14, v[14:15], off
	s_waitcnt vmcnt(0)
	v_fmac_f32_e32 v4, v16, v14
	s_branch .LBB3_11
.LBB3_16:                               ;   in Loop: Header=BB3_9 Depth=3
	s_or_b32 exec_lo, exec_lo, s48
.LBB3_17:                               ;   in Loop: Header=BB3_9 Depth=3
	s_delay_alu instid0(SALU_CYCLE_1)
	s_or_b32 exec_lo, exec_lo, s47
	v_add_co_u32 v12, vcc_lo, s26, v12
	v_add_co_ci_u32_e32 v13, vcc_lo, s27, v13, vcc_lo
	v_cmp_le_i32_e64 s3, v2, v6
	s_mov_b32 s47, exec_lo
	global_load_b32 v9, v[12:13], off
	s_waitcnt vmcnt(0)
	v_sub_f32_e32 v4, v9, v4
	v_cmpx_gt_i32_e64 v2, v6
	s_cbranch_execz .LBB3_21
; %bb.18:                               ;   in Loop: Header=BB3_9 Depth=3
	v_add_co_u32 v12, vcc_lo, s28, v10
	v_add_co_ci_u32_e32 v13, vcc_lo, s29, v11, vcc_lo
	s_mov_b32 s48, exec_lo
	global_load_b32 v9, v[12:13], off
	v_mov_b32_e32 v12, 0
	s_waitcnt vmcnt(0)
	v_cmpx_lg_f32_e32 0, v9
; %bb.19:                               ;   in Loop: Header=BB3_9 Depth=3
	v_div_scale_f32 v12, null, v9, v9, v4
	s_delay_alu instid0(VALU_DEP_1) | instskip(SKIP_2) | instid1(VALU_DEP_1)
	v_rcp_f32_e32 v13, v12
	s_waitcnt_depctr 0xfff
	v_fma_f32 v14, -v12, v13, 1.0
	v_fmac_f32_e32 v13, v14, v13
	v_div_scale_f32 v14, vcc_lo, v4, v9, v4
	s_delay_alu instid0(VALU_DEP_1) | instskip(NEXT) | instid1(VALU_DEP_1)
	v_mul_f32_e32 v15, v14, v13
	v_fma_f32 v16, -v12, v15, v14
	s_delay_alu instid0(VALU_DEP_1) | instskip(NEXT) | instid1(VALU_DEP_1)
	v_fmac_f32_e32 v15, v16, v13
	v_fma_f32 v12, -v12, v15, v14
	s_delay_alu instid0(VALU_DEP_1) | instskip(NEXT) | instid1(VALU_DEP_1)
	v_div_fmas_f32 v12, v12, v13, v15
	v_div_fixup_f32 v12, v12, v9, v4
; %bb.20:                               ;   in Loop: Header=BB3_9 Depth=3
	s_or_b32 exec_lo, exec_lo, s48
	s_delay_alu instid0(VALU_DEP_1)
	v_mov_b32_e32 v4, v12
.LBB3_21:                               ;   in Loop: Header=BB3_9 Depth=3
	s_or_b32 exec_lo, exec_lo, s47
	s_delay_alu instid0(VALU_DEP_1) | instskip(NEXT) | instid1(VALU_DEP_1)
	v_cmp_class_f32_e64 s48, v4, 0x1f8
	s_and_saveexec_b32 s47, s48
	s_cbranch_execz .LBB3_8
; %bb.22:                               ;   in Loop: Header=BB3_9 Depth=3
	s_mov_b32 s48, 0
                                        ; implicit-def: $vgpr12_vgpr13
	s_and_saveexec_b32 s49, s3
	s_delay_alu instid0(SALU_CYCLE_1)
	s_xor_b32 s3, exec_lo, s49
	s_cbranch_execnz .LBB3_25
; %bb.23:                               ;   in Loop: Header=BB3_9 Depth=3
	s_and_not1_saveexec_b32 s3, s3
	s_cbranch_execnz .LBB3_38
.LBB3_24:                               ;   in Loop: Header=BB3_9 Depth=3
	s_or_b32 exec_lo, exec_lo, s3
	s_delay_alu instid0(SALU_CYCLE_1)
	s_and_b32 exec_lo, exec_lo, s48
	s_cbranch_execz .LBB3_8
	s_branch .LBB3_47
.LBB3_25:                               ;   in Loop: Header=BB3_9 Depth=3
	s_mov_b32 s49, exec_lo
                                        ; implicit-def: $vgpr12_vgpr13
	v_cmpx_ge_i32_e64 v2, v6
	s_xor_b32 s49, exec_lo, s49
; %bb.26:                               ;   in Loop: Header=BB3_9 Depth=3
	v_add_co_u32 v12, vcc_lo, s30, v10
	s_mov_b32 s48, exec_lo
	v_add_co_ci_u32_e32 v13, vcc_lo, s31, v11, vcc_lo
                                        ; implicit-def: $vgpr8
                                        ; implicit-def: $vgpr28
                                        ; implicit-def: $vgpr7
; %bb.27:                               ;   in Loop: Header=BB3_9 Depth=3
	s_and_not1_saveexec_b32 s49, s49
	s_cbranch_execz .LBB3_37
; %bb.28:                               ;   in Loop: Header=BB3_9 Depth=3
	s_mov_b32 s51, s48
	s_mov_b32 s50, exec_lo
                                        ; implicit-def: $vgpr12_vgpr13
	v_cmpx_lt_i32_e64 v8, v28
	s_cbranch_execz .LBB3_36
; %bb.29:                               ;   in Loop: Header=BB3_9 Depth=3
	s_mov_b32 s52, 0
                                        ; implicit-def: $sgpr51
                                        ; implicit-def: $sgpr54
                                        ; implicit-def: $sgpr53
	s_set_inst_prefetch_distance 0x1
	s_branch .LBB3_31
	.p2align	6
.LBB3_30:                               ;   in Loop: Header=BB3_31 Depth=4
	s_or_b32 exec_lo, exec_lo, s55
	s_delay_alu instid0(SALU_CYCLE_1) | instskip(NEXT) | instid1(SALU_CYCLE_1)
	s_and_b32 s55, exec_lo, s54
	s_or_b32 s52, s55, s52
	s_and_not1_b32 s51, s51, exec_lo
	s_and_b32 s55, s53, exec_lo
	s_delay_alu instid0(SALU_CYCLE_1)
	s_or_b32 s51, s51, s55
	s_and_not1_b32 exec_lo, exec_lo, s52
	s_cbranch_execz .LBB3_33
.LBB3_31:                               ;   Parent Loop BB3_3 Depth=1
                                        ;     Parent Loop BB3_5 Depth=2
                                        ;       Parent Loop BB3_9 Depth=3
                                        ; =>      This Inner Loop Header: Depth=4
	v_add_nc_u32_e32 v9, v7, v8
	s_or_b32 s53, s53, exec_lo
	s_or_b32 s54, s54, exec_lo
	s_mov_b32 s55, exec_lo
	s_delay_alu instid0(VALU_DEP_1) | instskip(NEXT) | instid1(VALU_DEP_1)
	v_ashrrev_i32_e32 v10, 31, v9
	v_lshlrev_b64 v[9:10], 2, v[9:10]
	s_delay_alu instid0(VALU_DEP_1) | instskip(NEXT) | instid1(VALU_DEP_2)
	v_add_co_u32 v11, vcc_lo, s8, v9
	v_add_co_ci_u32_e32 v12, vcc_lo, s9, v10, vcc_lo
	global_load_b32 v0, v[11:12], off
	s_waitcnt vmcnt(0)
	v_subrev_nc_u32_e32 v0, s42, v0
	s_delay_alu instid0(VALU_DEP_1)
	v_cmpx_ne_u32_e64 v0, v2
	s_cbranch_execz .LBB3_30
; %bb.32:                               ;   in Loop: Header=BB3_31 Depth=4
	v_add_nc_u32_e32 v8, 1, v8
	s_and_not1_b32 s54, s54, exec_lo
	s_and_not1_b32 s53, s53, exec_lo
	s_delay_alu instid0(VALU_DEP_1) | instskip(SKIP_1) | instid1(SALU_CYCLE_1)
	v_cmp_ge_i32_e32 vcc_lo, v8, v28
	s_and_b32 s56, vcc_lo, exec_lo
	s_or_b32 s54, s54, s56
	s_branch .LBB3_30
.LBB3_33:                               ;   in Loop: Header=BB3_9 Depth=3
	s_set_inst_prefetch_distance 0x2
	s_or_b32 exec_lo, exec_lo, s52
	s_mov_b32 s52, s48
                                        ; implicit-def: $vgpr12_vgpr13
	s_and_saveexec_b32 s53, s51
	s_delay_alu instid0(SALU_CYCLE_1)
	s_xor_b32 s51, exec_lo, s53
; %bb.34:                               ;   in Loop: Header=BB3_9 Depth=3
	v_add_co_u32 v12, vcc_lo, s36, v9
	v_add_co_ci_u32_e32 v13, vcc_lo, s37, v10, vcc_lo
	s_or_b32 s52, s48, exec_lo
; %bb.35:                               ;   in Loop: Header=BB3_9 Depth=3
	s_or_b32 exec_lo, exec_lo, s51
	s_delay_alu instid0(SALU_CYCLE_1) | instskip(SKIP_1) | instid1(SALU_CYCLE_1)
	s_and_not1_b32 s51, s48, exec_lo
	s_and_b32 s52, s52, exec_lo
	s_or_b32 s51, s51, s52
.LBB3_36:                               ;   in Loop: Header=BB3_9 Depth=3
	s_or_b32 exec_lo, exec_lo, s50
	s_delay_alu instid0(SALU_CYCLE_1) | instskip(SKIP_1) | instid1(SALU_CYCLE_1)
	s_and_not1_b32 s48, s48, exec_lo
	s_and_b32 s50, s51, exec_lo
	s_or_b32 s48, s48, s50
.LBB3_37:                               ;   in Loop: Header=BB3_9 Depth=3
	s_or_b32 exec_lo, exec_lo, s49
	s_delay_alu instid0(SALU_CYCLE_1)
	s_and_b32 s48, s48, exec_lo
                                        ; implicit-def: $vgpr6_vgpr7
	s_and_not1_saveexec_b32 s3, s3
	s_cbranch_execz .LBB3_24
.LBB3_38:                               ;   in Loop: Header=BB3_9 Depth=3
	s_mov_b32 s50, s48
	s_mov_b32 s49, exec_lo
                                        ; implicit-def: $vgpr12_vgpr13
	v_cmpx_lt_i32_e64 v0, v23
	s_cbranch_execz .LBB3_46
; %bb.39:                               ;   in Loop: Header=BB3_9 Depth=3
	s_mov_b32 s51, 0
                                        ; implicit-def: $sgpr50
                                        ; implicit-def: $sgpr53
                                        ; implicit-def: $sgpr52
	s_set_inst_prefetch_distance 0x1
	s_branch .LBB3_41
	.p2align	6
.LBB3_40:                               ;   in Loop: Header=BB3_41 Depth=4
	s_or_b32 exec_lo, exec_lo, s54
	s_delay_alu instid0(SALU_CYCLE_1) | instskip(NEXT) | instid1(SALU_CYCLE_1)
	s_and_b32 s54, exec_lo, s53
	s_or_b32 s51, s54, s51
	s_and_not1_b32 s50, s50, exec_lo
	s_and_b32 s54, s52, exec_lo
	s_delay_alu instid0(SALU_CYCLE_1)
	s_or_b32 s50, s50, s54
	s_and_not1_b32 exec_lo, exec_lo, s51
	s_cbranch_execz .LBB3_43
.LBB3_41:                               ;   Parent Loop BB3_3 Depth=1
                                        ;     Parent Loop BB3_5 Depth=2
                                        ;       Parent Loop BB3_9 Depth=3
                                        ; =>      This Inner Loop Header: Depth=4
	v_add_nc_u32_e32 v7, v5, v0
	s_or_b32 s52, s52, exec_lo
	s_or_b32 s53, s53, exec_lo
	s_mov_b32 s54, exec_lo
	s_delay_alu instid0(VALU_DEP_1) | instskip(NEXT) | instid1(VALU_DEP_1)
	v_ashrrev_i32_e32 v8, 31, v7
	v_lshlrev_b64 v[7:8], 2, v[7:8]
	s_delay_alu instid0(VALU_DEP_1) | instskip(NEXT) | instid1(VALU_DEP_2)
	v_add_co_u32 v9, vcc_lo, s16, v7
	v_add_co_ci_u32_e32 v10, vcc_lo, s17, v8, vcc_lo
	global_load_b32 v9, v[9:10], off
	s_waitcnt vmcnt(0)
	v_subrev_nc_u32_e32 v9, s41, v9
	s_delay_alu instid0(VALU_DEP_1)
	v_cmpx_ne_u32_e64 v9, v6
	s_cbranch_execz .LBB3_40
; %bb.42:                               ;   in Loop: Header=BB3_41 Depth=4
	v_add_nc_u32_e32 v0, 1, v0
	s_and_not1_b32 s53, s53, exec_lo
	s_and_not1_b32 s52, s52, exec_lo
	s_delay_alu instid0(VALU_DEP_1) | instskip(SKIP_1) | instid1(SALU_CYCLE_1)
	v_cmp_ge_i32_e32 vcc_lo, v0, v23
	s_and_b32 s55, vcc_lo, exec_lo
	s_or_b32 s53, s53, s55
	s_branch .LBB3_40
.LBB3_43:                               ;   in Loop: Header=BB3_9 Depth=3
	s_set_inst_prefetch_distance 0x2
	s_or_b32 exec_lo, exec_lo, s51
	s_mov_b32 s51, s48
                                        ; implicit-def: $vgpr12_vgpr13
	s_and_saveexec_b32 s52, s50
	s_delay_alu instid0(SALU_CYCLE_1)
	s_xor_b32 s50, exec_lo, s52
; %bb.44:                               ;   in Loop: Header=BB3_9 Depth=3
	v_add_co_u32 v12, vcc_lo, s38, v7
	v_add_co_ci_u32_e32 v13, vcc_lo, s39, v8, vcc_lo
	s_or_b32 s51, s48, exec_lo
; %bb.45:                               ;   in Loop: Header=BB3_9 Depth=3
	s_or_b32 exec_lo, exec_lo, s50
	s_delay_alu instid0(SALU_CYCLE_1) | instskip(SKIP_1) | instid1(SALU_CYCLE_1)
	s_and_not1_b32 s50, s48, exec_lo
	s_and_b32 s51, s51, exec_lo
	s_or_b32 s50, s50, s51
.LBB3_46:                               ;   in Loop: Header=BB3_9 Depth=3
	s_or_b32 exec_lo, exec_lo, s49
	s_delay_alu instid0(SALU_CYCLE_1) | instskip(SKIP_1) | instid1(SALU_CYCLE_1)
	s_and_not1_b32 s48, s48, exec_lo
	s_and_b32 s49, s50, exec_lo
	s_or_b32 s48, s48, s49
	s_or_b32 exec_lo, exec_lo, s3
	s_delay_alu instid0(SALU_CYCLE_1)
	s_and_b32 exec_lo, exec_lo, s48
	s_cbranch_execz .LBB3_8
.LBB3_47:                               ;   in Loop: Header=BB3_9 Depth=3
	global_store_b32 v[12:13], v4, off
	s_branch .LBB3_8
.LBB3_48:                               ;   in Loop: Header=BB3_3 Depth=1
	s_and_saveexec_b32 s3, s0
	s_cbranch_execz .LBB3_2
; %bb.49:                               ;   in Loop: Header=BB3_3 Depth=1
	v_mov_b32_e32 v2, v18
	s_mov_b32 s44, 0
	s_branch .LBB3_51
.LBB3_50:                               ;   in Loop: Header=BB3_51 Depth=2
	s_or_b32 exec_lo, exec_lo, s45
	v_add_nc_u32_e32 v2, 0x80, v2
	s_delay_alu instid0(VALU_DEP_1) | instskip(SKIP_1) | instid1(SALU_CYCLE_1)
	v_cmp_le_u32_e32 vcc_lo, s43, v2
	s_or_b32 s44, vcc_lo, s44
	s_and_not1_b32 exec_lo, exec_lo, s44
	s_cbranch_execz .LBB3_2
.LBB3_51:                               ;   Parent Loop BB3_3 Depth=1
                                        ; =>  This Loop Header: Depth=2
                                        ;       Child Loop BB3_54 Depth 3
                                        ;       Child Loop BB3_57 Depth 3
	s_mov_b32 s45, exec_lo
	s_delay_alu instid0(VALU_DEP_1)
	v_cmpx_gt_i32_e64 s35, v2
	s_cbranch_execz .LBB3_50
; %bb.52:                               ;   in Loop: Header=BB3_51 Depth=2
	v_ashrrev_i32_e32 v3, 31, v2
	s_mov_b32 s46, exec_lo
	s_delay_alu instid0(VALU_DEP_1) | instskip(NEXT) | instid1(VALU_DEP_1)
	v_lshlrev_b64 v[3:4], 2, v[2:3]
	v_add_co_u32 v5, vcc_lo, s12, v3
	s_delay_alu instid0(VALU_DEP_2)
	v_add_co_ci_u32_e32 v6, vcc_lo, s13, v4, vcc_lo
	v_add_co_u32 v7, vcc_lo, s14, v3
	v_add_co_ci_u32_e32 v8, vcc_lo, s15, v4, vcc_lo
	global_load_b32 v0, v[5:6], off
	global_load_b32 v6, v[7:8], off
	s_waitcnt vmcnt(1)
	v_add_nc_u32_e32 v5, v20, v0
	s_waitcnt vmcnt(0)
	v_subrev_nc_u32_e32 v0, s41, v6
	s_delay_alu instid0(VALU_DEP_1)
	v_cmpx_lt_i32_e64 v5, v0
	s_cbranch_execz .LBB3_55
; %bb.53:                               ;   in Loop: Header=BB3_51 Depth=2
	v_ashrrev_i32_e32 v6, 31, v5
	s_mov_b32 s47, 0
	s_delay_alu instid0(VALU_DEP_1) | instskip(NEXT) | instid1(VALU_DEP_1)
	v_lshlrev_b64 v[8:9], 2, v[5:6]
	v_add_co_u32 v6, vcc_lo, s38, v8
	s_delay_alu instid0(VALU_DEP_2)
	v_add_co_ci_u32_e32 v7, vcc_lo, s39, v9, vcc_lo
	v_add_co_u32 v8, vcc_lo, s18, v8
	v_add_co_ci_u32_e32 v9, vcc_lo, s19, v9, vcc_lo
.LBB3_54:                               ;   Parent Loop BB3_3 Depth=1
                                        ;     Parent Loop BB3_51 Depth=2
                                        ; =>    This Inner Loop Header: Depth=3
	global_load_b32 v10, v[6:7], off
	v_add_nc_u32_e32 v5, 8, v5
	v_add_co_u32 v6, vcc_lo, v6, 32
	v_add_co_ci_u32_e32 v7, vcc_lo, 0, v7, vcc_lo
	s_delay_alu instid0(VALU_DEP_3) | instskip(SKIP_4) | instid1(VALU_DEP_1)
	v_cmp_ge_i32_e32 vcc_lo, v5, v0
	s_or_b32 s47, vcc_lo, s47
	s_waitcnt vmcnt(0)
	global_store_b32 v[8:9], v10, off
	v_add_co_u32 v8, s2, v8, 32
	v_add_co_ci_u32_e64 v9, s2, 0, v9, s2
	s_and_not1_b32 exec_lo, exec_lo, s47
	s_cbranch_execnz .LBB3_54
.LBB3_55:                               ;   in Loop: Header=BB3_51 Depth=2
	s_or_b32 exec_lo, exec_lo, s46
	v_add_co_u32 v5, vcc_lo, s4, v3
	v_add_co_ci_u32_e32 v6, vcc_lo, s5, v4, vcc_lo
	v_add_co_u32 v7, vcc_lo, s6, v3
	v_add_co_ci_u32_e32 v8, vcc_lo, s7, v4, vcc_lo
	s_mov_b32 s46, exec_lo
	global_load_b32 v0, v[5:6], off
	global_load_b32 v6, v[7:8], off
	s_waitcnt vmcnt(1)
	v_add_nc_u32_e32 v5, v21, v0
	s_waitcnt vmcnt(0)
	v_subrev_nc_u32_e32 v0, s42, v6
	s_delay_alu instid0(VALU_DEP_1)
	v_cmpx_lt_i32_e64 v5, v0
	s_cbranch_execz .LBB3_58
; %bb.56:                               ;   in Loop: Header=BB3_51 Depth=2
	v_ashrrev_i32_e32 v6, 31, v5
	s_mov_b32 s47, 0
	s_delay_alu instid0(VALU_DEP_1) | instskip(NEXT) | instid1(VALU_DEP_1)
	v_lshlrev_b64 v[8:9], 2, v[5:6]
	v_add_co_u32 v6, vcc_lo, s36, v8
	s_delay_alu instid0(VALU_DEP_2)
	v_add_co_ci_u32_e32 v7, vcc_lo, s37, v9, vcc_lo
	v_add_co_u32 v8, vcc_lo, s10, v8
	v_add_co_ci_u32_e32 v9, vcc_lo, s11, v9, vcc_lo
.LBB3_57:                               ;   Parent Loop BB3_3 Depth=1
                                        ;     Parent Loop BB3_51 Depth=2
                                        ; =>    This Inner Loop Header: Depth=3
	global_load_b32 v10, v[6:7], off
	v_add_nc_u32_e32 v5, 8, v5
	v_add_co_u32 v6, vcc_lo, v6, 32
	v_add_co_ci_u32_e32 v7, vcc_lo, 0, v7, vcc_lo
	s_delay_alu instid0(VALU_DEP_3) | instskip(SKIP_4) | instid1(VALU_DEP_1)
	v_cmp_ge_i32_e32 vcc_lo, v5, v0
	s_or_b32 s47, vcc_lo, s47
	s_waitcnt vmcnt(0)
	global_store_b32 v[8:9], v10, off
	v_add_co_u32 v8, s2, v8, 32
	v_add_co_ci_u32_e64 v9, s2, 0, v9, s2
	s_and_not1_b32 exec_lo, exec_lo, s47
	s_cbranch_execnz .LBB3_57
.LBB3_58:                               ;   in Loop: Header=BB3_51 Depth=2
	s_or_b32 exec_lo, exec_lo, s46
	s_delay_alu instid0(SALU_CYCLE_1)
	s_and_b32 exec_lo, exec_lo, s1
	s_cbranch_execz .LBB3_50
; %bb.59:                               ;   in Loop: Header=BB3_51 Depth=2
	v_add_co_u32 v5, vcc_lo, s30, v3
	v_add_co_ci_u32_e32 v6, vcc_lo, s31, v4, vcc_lo
	v_add_co_u32 v3, vcc_lo, s28, v3
	v_add_co_ci_u32_e32 v4, vcc_lo, s29, v4, vcc_lo
	global_load_b32 v0, v[5:6], off
	s_waitcnt vmcnt(0)
	global_store_b32 v[3:4], v0, off
	s_branch .LBB3_50
.LBB3_60:
	s_nop 0
	s_sendmsg sendmsg(MSG_DEALLOC_VGPRS)
	s_endpgm
	.section	.rodata,"a",@progbits
	.p2align	6, 0x0
	.amdhsa_kernel _ZN9rocsparseL14kernel_freerunILi1024ELi8EfiiEEvT3_S1_T2_PKS2_S4_PKS1_PKT1_21rocsparse_index_base_S4_S4_S6_PS7_SB_SA_S4_S4_S6_SB_SB_SA_SB_SB_
		.amdhsa_group_segment_fixed_size 0
		.amdhsa_private_segment_fixed_size 0
		.amdhsa_kernarg_size 168
		.amdhsa_user_sgpr_count 15
		.amdhsa_user_sgpr_dispatch_ptr 0
		.amdhsa_user_sgpr_queue_ptr 0
		.amdhsa_user_sgpr_kernarg_segment_ptr 1
		.amdhsa_user_sgpr_dispatch_id 0
		.amdhsa_user_sgpr_private_segment_size 0
		.amdhsa_wavefront_size32 1
		.amdhsa_uses_dynamic_stack 0
		.amdhsa_enable_private_segment 0
		.amdhsa_system_sgpr_workgroup_id_x 1
		.amdhsa_system_sgpr_workgroup_id_y 0
		.amdhsa_system_sgpr_workgroup_id_z 0
		.amdhsa_system_sgpr_workgroup_info 0
		.amdhsa_system_vgpr_workitem_id 0
		.amdhsa_next_free_vgpr 37
		.amdhsa_next_free_sgpr 57
		.amdhsa_reserve_vcc 1
		.amdhsa_float_round_mode_32 0
		.amdhsa_float_round_mode_16_64 0
		.amdhsa_float_denorm_mode_32 3
		.amdhsa_float_denorm_mode_16_64 3
		.amdhsa_dx10_clamp 1
		.amdhsa_ieee_mode 1
		.amdhsa_fp16_overflow 0
		.amdhsa_workgroup_processor_mode 1
		.amdhsa_memory_ordered 1
		.amdhsa_forward_progress 0
		.amdhsa_shared_vgpr_count 0
		.amdhsa_exception_fp_ieee_invalid_op 0
		.amdhsa_exception_fp_denorm_src 0
		.amdhsa_exception_fp_ieee_div_zero 0
		.amdhsa_exception_fp_ieee_overflow 0
		.amdhsa_exception_fp_ieee_underflow 0
		.amdhsa_exception_fp_ieee_inexact 0
		.amdhsa_exception_int_div_zero 0
	.end_amdhsa_kernel
	.section	.text._ZN9rocsparseL14kernel_freerunILi1024ELi8EfiiEEvT3_S1_T2_PKS2_S4_PKS1_PKT1_21rocsparse_index_base_S4_S4_S6_PS7_SB_SA_S4_S4_S6_SB_SB_SA_SB_SB_,"axG",@progbits,_ZN9rocsparseL14kernel_freerunILi1024ELi8EfiiEEvT3_S1_T2_PKS2_S4_PKS1_PKT1_21rocsparse_index_base_S4_S4_S6_PS7_SB_SA_S4_S4_S6_SB_SB_SA_SB_SB_,comdat
.Lfunc_end3:
	.size	_ZN9rocsparseL14kernel_freerunILi1024ELi8EfiiEEvT3_S1_T2_PKS2_S4_PKS1_PKT1_21rocsparse_index_base_S4_S4_S6_PS7_SB_SA_S4_S4_S6_SB_SB_SA_SB_SB_, .Lfunc_end3-_ZN9rocsparseL14kernel_freerunILi1024ELi8EfiiEEvT3_S1_T2_PKS2_S4_PKS1_PKT1_21rocsparse_index_base_S4_S4_S6_PS7_SB_SA_S4_S4_S6_SB_SB_SA_SB_SB_
                                        ; -- End function
	.section	.AMDGPU.csdata,"",@progbits
; Kernel info:
; codeLenInByte = 2436
; NumSgprs: 59
; NumVgprs: 37
; ScratchSize: 0
; MemoryBound: 0
; FloatMode: 240
; IeeeMode: 1
; LDSByteSize: 0 bytes/workgroup (compile time only)
; SGPRBlocks: 7
; VGPRBlocks: 4
; NumSGPRsForWavesPerEU: 59
; NumVGPRsForWavesPerEU: 37
; Occupancy: 16
; WaveLimiterHint : 1
; COMPUTE_PGM_RSRC2:SCRATCH_EN: 0
; COMPUTE_PGM_RSRC2:USER_SGPR: 15
; COMPUTE_PGM_RSRC2:TRAP_HANDLER: 0
; COMPUTE_PGM_RSRC2:TGID_X_EN: 1
; COMPUTE_PGM_RSRC2:TGID_Y_EN: 0
; COMPUTE_PGM_RSRC2:TGID_Z_EN: 0
; COMPUTE_PGM_RSRC2:TIDIG_COMP_CNT: 0
	.section	.text._ZN9rocsparseL14kernel_freerunILi1024ELi16EfiiEEvT3_S1_T2_PKS2_S4_PKS1_PKT1_21rocsparse_index_base_S4_S4_S6_PS7_SB_SA_S4_S4_S6_SB_SB_SA_SB_SB_,"axG",@progbits,_ZN9rocsparseL14kernel_freerunILi1024ELi16EfiiEEvT3_S1_T2_PKS2_S4_PKS1_PKT1_21rocsparse_index_base_S4_S4_S6_PS7_SB_SA_S4_S4_S6_SB_SB_SA_SB_SB_,comdat
	.globl	_ZN9rocsparseL14kernel_freerunILi1024ELi16EfiiEEvT3_S1_T2_PKS2_S4_PKS1_PKT1_21rocsparse_index_base_S4_S4_S6_PS7_SB_SA_S4_S4_S6_SB_SB_SA_SB_SB_ ; -- Begin function _ZN9rocsparseL14kernel_freerunILi1024ELi16EfiiEEvT3_S1_T2_PKS2_S4_PKS1_PKT1_21rocsparse_index_base_S4_S4_S6_PS7_SB_SA_S4_S4_S6_SB_SB_SA_SB_SB_
	.p2align	8
	.type	_ZN9rocsparseL14kernel_freerunILi1024ELi16EfiiEEvT3_S1_T2_PKS2_S4_PKS1_PKT1_21rocsparse_index_base_S4_S4_S6_PS7_SB_SA_S4_S4_S6_SB_SB_SA_SB_SB_,@function
_ZN9rocsparseL14kernel_freerunILi1024ELi16EfiiEEvT3_S1_T2_PKS2_S4_PKS1_PKT1_21rocsparse_index_base_S4_S4_S6_PS7_SB_SA_S4_S4_S6_SB_SB_SA_SB_SB_: ; @_ZN9rocsparseL14kernel_freerunILi1024ELi16EfiiEEvT3_S1_T2_PKS2_S4_PKS1_PKT1_21rocsparse_index_base_S4_S4_S6_PS7_SB_SA_S4_S4_S6_SB_SB_SA_SB_SB_
; %bb.0:
	s_load_b64 s[34:35], s[0:1], 0x0
	v_lshrrev_b32_e32 v1, 4, v0
	s_lshl_b32 s43, s15, 10
	s_mov_b32 s33, 0
	s_delay_alu instid0(VALU_DEP_1) | instskip(SKIP_1) | instid1(VALU_DEP_1)
	v_or_b32_e32 v18, s43, v1
	s_waitcnt lgkmcnt(0)
	v_cmp_gt_i32_e32 vcc_lo, s35, v18
	s_cmp_gt_i32 s34, 0
	s_cselect_b32 s2, -1, 0
	s_delay_alu instid0(SALU_CYCLE_1) | instskip(NEXT) | instid1(SALU_CYCLE_1)
	s_and_b32 s2, vcc_lo, s2
	s_and_saveexec_b32 s3, s2
	s_cbranch_execz .LBB4_60
; %bb.1:
	s_clause 0x8
	s_load_b32 s40, s[0:1], 0x30
	s_load_b32 s41, s[0:1], 0x60
	;; [unrolled: 1-line block ×3, first 2 shown]
	s_load_b64 s[36:37], s[0:1], 0x88
	s_load_b64 s[38:39], s[0:1], 0x58
	s_load_b128 s[28:31], s[0:1], 0x98
	s_load_b256 s[4:11], s[0:1], 0x68
	s_load_b256 s[12:19], s[0:1], 0x38
	;; [unrolled: 1-line block ×3, first 2 shown]
	v_dual_mov_b32 v1, 0 :: v_dual_and_b32 v0, 15, v0
	s_addk_i32 s43, 0x400
	s_delay_alu instid0(SALU_CYCLE_1) | instskip(NEXT) | instid1(VALU_DEP_2)
	v_cmp_gt_u32_e64 s0, s43, v18
	v_cmp_eq_u32_e64 s1, 0, v0
	s_waitcnt lgkmcnt(0)
	v_subrev_nc_u32_e32 v19, s40, v0
	v_subrev_nc_u32_e32 v20, s41, v0
	;; [unrolled: 1-line block ×3, first 2 shown]
	s_branch .LBB4_3
.LBB4_2:                                ;   in Loop: Header=BB4_3 Depth=1
	s_or_b32 exec_lo, exec_lo, s3
	s_add_i32 s33, s33, 1
	s_delay_alu instid0(SALU_CYCLE_1)
	s_cmp_eq_u32 s33, s34
	s_cbranch_scc1 .LBB4_60
.LBB4_3:                                ; =>This Loop Header: Depth=1
                                        ;     Child Loop BB4_5 Depth 2
                                        ;       Child Loop BB4_9 Depth 3
                                        ;         Child Loop BB4_13 Depth 4
                                        ;         Child Loop BB4_31 Depth 4
	;; [unrolled: 1-line block ×3, first 2 shown]
                                        ;     Child Loop BB4_51 Depth 2
                                        ;       Child Loop BB4_54 Depth 3
                                        ;       Child Loop BB4_57 Depth 3
	s_mov_b32 s44, 0
	s_branch .LBB4_5
.LBB4_4:                                ;   in Loop: Header=BB4_5 Depth=2
	s_or_b32 exec_lo, exec_lo, s45
	s_add_i32 s44, s44, 1
	s_delay_alu instid0(SALU_CYCLE_1)
	s_cmp_eq_u32 s44, 16
	s_cbranch_scc1 .LBB4_48
.LBB4_5:                                ;   Parent Loop BB4_3 Depth=1
                                        ; =>  This Loop Header: Depth=2
                                        ;       Child Loop BB4_9 Depth 3
                                        ;         Child Loop BB4_13 Depth 4
                                        ;         Child Loop BB4_31 Depth 4
	;; [unrolled: 1-line block ×3, first 2 shown]
	v_lshl_add_u32 v2, s44, 6, v18
	s_mov_b32 s45, exec_lo
	s_delay_alu instid0(VALU_DEP_1)
	v_cmpx_gt_i32_e64 s35, v2
	s_cbranch_execz .LBB4_4
; %bb.6:                                ;   in Loop: Header=BB4_5 Depth=2
	v_ashrrev_i32_e32 v3, 31, v2
	s_delay_alu instid0(VALU_DEP_1) | instskip(NEXT) | instid1(VALU_DEP_1)
	v_lshlrev_b64 v[4:5], 2, v[2:3]
	v_add_co_u32 v6, vcc_lo, s20, v4
	s_delay_alu instid0(VALU_DEP_2)
	v_add_co_ci_u32_e32 v7, vcc_lo, s21, v5, vcc_lo
	v_add_co_u32 v8, vcc_lo, s22, v4
	v_add_co_ci_u32_e32 v9, vcc_lo, s23, v5, vcc_lo
	global_load_b32 v0, v[6:7], off
	global_load_b32 v6, v[8:9], off
	s_waitcnt vmcnt(1)
	v_add_nc_u32_e32 v3, v19, v0
	s_waitcnt vmcnt(0)
	v_subrev_nc_u32_e32 v22, s40, v6
	s_delay_alu instid0(VALU_DEP_1)
	v_cmp_lt_i32_e32 vcc_lo, v3, v22
	s_and_b32 exec_lo, exec_lo, vcc_lo
	s_cbranch_execz .LBB4_4
; %bb.7:                                ;   in Loop: Header=BB4_5 Depth=2
	v_add_co_u32 v6, vcc_lo, s12, v4
	v_add_co_ci_u32_e32 v7, vcc_lo, s13, v5, vcc_lo
	v_add_co_u32 v4, vcc_lo, s14, v4
	v_add_co_ci_u32_e32 v5, vcc_lo, s15, v5, vcc_lo
	global_load_b32 v0, v[6:7], off
	s_mov_b32 s46, 0
	global_load_b32 v4, v[4:5], off
	s_waitcnt vmcnt(1)
	v_subrev_nc_u32_e32 v5, s41, v0
	s_waitcnt vmcnt(0)
	v_sub_nc_u32_e32 v23, v4, v0
	s_delay_alu instid0(VALU_DEP_2) | instskip(NEXT) | instid1(VALU_DEP_2)
	v_ashrrev_i32_e32 v6, 31, v5
	v_cmp_lt_i32_e64 s2, 0, v23
	s_delay_alu instid0(VALU_DEP_2) | instskip(NEXT) | instid1(VALU_DEP_1)
	v_lshlrev_b64 v[6:7], 2, v[5:6]
	v_add_co_u32 v24, vcc_lo, s16, v6
	s_delay_alu instid0(VALU_DEP_2)
	v_add_co_ci_u32_e32 v25, vcc_lo, s17, v7, vcc_lo
	v_add_co_u32 v26, vcc_lo, s18, v6
	v_add_co_ci_u32_e32 v27, vcc_lo, s19, v7, vcc_lo
	s_branch .LBB4_9
.LBB4_8:                                ;   in Loop: Header=BB4_9 Depth=3
	s_or_b32 exec_lo, exec_lo, s47
	v_add_nc_u32_e32 v3, 16, v3
	s_delay_alu instid0(VALU_DEP_1) | instskip(SKIP_1) | instid1(SALU_CYCLE_1)
	v_cmp_ge_i32_e32 vcc_lo, v3, v22
	s_or_b32 s46, vcc_lo, s46
	s_and_not1_b32 exec_lo, exec_lo, s46
	s_cbranch_execz .LBB4_4
.LBB4_9:                                ;   Parent Loop BB4_3 Depth=1
                                        ;     Parent Loop BB4_5 Depth=2
                                        ; =>    This Loop Header: Depth=3
                                        ;         Child Loop BB4_13 Depth 4
                                        ;         Child Loop BB4_31 Depth 4
	;; [unrolled: 1-line block ×3, first 2 shown]
	v_ashrrev_i32_e32 v4, 31, v3
	s_delay_alu instid0(VALU_DEP_1) | instskip(SKIP_1) | instid1(VALU_DEP_2)
	v_lshlrev_b64 v[12:13], 2, v[3:4]
	v_mov_b32_e32 v4, 0
	v_add_co_u32 v6, vcc_lo, s24, v12
	s_delay_alu instid0(VALU_DEP_3) | instskip(SKIP_3) | instid1(VALU_DEP_1)
	v_add_co_ci_u32_e32 v7, vcc_lo, s25, v13, vcc_lo
	global_load_b32 v0, v[6:7], off
	s_waitcnt vmcnt(0)
	v_subrev_nc_u32_e32 v6, s40, v0
	v_ashrrev_i32_e32 v7, 31, v6
	s_delay_alu instid0(VALU_DEP_1) | instskip(NEXT) | instid1(VALU_DEP_1)
	v_lshlrev_b64 v[10:11], 2, v[6:7]
	v_add_co_u32 v7, vcc_lo, s4, v10
	s_delay_alu instid0(VALU_DEP_2)
	v_add_co_ci_u32_e32 v8, vcc_lo, s5, v11, vcc_lo
	v_add_co_u32 v14, vcc_lo, s6, v10
	v_add_co_ci_u32_e32 v15, vcc_lo, s7, v11, vcc_lo
	global_load_b32 v0, v[7:8], off
	global_load_b32 v9, v[14:15], off
	v_mov_b32_e32 v8, 0
	s_waitcnt vmcnt(1)
	v_subrev_nc_u32_e32 v7, s42, v0
	s_waitcnt vmcnt(0)
	v_sub_nc_u32_e32 v28, v9, v0
	v_mov_b32_e32 v0, 0
	s_and_saveexec_b32 s47, s2
	s_cbranch_execz .LBB4_17
; %bb.10:                               ;   in Loop: Header=BB4_9 Depth=3
	v_ashrrev_i32_e32 v8, 31, v7
	v_mov_b32_e32 v0, 0
	v_mov_b32_e32 v4, 0
	s_mov_b32 s48, 0
                                        ; implicit-def: $sgpr49
	s_delay_alu instid0(VALU_DEP_3) | instskip(NEXT) | instid1(VALU_DEP_1)
	v_lshlrev_b64 v[8:9], 2, v[7:8]
	v_add_co_u32 v29, vcc_lo, s8, v8
	s_delay_alu instid0(VALU_DEP_2)
	v_add_co_ci_u32_e32 v30, vcc_lo, s9, v9, vcc_lo
	v_add_co_u32 v31, vcc_lo, s10, v8
	v_add_co_ci_u32_e32 v32, vcc_lo, s11, v9, vcc_lo
	v_mov_b32_e32 v8, v0
	s_branch .LBB4_13
.LBB4_11:                               ;   in Loop: Header=BB4_13 Depth=4
	s_or_b32 exec_lo, exec_lo, s3
	v_cmp_le_i32_e32 vcc_lo, v9, v33
	v_cmp_ge_i32_e64 s3, v9, v33
	v_add_co_ci_u32_e32 v0, vcc_lo, 0, v0, vcc_lo
	s_delay_alu instid0(VALU_DEP_2) | instskip(SKIP_1) | instid1(VALU_DEP_2)
	v_add_co_ci_u32_e64 v8, s3, 0, v8, s3
	s_and_not1_b32 s3, s49, exec_lo
	v_cmp_ge_i32_e32 vcc_lo, v0, v23
	s_and_b32 s49, vcc_lo, exec_lo
	s_delay_alu instid0(SALU_CYCLE_1)
	s_or_b32 s49, s3, s49
.LBB4_12:                               ;   in Loop: Header=BB4_13 Depth=4
	s_or_b32 exec_lo, exec_lo, s50
	s_delay_alu instid0(SALU_CYCLE_1) | instskip(NEXT) | instid1(SALU_CYCLE_1)
	s_and_b32 s3, exec_lo, s49
	s_or_b32 s48, s3, s48
	s_delay_alu instid0(SALU_CYCLE_1)
	s_and_not1_b32 exec_lo, exec_lo, s48
	s_cbranch_execz .LBB4_16
.LBB4_13:                               ;   Parent Loop BB4_3 Depth=1
                                        ;     Parent Loop BB4_5 Depth=2
                                        ;       Parent Loop BB4_9 Depth=3
                                        ; =>      This Inner Loop Header: Depth=4
	s_or_b32 s49, s49, exec_lo
	s_mov_b32 s50, exec_lo
	s_delay_alu instid0(VALU_DEP_1)
	v_cmpx_lt_i32_e64 v8, v28
	s_cbranch_execz .LBB4_12
; %bb.14:                               ;   in Loop: Header=BB4_13 Depth=4
	v_mov_b32_e32 v9, v1
	v_lshlrev_b64 v[16:17], 2, v[0:1]
	s_mov_b32 s3, exec_lo
	s_delay_alu instid0(VALU_DEP_2) | instskip(NEXT) | instid1(VALU_DEP_2)
	v_lshlrev_b64 v[14:15], 2, v[8:9]
	v_add_co_u32 v33, vcc_lo, v24, v16
	s_delay_alu instid0(VALU_DEP_3) | instskip(NEXT) | instid1(VALU_DEP_3)
	v_add_co_ci_u32_e32 v34, vcc_lo, v25, v17, vcc_lo
	v_add_co_u32 v35, vcc_lo, v29, v14
	s_delay_alu instid0(VALU_DEP_4)
	v_add_co_ci_u32_e32 v36, vcc_lo, v30, v15, vcc_lo
	global_load_b32 v9, v[33:34], off
	global_load_b32 v33, v[35:36], off
	s_waitcnt vmcnt(1)
	v_subrev_nc_u32_e32 v9, s41, v9
	s_waitcnt vmcnt(0)
	v_subrev_nc_u32_e32 v33, s42, v33
	s_delay_alu instid0(VALU_DEP_1)
	v_cmpx_eq_u32_e64 v9, v33
	s_cbranch_execz .LBB4_11
; %bb.15:                               ;   in Loop: Header=BB4_13 Depth=4
	v_add_co_u32 v16, vcc_lo, v26, v16
	v_add_co_ci_u32_e32 v17, vcc_lo, v27, v17, vcc_lo
	v_add_co_u32 v14, vcc_lo, v31, v14
	v_add_co_ci_u32_e32 v15, vcc_lo, v32, v15, vcc_lo
	global_load_b32 v16, v[16:17], off
	global_load_b32 v14, v[14:15], off
	s_waitcnt vmcnt(0)
	v_fmac_f32_e32 v4, v16, v14
	s_branch .LBB4_11
.LBB4_16:                               ;   in Loop: Header=BB4_9 Depth=3
	s_or_b32 exec_lo, exec_lo, s48
.LBB4_17:                               ;   in Loop: Header=BB4_9 Depth=3
	s_delay_alu instid0(SALU_CYCLE_1)
	s_or_b32 exec_lo, exec_lo, s47
	v_add_co_u32 v12, vcc_lo, s26, v12
	v_add_co_ci_u32_e32 v13, vcc_lo, s27, v13, vcc_lo
	v_cmp_le_i32_e64 s3, v2, v6
	s_mov_b32 s47, exec_lo
	global_load_b32 v9, v[12:13], off
	s_waitcnt vmcnt(0)
	v_sub_f32_e32 v4, v9, v4
	v_cmpx_gt_i32_e64 v2, v6
	s_cbranch_execz .LBB4_21
; %bb.18:                               ;   in Loop: Header=BB4_9 Depth=3
	v_add_co_u32 v12, vcc_lo, s28, v10
	v_add_co_ci_u32_e32 v13, vcc_lo, s29, v11, vcc_lo
	s_mov_b32 s48, exec_lo
	global_load_b32 v9, v[12:13], off
	v_mov_b32_e32 v12, 0
	s_waitcnt vmcnt(0)
	v_cmpx_lg_f32_e32 0, v9
; %bb.19:                               ;   in Loop: Header=BB4_9 Depth=3
	v_div_scale_f32 v12, null, v9, v9, v4
	s_delay_alu instid0(VALU_DEP_1) | instskip(SKIP_2) | instid1(VALU_DEP_1)
	v_rcp_f32_e32 v13, v12
	s_waitcnt_depctr 0xfff
	v_fma_f32 v14, -v12, v13, 1.0
	v_fmac_f32_e32 v13, v14, v13
	v_div_scale_f32 v14, vcc_lo, v4, v9, v4
	s_delay_alu instid0(VALU_DEP_1) | instskip(NEXT) | instid1(VALU_DEP_1)
	v_mul_f32_e32 v15, v14, v13
	v_fma_f32 v16, -v12, v15, v14
	s_delay_alu instid0(VALU_DEP_1) | instskip(NEXT) | instid1(VALU_DEP_1)
	v_fmac_f32_e32 v15, v16, v13
	v_fma_f32 v12, -v12, v15, v14
	s_delay_alu instid0(VALU_DEP_1) | instskip(NEXT) | instid1(VALU_DEP_1)
	v_div_fmas_f32 v12, v12, v13, v15
	v_div_fixup_f32 v12, v12, v9, v4
; %bb.20:                               ;   in Loop: Header=BB4_9 Depth=3
	s_or_b32 exec_lo, exec_lo, s48
	s_delay_alu instid0(VALU_DEP_1)
	v_mov_b32_e32 v4, v12
.LBB4_21:                               ;   in Loop: Header=BB4_9 Depth=3
	s_or_b32 exec_lo, exec_lo, s47
	s_delay_alu instid0(VALU_DEP_1) | instskip(NEXT) | instid1(VALU_DEP_1)
	v_cmp_class_f32_e64 s48, v4, 0x1f8
	s_and_saveexec_b32 s47, s48
	s_cbranch_execz .LBB4_8
; %bb.22:                               ;   in Loop: Header=BB4_9 Depth=3
	s_mov_b32 s48, 0
                                        ; implicit-def: $vgpr12_vgpr13
	s_and_saveexec_b32 s49, s3
	s_delay_alu instid0(SALU_CYCLE_1)
	s_xor_b32 s3, exec_lo, s49
	s_cbranch_execnz .LBB4_25
; %bb.23:                               ;   in Loop: Header=BB4_9 Depth=3
	s_and_not1_saveexec_b32 s3, s3
	s_cbranch_execnz .LBB4_38
.LBB4_24:                               ;   in Loop: Header=BB4_9 Depth=3
	s_or_b32 exec_lo, exec_lo, s3
	s_delay_alu instid0(SALU_CYCLE_1)
	s_and_b32 exec_lo, exec_lo, s48
	s_cbranch_execz .LBB4_8
	s_branch .LBB4_47
.LBB4_25:                               ;   in Loop: Header=BB4_9 Depth=3
	s_mov_b32 s49, exec_lo
                                        ; implicit-def: $vgpr12_vgpr13
	v_cmpx_ge_i32_e64 v2, v6
	s_xor_b32 s49, exec_lo, s49
; %bb.26:                               ;   in Loop: Header=BB4_9 Depth=3
	v_add_co_u32 v12, vcc_lo, s30, v10
	s_mov_b32 s48, exec_lo
	v_add_co_ci_u32_e32 v13, vcc_lo, s31, v11, vcc_lo
                                        ; implicit-def: $vgpr8
                                        ; implicit-def: $vgpr28
                                        ; implicit-def: $vgpr7
; %bb.27:                               ;   in Loop: Header=BB4_9 Depth=3
	s_and_not1_saveexec_b32 s49, s49
	s_cbranch_execz .LBB4_37
; %bb.28:                               ;   in Loop: Header=BB4_9 Depth=3
	s_mov_b32 s51, s48
	s_mov_b32 s50, exec_lo
                                        ; implicit-def: $vgpr12_vgpr13
	v_cmpx_lt_i32_e64 v8, v28
	s_cbranch_execz .LBB4_36
; %bb.29:                               ;   in Loop: Header=BB4_9 Depth=3
	s_mov_b32 s52, 0
                                        ; implicit-def: $sgpr51
                                        ; implicit-def: $sgpr54
                                        ; implicit-def: $sgpr53
	s_set_inst_prefetch_distance 0x1
	s_branch .LBB4_31
	.p2align	6
.LBB4_30:                               ;   in Loop: Header=BB4_31 Depth=4
	s_or_b32 exec_lo, exec_lo, s55
	s_delay_alu instid0(SALU_CYCLE_1) | instskip(NEXT) | instid1(SALU_CYCLE_1)
	s_and_b32 s55, exec_lo, s54
	s_or_b32 s52, s55, s52
	s_and_not1_b32 s51, s51, exec_lo
	s_and_b32 s55, s53, exec_lo
	s_delay_alu instid0(SALU_CYCLE_1)
	s_or_b32 s51, s51, s55
	s_and_not1_b32 exec_lo, exec_lo, s52
	s_cbranch_execz .LBB4_33
.LBB4_31:                               ;   Parent Loop BB4_3 Depth=1
                                        ;     Parent Loop BB4_5 Depth=2
                                        ;       Parent Loop BB4_9 Depth=3
                                        ; =>      This Inner Loop Header: Depth=4
	v_add_nc_u32_e32 v9, v7, v8
	s_or_b32 s53, s53, exec_lo
	s_or_b32 s54, s54, exec_lo
	s_mov_b32 s55, exec_lo
	s_delay_alu instid0(VALU_DEP_1) | instskip(NEXT) | instid1(VALU_DEP_1)
	v_ashrrev_i32_e32 v10, 31, v9
	v_lshlrev_b64 v[9:10], 2, v[9:10]
	s_delay_alu instid0(VALU_DEP_1) | instskip(NEXT) | instid1(VALU_DEP_2)
	v_add_co_u32 v11, vcc_lo, s8, v9
	v_add_co_ci_u32_e32 v12, vcc_lo, s9, v10, vcc_lo
	global_load_b32 v0, v[11:12], off
	s_waitcnt vmcnt(0)
	v_subrev_nc_u32_e32 v0, s42, v0
	s_delay_alu instid0(VALU_DEP_1)
	v_cmpx_ne_u32_e64 v0, v2
	s_cbranch_execz .LBB4_30
; %bb.32:                               ;   in Loop: Header=BB4_31 Depth=4
	v_add_nc_u32_e32 v8, 1, v8
	s_and_not1_b32 s54, s54, exec_lo
	s_and_not1_b32 s53, s53, exec_lo
	s_delay_alu instid0(VALU_DEP_1) | instskip(SKIP_1) | instid1(SALU_CYCLE_1)
	v_cmp_ge_i32_e32 vcc_lo, v8, v28
	s_and_b32 s56, vcc_lo, exec_lo
	s_or_b32 s54, s54, s56
	s_branch .LBB4_30
.LBB4_33:                               ;   in Loop: Header=BB4_9 Depth=3
	s_set_inst_prefetch_distance 0x2
	s_or_b32 exec_lo, exec_lo, s52
	s_mov_b32 s52, s48
                                        ; implicit-def: $vgpr12_vgpr13
	s_and_saveexec_b32 s53, s51
	s_delay_alu instid0(SALU_CYCLE_1)
	s_xor_b32 s51, exec_lo, s53
; %bb.34:                               ;   in Loop: Header=BB4_9 Depth=3
	v_add_co_u32 v12, vcc_lo, s36, v9
	v_add_co_ci_u32_e32 v13, vcc_lo, s37, v10, vcc_lo
	s_or_b32 s52, s48, exec_lo
; %bb.35:                               ;   in Loop: Header=BB4_9 Depth=3
	s_or_b32 exec_lo, exec_lo, s51
	s_delay_alu instid0(SALU_CYCLE_1) | instskip(SKIP_1) | instid1(SALU_CYCLE_1)
	s_and_not1_b32 s51, s48, exec_lo
	s_and_b32 s52, s52, exec_lo
	s_or_b32 s51, s51, s52
.LBB4_36:                               ;   in Loop: Header=BB4_9 Depth=3
	s_or_b32 exec_lo, exec_lo, s50
	s_delay_alu instid0(SALU_CYCLE_1) | instskip(SKIP_1) | instid1(SALU_CYCLE_1)
	s_and_not1_b32 s48, s48, exec_lo
	s_and_b32 s50, s51, exec_lo
	s_or_b32 s48, s48, s50
.LBB4_37:                               ;   in Loop: Header=BB4_9 Depth=3
	s_or_b32 exec_lo, exec_lo, s49
	s_delay_alu instid0(SALU_CYCLE_1)
	s_and_b32 s48, s48, exec_lo
                                        ; implicit-def: $vgpr6_vgpr7
	s_and_not1_saveexec_b32 s3, s3
	s_cbranch_execz .LBB4_24
.LBB4_38:                               ;   in Loop: Header=BB4_9 Depth=3
	s_mov_b32 s50, s48
	s_mov_b32 s49, exec_lo
                                        ; implicit-def: $vgpr12_vgpr13
	v_cmpx_lt_i32_e64 v0, v23
	s_cbranch_execz .LBB4_46
; %bb.39:                               ;   in Loop: Header=BB4_9 Depth=3
	s_mov_b32 s51, 0
                                        ; implicit-def: $sgpr50
                                        ; implicit-def: $sgpr53
                                        ; implicit-def: $sgpr52
	s_set_inst_prefetch_distance 0x1
	s_branch .LBB4_41
	.p2align	6
.LBB4_40:                               ;   in Loop: Header=BB4_41 Depth=4
	s_or_b32 exec_lo, exec_lo, s54
	s_delay_alu instid0(SALU_CYCLE_1) | instskip(NEXT) | instid1(SALU_CYCLE_1)
	s_and_b32 s54, exec_lo, s53
	s_or_b32 s51, s54, s51
	s_and_not1_b32 s50, s50, exec_lo
	s_and_b32 s54, s52, exec_lo
	s_delay_alu instid0(SALU_CYCLE_1)
	s_or_b32 s50, s50, s54
	s_and_not1_b32 exec_lo, exec_lo, s51
	s_cbranch_execz .LBB4_43
.LBB4_41:                               ;   Parent Loop BB4_3 Depth=1
                                        ;     Parent Loop BB4_5 Depth=2
                                        ;       Parent Loop BB4_9 Depth=3
                                        ; =>      This Inner Loop Header: Depth=4
	v_add_nc_u32_e32 v7, v5, v0
	s_or_b32 s52, s52, exec_lo
	s_or_b32 s53, s53, exec_lo
	s_mov_b32 s54, exec_lo
	s_delay_alu instid0(VALU_DEP_1) | instskip(NEXT) | instid1(VALU_DEP_1)
	v_ashrrev_i32_e32 v8, 31, v7
	v_lshlrev_b64 v[7:8], 2, v[7:8]
	s_delay_alu instid0(VALU_DEP_1) | instskip(NEXT) | instid1(VALU_DEP_2)
	v_add_co_u32 v9, vcc_lo, s16, v7
	v_add_co_ci_u32_e32 v10, vcc_lo, s17, v8, vcc_lo
	global_load_b32 v9, v[9:10], off
	s_waitcnt vmcnt(0)
	v_subrev_nc_u32_e32 v9, s41, v9
	s_delay_alu instid0(VALU_DEP_1)
	v_cmpx_ne_u32_e64 v9, v6
	s_cbranch_execz .LBB4_40
; %bb.42:                               ;   in Loop: Header=BB4_41 Depth=4
	v_add_nc_u32_e32 v0, 1, v0
	s_and_not1_b32 s53, s53, exec_lo
	s_and_not1_b32 s52, s52, exec_lo
	s_delay_alu instid0(VALU_DEP_1) | instskip(SKIP_1) | instid1(SALU_CYCLE_1)
	v_cmp_ge_i32_e32 vcc_lo, v0, v23
	s_and_b32 s55, vcc_lo, exec_lo
	s_or_b32 s53, s53, s55
	s_branch .LBB4_40
.LBB4_43:                               ;   in Loop: Header=BB4_9 Depth=3
	s_set_inst_prefetch_distance 0x2
	s_or_b32 exec_lo, exec_lo, s51
	s_mov_b32 s51, s48
                                        ; implicit-def: $vgpr12_vgpr13
	s_and_saveexec_b32 s52, s50
	s_delay_alu instid0(SALU_CYCLE_1)
	s_xor_b32 s50, exec_lo, s52
; %bb.44:                               ;   in Loop: Header=BB4_9 Depth=3
	v_add_co_u32 v12, vcc_lo, s38, v7
	v_add_co_ci_u32_e32 v13, vcc_lo, s39, v8, vcc_lo
	s_or_b32 s51, s48, exec_lo
; %bb.45:                               ;   in Loop: Header=BB4_9 Depth=3
	s_or_b32 exec_lo, exec_lo, s50
	s_delay_alu instid0(SALU_CYCLE_1) | instskip(SKIP_1) | instid1(SALU_CYCLE_1)
	s_and_not1_b32 s50, s48, exec_lo
	s_and_b32 s51, s51, exec_lo
	s_or_b32 s50, s50, s51
.LBB4_46:                               ;   in Loop: Header=BB4_9 Depth=3
	s_or_b32 exec_lo, exec_lo, s49
	s_delay_alu instid0(SALU_CYCLE_1) | instskip(SKIP_1) | instid1(SALU_CYCLE_1)
	s_and_not1_b32 s48, s48, exec_lo
	s_and_b32 s49, s50, exec_lo
	s_or_b32 s48, s48, s49
	s_or_b32 exec_lo, exec_lo, s3
	s_delay_alu instid0(SALU_CYCLE_1)
	s_and_b32 exec_lo, exec_lo, s48
	s_cbranch_execz .LBB4_8
.LBB4_47:                               ;   in Loop: Header=BB4_9 Depth=3
	global_store_b32 v[12:13], v4, off
	s_branch .LBB4_8
.LBB4_48:                               ;   in Loop: Header=BB4_3 Depth=1
	s_and_saveexec_b32 s3, s0
	s_cbranch_execz .LBB4_2
; %bb.49:                               ;   in Loop: Header=BB4_3 Depth=1
	v_mov_b32_e32 v2, v18
	s_mov_b32 s44, 0
	s_branch .LBB4_51
.LBB4_50:                               ;   in Loop: Header=BB4_51 Depth=2
	s_or_b32 exec_lo, exec_lo, s45
	v_add_nc_u32_e32 v2, 64, v2
	s_delay_alu instid0(VALU_DEP_1) | instskip(SKIP_1) | instid1(SALU_CYCLE_1)
	v_cmp_le_u32_e32 vcc_lo, s43, v2
	s_or_b32 s44, vcc_lo, s44
	s_and_not1_b32 exec_lo, exec_lo, s44
	s_cbranch_execz .LBB4_2
.LBB4_51:                               ;   Parent Loop BB4_3 Depth=1
                                        ; =>  This Loop Header: Depth=2
                                        ;       Child Loop BB4_54 Depth 3
                                        ;       Child Loop BB4_57 Depth 3
	s_mov_b32 s45, exec_lo
	s_delay_alu instid0(VALU_DEP_1)
	v_cmpx_gt_i32_e64 s35, v2
	s_cbranch_execz .LBB4_50
; %bb.52:                               ;   in Loop: Header=BB4_51 Depth=2
	v_ashrrev_i32_e32 v3, 31, v2
	s_mov_b32 s46, exec_lo
	s_delay_alu instid0(VALU_DEP_1) | instskip(NEXT) | instid1(VALU_DEP_1)
	v_lshlrev_b64 v[3:4], 2, v[2:3]
	v_add_co_u32 v5, vcc_lo, s12, v3
	s_delay_alu instid0(VALU_DEP_2)
	v_add_co_ci_u32_e32 v6, vcc_lo, s13, v4, vcc_lo
	v_add_co_u32 v7, vcc_lo, s14, v3
	v_add_co_ci_u32_e32 v8, vcc_lo, s15, v4, vcc_lo
	global_load_b32 v0, v[5:6], off
	global_load_b32 v6, v[7:8], off
	s_waitcnt vmcnt(1)
	v_add_nc_u32_e32 v5, v20, v0
	s_waitcnt vmcnt(0)
	v_subrev_nc_u32_e32 v0, s41, v6
	s_delay_alu instid0(VALU_DEP_1)
	v_cmpx_lt_i32_e64 v5, v0
	s_cbranch_execz .LBB4_55
; %bb.53:                               ;   in Loop: Header=BB4_51 Depth=2
	v_ashrrev_i32_e32 v6, 31, v5
	s_mov_b32 s47, 0
	s_delay_alu instid0(VALU_DEP_1) | instskip(NEXT) | instid1(VALU_DEP_1)
	v_lshlrev_b64 v[8:9], 2, v[5:6]
	v_add_co_u32 v6, vcc_lo, s38, v8
	s_delay_alu instid0(VALU_DEP_2)
	v_add_co_ci_u32_e32 v7, vcc_lo, s39, v9, vcc_lo
	v_add_co_u32 v8, vcc_lo, s18, v8
	v_add_co_ci_u32_e32 v9, vcc_lo, s19, v9, vcc_lo
.LBB4_54:                               ;   Parent Loop BB4_3 Depth=1
                                        ;     Parent Loop BB4_51 Depth=2
                                        ; =>    This Inner Loop Header: Depth=3
	global_load_b32 v10, v[6:7], off
	v_add_nc_u32_e32 v5, 16, v5
	v_add_co_u32 v6, vcc_lo, v6, 64
	v_add_co_ci_u32_e32 v7, vcc_lo, 0, v7, vcc_lo
	s_delay_alu instid0(VALU_DEP_3) | instskip(SKIP_4) | instid1(VALU_DEP_1)
	v_cmp_ge_i32_e32 vcc_lo, v5, v0
	s_or_b32 s47, vcc_lo, s47
	s_waitcnt vmcnt(0)
	global_store_b32 v[8:9], v10, off
	v_add_co_u32 v8, s2, v8, 64
	v_add_co_ci_u32_e64 v9, s2, 0, v9, s2
	s_and_not1_b32 exec_lo, exec_lo, s47
	s_cbranch_execnz .LBB4_54
.LBB4_55:                               ;   in Loop: Header=BB4_51 Depth=2
	s_or_b32 exec_lo, exec_lo, s46
	v_add_co_u32 v5, vcc_lo, s4, v3
	v_add_co_ci_u32_e32 v6, vcc_lo, s5, v4, vcc_lo
	v_add_co_u32 v7, vcc_lo, s6, v3
	v_add_co_ci_u32_e32 v8, vcc_lo, s7, v4, vcc_lo
	s_mov_b32 s46, exec_lo
	global_load_b32 v0, v[5:6], off
	global_load_b32 v6, v[7:8], off
	s_waitcnt vmcnt(1)
	v_add_nc_u32_e32 v5, v21, v0
	s_waitcnt vmcnt(0)
	v_subrev_nc_u32_e32 v0, s42, v6
	s_delay_alu instid0(VALU_DEP_1)
	v_cmpx_lt_i32_e64 v5, v0
	s_cbranch_execz .LBB4_58
; %bb.56:                               ;   in Loop: Header=BB4_51 Depth=2
	v_ashrrev_i32_e32 v6, 31, v5
	s_mov_b32 s47, 0
	s_delay_alu instid0(VALU_DEP_1) | instskip(NEXT) | instid1(VALU_DEP_1)
	v_lshlrev_b64 v[8:9], 2, v[5:6]
	v_add_co_u32 v6, vcc_lo, s36, v8
	s_delay_alu instid0(VALU_DEP_2)
	v_add_co_ci_u32_e32 v7, vcc_lo, s37, v9, vcc_lo
	v_add_co_u32 v8, vcc_lo, s10, v8
	v_add_co_ci_u32_e32 v9, vcc_lo, s11, v9, vcc_lo
.LBB4_57:                               ;   Parent Loop BB4_3 Depth=1
                                        ;     Parent Loop BB4_51 Depth=2
                                        ; =>    This Inner Loop Header: Depth=3
	global_load_b32 v10, v[6:7], off
	v_add_nc_u32_e32 v5, 16, v5
	v_add_co_u32 v6, vcc_lo, v6, 64
	v_add_co_ci_u32_e32 v7, vcc_lo, 0, v7, vcc_lo
	s_delay_alu instid0(VALU_DEP_3) | instskip(SKIP_4) | instid1(VALU_DEP_1)
	v_cmp_ge_i32_e32 vcc_lo, v5, v0
	s_or_b32 s47, vcc_lo, s47
	s_waitcnt vmcnt(0)
	global_store_b32 v[8:9], v10, off
	v_add_co_u32 v8, s2, v8, 64
	v_add_co_ci_u32_e64 v9, s2, 0, v9, s2
	s_and_not1_b32 exec_lo, exec_lo, s47
	s_cbranch_execnz .LBB4_57
.LBB4_58:                               ;   in Loop: Header=BB4_51 Depth=2
	s_or_b32 exec_lo, exec_lo, s46
	s_delay_alu instid0(SALU_CYCLE_1)
	s_and_b32 exec_lo, exec_lo, s1
	s_cbranch_execz .LBB4_50
; %bb.59:                               ;   in Loop: Header=BB4_51 Depth=2
	v_add_co_u32 v5, vcc_lo, s30, v3
	v_add_co_ci_u32_e32 v6, vcc_lo, s31, v4, vcc_lo
	v_add_co_u32 v3, vcc_lo, s28, v3
	v_add_co_ci_u32_e32 v4, vcc_lo, s29, v4, vcc_lo
	global_load_b32 v0, v[5:6], off
	s_waitcnt vmcnt(0)
	global_store_b32 v[3:4], v0, off
	s_branch .LBB4_50
.LBB4_60:
	s_nop 0
	s_sendmsg sendmsg(MSG_DEALLOC_VGPRS)
	s_endpgm
	.section	.rodata,"a",@progbits
	.p2align	6, 0x0
	.amdhsa_kernel _ZN9rocsparseL14kernel_freerunILi1024ELi16EfiiEEvT3_S1_T2_PKS2_S4_PKS1_PKT1_21rocsparse_index_base_S4_S4_S6_PS7_SB_SA_S4_S4_S6_SB_SB_SA_SB_SB_
		.amdhsa_group_segment_fixed_size 0
		.amdhsa_private_segment_fixed_size 0
		.amdhsa_kernarg_size 168
		.amdhsa_user_sgpr_count 15
		.amdhsa_user_sgpr_dispatch_ptr 0
		.amdhsa_user_sgpr_queue_ptr 0
		.amdhsa_user_sgpr_kernarg_segment_ptr 1
		.amdhsa_user_sgpr_dispatch_id 0
		.amdhsa_user_sgpr_private_segment_size 0
		.amdhsa_wavefront_size32 1
		.amdhsa_uses_dynamic_stack 0
		.amdhsa_enable_private_segment 0
		.amdhsa_system_sgpr_workgroup_id_x 1
		.amdhsa_system_sgpr_workgroup_id_y 0
		.amdhsa_system_sgpr_workgroup_id_z 0
		.amdhsa_system_sgpr_workgroup_info 0
		.amdhsa_system_vgpr_workitem_id 0
		.amdhsa_next_free_vgpr 37
		.amdhsa_next_free_sgpr 57
		.amdhsa_reserve_vcc 1
		.amdhsa_float_round_mode_32 0
		.amdhsa_float_round_mode_16_64 0
		.amdhsa_float_denorm_mode_32 3
		.amdhsa_float_denorm_mode_16_64 3
		.amdhsa_dx10_clamp 1
		.amdhsa_ieee_mode 1
		.amdhsa_fp16_overflow 0
		.amdhsa_workgroup_processor_mode 1
		.amdhsa_memory_ordered 1
		.amdhsa_forward_progress 0
		.amdhsa_shared_vgpr_count 0
		.amdhsa_exception_fp_ieee_invalid_op 0
		.amdhsa_exception_fp_denorm_src 0
		.amdhsa_exception_fp_ieee_div_zero 0
		.amdhsa_exception_fp_ieee_overflow 0
		.amdhsa_exception_fp_ieee_underflow 0
		.amdhsa_exception_fp_ieee_inexact 0
		.amdhsa_exception_int_div_zero 0
	.end_amdhsa_kernel
	.section	.text._ZN9rocsparseL14kernel_freerunILi1024ELi16EfiiEEvT3_S1_T2_PKS2_S4_PKS1_PKT1_21rocsparse_index_base_S4_S4_S6_PS7_SB_SA_S4_S4_S6_SB_SB_SA_SB_SB_,"axG",@progbits,_ZN9rocsparseL14kernel_freerunILi1024ELi16EfiiEEvT3_S1_T2_PKS2_S4_PKS1_PKT1_21rocsparse_index_base_S4_S4_S6_PS7_SB_SA_S4_S4_S6_SB_SB_SA_SB_SB_,comdat
.Lfunc_end4:
	.size	_ZN9rocsparseL14kernel_freerunILi1024ELi16EfiiEEvT3_S1_T2_PKS2_S4_PKS1_PKT1_21rocsparse_index_base_S4_S4_S6_PS7_SB_SA_S4_S4_S6_SB_SB_SA_SB_SB_, .Lfunc_end4-_ZN9rocsparseL14kernel_freerunILi1024ELi16EfiiEEvT3_S1_T2_PKS2_S4_PKS1_PKT1_21rocsparse_index_base_S4_S4_S6_PS7_SB_SA_S4_S4_S6_SB_SB_SA_SB_SB_
                                        ; -- End function
	.section	.AMDGPU.csdata,"",@progbits
; Kernel info:
; codeLenInByte = 2432
; NumSgprs: 59
; NumVgprs: 37
; ScratchSize: 0
; MemoryBound: 0
; FloatMode: 240
; IeeeMode: 1
; LDSByteSize: 0 bytes/workgroup (compile time only)
; SGPRBlocks: 7
; VGPRBlocks: 4
; NumSGPRsForWavesPerEU: 59
; NumVGPRsForWavesPerEU: 37
; Occupancy: 16
; WaveLimiterHint : 1
; COMPUTE_PGM_RSRC2:SCRATCH_EN: 0
; COMPUTE_PGM_RSRC2:USER_SGPR: 15
; COMPUTE_PGM_RSRC2:TRAP_HANDLER: 0
; COMPUTE_PGM_RSRC2:TGID_X_EN: 1
; COMPUTE_PGM_RSRC2:TGID_Y_EN: 0
; COMPUTE_PGM_RSRC2:TGID_Z_EN: 0
; COMPUTE_PGM_RSRC2:TIDIG_COMP_CNT: 0
	.section	.text._ZN9rocsparseL14kernel_freerunILi1024ELi32EfiiEEvT3_S1_T2_PKS2_S4_PKS1_PKT1_21rocsparse_index_base_S4_S4_S6_PS7_SB_SA_S4_S4_S6_SB_SB_SA_SB_SB_,"axG",@progbits,_ZN9rocsparseL14kernel_freerunILi1024ELi32EfiiEEvT3_S1_T2_PKS2_S4_PKS1_PKT1_21rocsparse_index_base_S4_S4_S6_PS7_SB_SA_S4_S4_S6_SB_SB_SA_SB_SB_,comdat
	.globl	_ZN9rocsparseL14kernel_freerunILi1024ELi32EfiiEEvT3_S1_T2_PKS2_S4_PKS1_PKT1_21rocsparse_index_base_S4_S4_S6_PS7_SB_SA_S4_S4_S6_SB_SB_SA_SB_SB_ ; -- Begin function _ZN9rocsparseL14kernel_freerunILi1024ELi32EfiiEEvT3_S1_T2_PKS2_S4_PKS1_PKT1_21rocsparse_index_base_S4_S4_S6_PS7_SB_SA_S4_S4_S6_SB_SB_SA_SB_SB_
	.p2align	8
	.type	_ZN9rocsparseL14kernel_freerunILi1024ELi32EfiiEEvT3_S1_T2_PKS2_S4_PKS1_PKT1_21rocsparse_index_base_S4_S4_S6_PS7_SB_SA_S4_S4_S6_SB_SB_SA_SB_SB_,@function
_ZN9rocsparseL14kernel_freerunILi1024ELi32EfiiEEvT3_S1_T2_PKS2_S4_PKS1_PKT1_21rocsparse_index_base_S4_S4_S6_PS7_SB_SA_S4_S4_S6_SB_SB_SA_SB_SB_: ; @_ZN9rocsparseL14kernel_freerunILi1024ELi32EfiiEEvT3_S1_T2_PKS2_S4_PKS1_PKT1_21rocsparse_index_base_S4_S4_S6_PS7_SB_SA_S4_S4_S6_SB_SB_SA_SB_SB_
; %bb.0:
	s_load_b64 s[34:35], s[0:1], 0x0
	v_lshrrev_b32_e32 v1, 5, v0
	s_lshl_b32 s43, s15, 10
	s_mov_b32 s33, 0
	s_delay_alu instid0(VALU_DEP_1) | instskip(SKIP_1) | instid1(VALU_DEP_1)
	v_or_b32_e32 v18, s43, v1
	s_waitcnt lgkmcnt(0)
	v_cmp_gt_i32_e32 vcc_lo, s35, v18
	s_cmp_gt_i32 s34, 0
	s_cselect_b32 s2, -1, 0
	s_delay_alu instid0(SALU_CYCLE_1) | instskip(NEXT) | instid1(SALU_CYCLE_1)
	s_and_b32 s2, vcc_lo, s2
	s_and_saveexec_b32 s3, s2
	s_cbranch_execz .LBB5_60
; %bb.1:
	s_clause 0x8
	s_load_b32 s40, s[0:1], 0x30
	s_load_b32 s41, s[0:1], 0x60
	;; [unrolled: 1-line block ×3, first 2 shown]
	s_load_b64 s[36:37], s[0:1], 0x88
	s_load_b64 s[38:39], s[0:1], 0x58
	s_load_b128 s[28:31], s[0:1], 0x98
	s_load_b256 s[4:11], s[0:1], 0x68
	s_load_b256 s[12:19], s[0:1], 0x38
	;; [unrolled: 1-line block ×3, first 2 shown]
	v_dual_mov_b32 v1, 0 :: v_dual_and_b32 v0, 31, v0
	s_addk_i32 s43, 0x400
	s_delay_alu instid0(SALU_CYCLE_1) | instskip(NEXT) | instid1(VALU_DEP_2)
	v_cmp_gt_u32_e64 s0, s43, v18
	v_cmp_eq_u32_e64 s1, 0, v0
	s_waitcnt lgkmcnt(0)
	v_subrev_nc_u32_e32 v19, s40, v0
	v_subrev_nc_u32_e32 v20, s41, v0
	;; [unrolled: 1-line block ×3, first 2 shown]
	s_branch .LBB5_3
.LBB5_2:                                ;   in Loop: Header=BB5_3 Depth=1
	s_or_b32 exec_lo, exec_lo, s3
	s_add_i32 s33, s33, 1
	s_delay_alu instid0(SALU_CYCLE_1)
	s_cmp_eq_u32 s33, s34
	s_cbranch_scc1 .LBB5_60
.LBB5_3:                                ; =>This Loop Header: Depth=1
                                        ;     Child Loop BB5_5 Depth 2
                                        ;       Child Loop BB5_9 Depth 3
                                        ;         Child Loop BB5_13 Depth 4
                                        ;         Child Loop BB5_31 Depth 4
	;; [unrolled: 1-line block ×3, first 2 shown]
                                        ;     Child Loop BB5_51 Depth 2
                                        ;       Child Loop BB5_54 Depth 3
                                        ;       Child Loop BB5_57 Depth 3
	s_mov_b32 s44, 0
	s_branch .LBB5_5
.LBB5_4:                                ;   in Loop: Header=BB5_5 Depth=2
	s_or_b32 exec_lo, exec_lo, s45
	s_add_i32 s44, s44, 1
	s_delay_alu instid0(SALU_CYCLE_1)
	s_cmp_eq_u32 s44, 32
	s_cbranch_scc1 .LBB5_48
.LBB5_5:                                ;   Parent Loop BB5_3 Depth=1
                                        ; =>  This Loop Header: Depth=2
                                        ;       Child Loop BB5_9 Depth 3
                                        ;         Child Loop BB5_13 Depth 4
                                        ;         Child Loop BB5_31 Depth 4
	;; [unrolled: 1-line block ×3, first 2 shown]
	v_lshl_add_u32 v2, s44, 5, v18
	s_mov_b32 s45, exec_lo
	s_delay_alu instid0(VALU_DEP_1)
	v_cmpx_gt_i32_e64 s35, v2
	s_cbranch_execz .LBB5_4
; %bb.6:                                ;   in Loop: Header=BB5_5 Depth=2
	v_ashrrev_i32_e32 v3, 31, v2
	s_delay_alu instid0(VALU_DEP_1) | instskip(NEXT) | instid1(VALU_DEP_1)
	v_lshlrev_b64 v[4:5], 2, v[2:3]
	v_add_co_u32 v6, vcc_lo, s20, v4
	s_delay_alu instid0(VALU_DEP_2)
	v_add_co_ci_u32_e32 v7, vcc_lo, s21, v5, vcc_lo
	v_add_co_u32 v8, vcc_lo, s22, v4
	v_add_co_ci_u32_e32 v9, vcc_lo, s23, v5, vcc_lo
	global_load_b32 v0, v[6:7], off
	global_load_b32 v6, v[8:9], off
	s_waitcnt vmcnt(1)
	v_add_nc_u32_e32 v3, v19, v0
	s_waitcnt vmcnt(0)
	v_subrev_nc_u32_e32 v22, s40, v6
	s_delay_alu instid0(VALU_DEP_1)
	v_cmp_lt_i32_e32 vcc_lo, v3, v22
	s_and_b32 exec_lo, exec_lo, vcc_lo
	s_cbranch_execz .LBB5_4
; %bb.7:                                ;   in Loop: Header=BB5_5 Depth=2
	v_add_co_u32 v6, vcc_lo, s12, v4
	v_add_co_ci_u32_e32 v7, vcc_lo, s13, v5, vcc_lo
	v_add_co_u32 v4, vcc_lo, s14, v4
	v_add_co_ci_u32_e32 v5, vcc_lo, s15, v5, vcc_lo
	global_load_b32 v0, v[6:7], off
	s_mov_b32 s46, 0
	global_load_b32 v4, v[4:5], off
	s_waitcnt vmcnt(1)
	v_subrev_nc_u32_e32 v5, s41, v0
	s_waitcnt vmcnt(0)
	v_sub_nc_u32_e32 v23, v4, v0
	s_delay_alu instid0(VALU_DEP_2) | instskip(NEXT) | instid1(VALU_DEP_2)
	v_ashrrev_i32_e32 v6, 31, v5
	v_cmp_lt_i32_e64 s2, 0, v23
	s_delay_alu instid0(VALU_DEP_2) | instskip(NEXT) | instid1(VALU_DEP_1)
	v_lshlrev_b64 v[6:7], 2, v[5:6]
	v_add_co_u32 v24, vcc_lo, s16, v6
	s_delay_alu instid0(VALU_DEP_2)
	v_add_co_ci_u32_e32 v25, vcc_lo, s17, v7, vcc_lo
	v_add_co_u32 v26, vcc_lo, s18, v6
	v_add_co_ci_u32_e32 v27, vcc_lo, s19, v7, vcc_lo
	s_branch .LBB5_9
.LBB5_8:                                ;   in Loop: Header=BB5_9 Depth=3
	s_or_b32 exec_lo, exec_lo, s47
	v_add_nc_u32_e32 v3, 32, v3
	s_delay_alu instid0(VALU_DEP_1) | instskip(SKIP_1) | instid1(SALU_CYCLE_1)
	v_cmp_ge_i32_e32 vcc_lo, v3, v22
	s_or_b32 s46, vcc_lo, s46
	s_and_not1_b32 exec_lo, exec_lo, s46
	s_cbranch_execz .LBB5_4
.LBB5_9:                                ;   Parent Loop BB5_3 Depth=1
                                        ;     Parent Loop BB5_5 Depth=2
                                        ; =>    This Loop Header: Depth=3
                                        ;         Child Loop BB5_13 Depth 4
                                        ;         Child Loop BB5_31 Depth 4
	;; [unrolled: 1-line block ×3, first 2 shown]
	v_ashrrev_i32_e32 v4, 31, v3
	s_delay_alu instid0(VALU_DEP_1) | instskip(SKIP_1) | instid1(VALU_DEP_2)
	v_lshlrev_b64 v[12:13], 2, v[3:4]
	v_mov_b32_e32 v4, 0
	v_add_co_u32 v6, vcc_lo, s24, v12
	s_delay_alu instid0(VALU_DEP_3) | instskip(SKIP_3) | instid1(VALU_DEP_1)
	v_add_co_ci_u32_e32 v7, vcc_lo, s25, v13, vcc_lo
	global_load_b32 v0, v[6:7], off
	s_waitcnt vmcnt(0)
	v_subrev_nc_u32_e32 v6, s40, v0
	v_ashrrev_i32_e32 v7, 31, v6
	s_delay_alu instid0(VALU_DEP_1) | instskip(NEXT) | instid1(VALU_DEP_1)
	v_lshlrev_b64 v[10:11], 2, v[6:7]
	v_add_co_u32 v7, vcc_lo, s4, v10
	s_delay_alu instid0(VALU_DEP_2)
	v_add_co_ci_u32_e32 v8, vcc_lo, s5, v11, vcc_lo
	v_add_co_u32 v14, vcc_lo, s6, v10
	v_add_co_ci_u32_e32 v15, vcc_lo, s7, v11, vcc_lo
	global_load_b32 v0, v[7:8], off
	global_load_b32 v9, v[14:15], off
	v_mov_b32_e32 v8, 0
	s_waitcnt vmcnt(1)
	v_subrev_nc_u32_e32 v7, s42, v0
	s_waitcnt vmcnt(0)
	v_sub_nc_u32_e32 v28, v9, v0
	v_mov_b32_e32 v0, 0
	s_and_saveexec_b32 s47, s2
	s_cbranch_execz .LBB5_17
; %bb.10:                               ;   in Loop: Header=BB5_9 Depth=3
	v_ashrrev_i32_e32 v8, 31, v7
	v_mov_b32_e32 v0, 0
	v_mov_b32_e32 v4, 0
	s_mov_b32 s48, 0
                                        ; implicit-def: $sgpr49
	s_delay_alu instid0(VALU_DEP_3) | instskip(NEXT) | instid1(VALU_DEP_1)
	v_lshlrev_b64 v[8:9], 2, v[7:8]
	v_add_co_u32 v29, vcc_lo, s8, v8
	s_delay_alu instid0(VALU_DEP_2)
	v_add_co_ci_u32_e32 v30, vcc_lo, s9, v9, vcc_lo
	v_add_co_u32 v31, vcc_lo, s10, v8
	v_add_co_ci_u32_e32 v32, vcc_lo, s11, v9, vcc_lo
	v_mov_b32_e32 v8, v0
	s_branch .LBB5_13
.LBB5_11:                               ;   in Loop: Header=BB5_13 Depth=4
	s_or_b32 exec_lo, exec_lo, s3
	v_cmp_le_i32_e32 vcc_lo, v9, v33
	v_cmp_ge_i32_e64 s3, v9, v33
	v_add_co_ci_u32_e32 v0, vcc_lo, 0, v0, vcc_lo
	s_delay_alu instid0(VALU_DEP_2) | instskip(SKIP_1) | instid1(VALU_DEP_2)
	v_add_co_ci_u32_e64 v8, s3, 0, v8, s3
	s_and_not1_b32 s3, s49, exec_lo
	v_cmp_ge_i32_e32 vcc_lo, v0, v23
	s_and_b32 s49, vcc_lo, exec_lo
	s_delay_alu instid0(SALU_CYCLE_1)
	s_or_b32 s49, s3, s49
.LBB5_12:                               ;   in Loop: Header=BB5_13 Depth=4
	s_or_b32 exec_lo, exec_lo, s50
	s_delay_alu instid0(SALU_CYCLE_1) | instskip(NEXT) | instid1(SALU_CYCLE_1)
	s_and_b32 s3, exec_lo, s49
	s_or_b32 s48, s3, s48
	s_delay_alu instid0(SALU_CYCLE_1)
	s_and_not1_b32 exec_lo, exec_lo, s48
	s_cbranch_execz .LBB5_16
.LBB5_13:                               ;   Parent Loop BB5_3 Depth=1
                                        ;     Parent Loop BB5_5 Depth=2
                                        ;       Parent Loop BB5_9 Depth=3
                                        ; =>      This Inner Loop Header: Depth=4
	s_or_b32 s49, s49, exec_lo
	s_mov_b32 s50, exec_lo
	s_delay_alu instid0(VALU_DEP_1)
	v_cmpx_lt_i32_e64 v8, v28
	s_cbranch_execz .LBB5_12
; %bb.14:                               ;   in Loop: Header=BB5_13 Depth=4
	v_mov_b32_e32 v9, v1
	v_lshlrev_b64 v[16:17], 2, v[0:1]
	s_mov_b32 s3, exec_lo
	s_delay_alu instid0(VALU_DEP_2) | instskip(NEXT) | instid1(VALU_DEP_2)
	v_lshlrev_b64 v[14:15], 2, v[8:9]
	v_add_co_u32 v33, vcc_lo, v24, v16
	s_delay_alu instid0(VALU_DEP_3) | instskip(NEXT) | instid1(VALU_DEP_3)
	v_add_co_ci_u32_e32 v34, vcc_lo, v25, v17, vcc_lo
	v_add_co_u32 v35, vcc_lo, v29, v14
	s_delay_alu instid0(VALU_DEP_4)
	v_add_co_ci_u32_e32 v36, vcc_lo, v30, v15, vcc_lo
	global_load_b32 v9, v[33:34], off
	global_load_b32 v33, v[35:36], off
	s_waitcnt vmcnt(1)
	v_subrev_nc_u32_e32 v9, s41, v9
	s_waitcnt vmcnt(0)
	v_subrev_nc_u32_e32 v33, s42, v33
	s_delay_alu instid0(VALU_DEP_1)
	v_cmpx_eq_u32_e64 v9, v33
	s_cbranch_execz .LBB5_11
; %bb.15:                               ;   in Loop: Header=BB5_13 Depth=4
	v_add_co_u32 v16, vcc_lo, v26, v16
	v_add_co_ci_u32_e32 v17, vcc_lo, v27, v17, vcc_lo
	v_add_co_u32 v14, vcc_lo, v31, v14
	v_add_co_ci_u32_e32 v15, vcc_lo, v32, v15, vcc_lo
	global_load_b32 v16, v[16:17], off
	global_load_b32 v14, v[14:15], off
	s_waitcnt vmcnt(0)
	v_fmac_f32_e32 v4, v16, v14
	s_branch .LBB5_11
.LBB5_16:                               ;   in Loop: Header=BB5_9 Depth=3
	s_or_b32 exec_lo, exec_lo, s48
.LBB5_17:                               ;   in Loop: Header=BB5_9 Depth=3
	s_delay_alu instid0(SALU_CYCLE_1)
	s_or_b32 exec_lo, exec_lo, s47
	v_add_co_u32 v12, vcc_lo, s26, v12
	v_add_co_ci_u32_e32 v13, vcc_lo, s27, v13, vcc_lo
	v_cmp_le_i32_e64 s3, v2, v6
	s_mov_b32 s47, exec_lo
	global_load_b32 v9, v[12:13], off
	s_waitcnt vmcnt(0)
	v_sub_f32_e32 v4, v9, v4
	v_cmpx_gt_i32_e64 v2, v6
	s_cbranch_execz .LBB5_21
; %bb.18:                               ;   in Loop: Header=BB5_9 Depth=3
	v_add_co_u32 v12, vcc_lo, s28, v10
	v_add_co_ci_u32_e32 v13, vcc_lo, s29, v11, vcc_lo
	s_mov_b32 s48, exec_lo
	global_load_b32 v9, v[12:13], off
	v_mov_b32_e32 v12, 0
	s_waitcnt vmcnt(0)
	v_cmpx_lg_f32_e32 0, v9
; %bb.19:                               ;   in Loop: Header=BB5_9 Depth=3
	v_div_scale_f32 v12, null, v9, v9, v4
	s_delay_alu instid0(VALU_DEP_1) | instskip(SKIP_2) | instid1(VALU_DEP_1)
	v_rcp_f32_e32 v13, v12
	s_waitcnt_depctr 0xfff
	v_fma_f32 v14, -v12, v13, 1.0
	v_fmac_f32_e32 v13, v14, v13
	v_div_scale_f32 v14, vcc_lo, v4, v9, v4
	s_delay_alu instid0(VALU_DEP_1) | instskip(NEXT) | instid1(VALU_DEP_1)
	v_mul_f32_e32 v15, v14, v13
	v_fma_f32 v16, -v12, v15, v14
	s_delay_alu instid0(VALU_DEP_1) | instskip(NEXT) | instid1(VALU_DEP_1)
	v_fmac_f32_e32 v15, v16, v13
	v_fma_f32 v12, -v12, v15, v14
	s_delay_alu instid0(VALU_DEP_1) | instskip(NEXT) | instid1(VALU_DEP_1)
	v_div_fmas_f32 v12, v12, v13, v15
	v_div_fixup_f32 v12, v12, v9, v4
; %bb.20:                               ;   in Loop: Header=BB5_9 Depth=3
	s_or_b32 exec_lo, exec_lo, s48
	s_delay_alu instid0(VALU_DEP_1)
	v_mov_b32_e32 v4, v12
.LBB5_21:                               ;   in Loop: Header=BB5_9 Depth=3
	s_or_b32 exec_lo, exec_lo, s47
	s_delay_alu instid0(VALU_DEP_1) | instskip(NEXT) | instid1(VALU_DEP_1)
	v_cmp_class_f32_e64 s48, v4, 0x1f8
	s_and_saveexec_b32 s47, s48
	s_cbranch_execz .LBB5_8
; %bb.22:                               ;   in Loop: Header=BB5_9 Depth=3
	s_mov_b32 s48, 0
                                        ; implicit-def: $vgpr12_vgpr13
	s_and_saveexec_b32 s49, s3
	s_delay_alu instid0(SALU_CYCLE_1)
	s_xor_b32 s3, exec_lo, s49
	s_cbranch_execnz .LBB5_25
; %bb.23:                               ;   in Loop: Header=BB5_9 Depth=3
	s_and_not1_saveexec_b32 s3, s3
	s_cbranch_execnz .LBB5_38
.LBB5_24:                               ;   in Loop: Header=BB5_9 Depth=3
	s_or_b32 exec_lo, exec_lo, s3
	s_delay_alu instid0(SALU_CYCLE_1)
	s_and_b32 exec_lo, exec_lo, s48
	s_cbranch_execz .LBB5_8
	s_branch .LBB5_47
.LBB5_25:                               ;   in Loop: Header=BB5_9 Depth=3
	s_mov_b32 s49, exec_lo
                                        ; implicit-def: $vgpr12_vgpr13
	v_cmpx_ge_i32_e64 v2, v6
	s_xor_b32 s49, exec_lo, s49
; %bb.26:                               ;   in Loop: Header=BB5_9 Depth=3
	v_add_co_u32 v12, vcc_lo, s30, v10
	s_mov_b32 s48, exec_lo
	v_add_co_ci_u32_e32 v13, vcc_lo, s31, v11, vcc_lo
                                        ; implicit-def: $vgpr8
                                        ; implicit-def: $vgpr28
                                        ; implicit-def: $vgpr7
; %bb.27:                               ;   in Loop: Header=BB5_9 Depth=3
	s_and_not1_saveexec_b32 s49, s49
	s_cbranch_execz .LBB5_37
; %bb.28:                               ;   in Loop: Header=BB5_9 Depth=3
	s_mov_b32 s51, s48
	s_mov_b32 s50, exec_lo
                                        ; implicit-def: $vgpr12_vgpr13
	v_cmpx_lt_i32_e64 v8, v28
	s_cbranch_execz .LBB5_36
; %bb.29:                               ;   in Loop: Header=BB5_9 Depth=3
	s_mov_b32 s52, 0
                                        ; implicit-def: $sgpr51
                                        ; implicit-def: $sgpr54
                                        ; implicit-def: $sgpr53
	s_set_inst_prefetch_distance 0x1
	s_branch .LBB5_31
	.p2align	6
.LBB5_30:                               ;   in Loop: Header=BB5_31 Depth=4
	s_or_b32 exec_lo, exec_lo, s55
	s_delay_alu instid0(SALU_CYCLE_1) | instskip(NEXT) | instid1(SALU_CYCLE_1)
	s_and_b32 s55, exec_lo, s54
	s_or_b32 s52, s55, s52
	s_and_not1_b32 s51, s51, exec_lo
	s_and_b32 s55, s53, exec_lo
	s_delay_alu instid0(SALU_CYCLE_1)
	s_or_b32 s51, s51, s55
	s_and_not1_b32 exec_lo, exec_lo, s52
	s_cbranch_execz .LBB5_33
.LBB5_31:                               ;   Parent Loop BB5_3 Depth=1
                                        ;     Parent Loop BB5_5 Depth=2
                                        ;       Parent Loop BB5_9 Depth=3
                                        ; =>      This Inner Loop Header: Depth=4
	v_add_nc_u32_e32 v9, v7, v8
	s_or_b32 s53, s53, exec_lo
	s_or_b32 s54, s54, exec_lo
	s_mov_b32 s55, exec_lo
	s_delay_alu instid0(VALU_DEP_1) | instskip(NEXT) | instid1(VALU_DEP_1)
	v_ashrrev_i32_e32 v10, 31, v9
	v_lshlrev_b64 v[9:10], 2, v[9:10]
	s_delay_alu instid0(VALU_DEP_1) | instskip(NEXT) | instid1(VALU_DEP_2)
	v_add_co_u32 v11, vcc_lo, s8, v9
	v_add_co_ci_u32_e32 v12, vcc_lo, s9, v10, vcc_lo
	global_load_b32 v0, v[11:12], off
	s_waitcnt vmcnt(0)
	v_subrev_nc_u32_e32 v0, s42, v0
	s_delay_alu instid0(VALU_DEP_1)
	v_cmpx_ne_u32_e64 v0, v2
	s_cbranch_execz .LBB5_30
; %bb.32:                               ;   in Loop: Header=BB5_31 Depth=4
	v_add_nc_u32_e32 v8, 1, v8
	s_and_not1_b32 s54, s54, exec_lo
	s_and_not1_b32 s53, s53, exec_lo
	s_delay_alu instid0(VALU_DEP_1) | instskip(SKIP_1) | instid1(SALU_CYCLE_1)
	v_cmp_ge_i32_e32 vcc_lo, v8, v28
	s_and_b32 s56, vcc_lo, exec_lo
	s_or_b32 s54, s54, s56
	s_branch .LBB5_30
.LBB5_33:                               ;   in Loop: Header=BB5_9 Depth=3
	s_set_inst_prefetch_distance 0x2
	s_or_b32 exec_lo, exec_lo, s52
	s_mov_b32 s52, s48
                                        ; implicit-def: $vgpr12_vgpr13
	s_and_saveexec_b32 s53, s51
	s_delay_alu instid0(SALU_CYCLE_1)
	s_xor_b32 s51, exec_lo, s53
; %bb.34:                               ;   in Loop: Header=BB5_9 Depth=3
	v_add_co_u32 v12, vcc_lo, s36, v9
	v_add_co_ci_u32_e32 v13, vcc_lo, s37, v10, vcc_lo
	s_or_b32 s52, s48, exec_lo
; %bb.35:                               ;   in Loop: Header=BB5_9 Depth=3
	s_or_b32 exec_lo, exec_lo, s51
	s_delay_alu instid0(SALU_CYCLE_1) | instskip(SKIP_1) | instid1(SALU_CYCLE_1)
	s_and_not1_b32 s51, s48, exec_lo
	s_and_b32 s52, s52, exec_lo
	s_or_b32 s51, s51, s52
.LBB5_36:                               ;   in Loop: Header=BB5_9 Depth=3
	s_or_b32 exec_lo, exec_lo, s50
	s_delay_alu instid0(SALU_CYCLE_1) | instskip(SKIP_1) | instid1(SALU_CYCLE_1)
	s_and_not1_b32 s48, s48, exec_lo
	s_and_b32 s50, s51, exec_lo
	s_or_b32 s48, s48, s50
.LBB5_37:                               ;   in Loop: Header=BB5_9 Depth=3
	s_or_b32 exec_lo, exec_lo, s49
	s_delay_alu instid0(SALU_CYCLE_1)
	s_and_b32 s48, s48, exec_lo
                                        ; implicit-def: $vgpr6_vgpr7
	s_and_not1_saveexec_b32 s3, s3
	s_cbranch_execz .LBB5_24
.LBB5_38:                               ;   in Loop: Header=BB5_9 Depth=3
	s_mov_b32 s50, s48
	s_mov_b32 s49, exec_lo
                                        ; implicit-def: $vgpr12_vgpr13
	v_cmpx_lt_i32_e64 v0, v23
	s_cbranch_execz .LBB5_46
; %bb.39:                               ;   in Loop: Header=BB5_9 Depth=3
	s_mov_b32 s51, 0
                                        ; implicit-def: $sgpr50
                                        ; implicit-def: $sgpr53
                                        ; implicit-def: $sgpr52
	s_set_inst_prefetch_distance 0x1
	s_branch .LBB5_41
	.p2align	6
.LBB5_40:                               ;   in Loop: Header=BB5_41 Depth=4
	s_or_b32 exec_lo, exec_lo, s54
	s_delay_alu instid0(SALU_CYCLE_1) | instskip(NEXT) | instid1(SALU_CYCLE_1)
	s_and_b32 s54, exec_lo, s53
	s_or_b32 s51, s54, s51
	s_and_not1_b32 s50, s50, exec_lo
	s_and_b32 s54, s52, exec_lo
	s_delay_alu instid0(SALU_CYCLE_1)
	s_or_b32 s50, s50, s54
	s_and_not1_b32 exec_lo, exec_lo, s51
	s_cbranch_execz .LBB5_43
.LBB5_41:                               ;   Parent Loop BB5_3 Depth=1
                                        ;     Parent Loop BB5_5 Depth=2
                                        ;       Parent Loop BB5_9 Depth=3
                                        ; =>      This Inner Loop Header: Depth=4
	v_add_nc_u32_e32 v7, v5, v0
	s_or_b32 s52, s52, exec_lo
	s_or_b32 s53, s53, exec_lo
	s_mov_b32 s54, exec_lo
	s_delay_alu instid0(VALU_DEP_1) | instskip(NEXT) | instid1(VALU_DEP_1)
	v_ashrrev_i32_e32 v8, 31, v7
	v_lshlrev_b64 v[7:8], 2, v[7:8]
	s_delay_alu instid0(VALU_DEP_1) | instskip(NEXT) | instid1(VALU_DEP_2)
	v_add_co_u32 v9, vcc_lo, s16, v7
	v_add_co_ci_u32_e32 v10, vcc_lo, s17, v8, vcc_lo
	global_load_b32 v9, v[9:10], off
	s_waitcnt vmcnt(0)
	v_subrev_nc_u32_e32 v9, s41, v9
	s_delay_alu instid0(VALU_DEP_1)
	v_cmpx_ne_u32_e64 v9, v6
	s_cbranch_execz .LBB5_40
; %bb.42:                               ;   in Loop: Header=BB5_41 Depth=4
	v_add_nc_u32_e32 v0, 1, v0
	s_and_not1_b32 s53, s53, exec_lo
	s_and_not1_b32 s52, s52, exec_lo
	s_delay_alu instid0(VALU_DEP_1) | instskip(SKIP_1) | instid1(SALU_CYCLE_1)
	v_cmp_ge_i32_e32 vcc_lo, v0, v23
	s_and_b32 s55, vcc_lo, exec_lo
	s_or_b32 s53, s53, s55
	s_branch .LBB5_40
.LBB5_43:                               ;   in Loop: Header=BB5_9 Depth=3
	s_set_inst_prefetch_distance 0x2
	s_or_b32 exec_lo, exec_lo, s51
	s_mov_b32 s51, s48
                                        ; implicit-def: $vgpr12_vgpr13
	s_and_saveexec_b32 s52, s50
	s_delay_alu instid0(SALU_CYCLE_1)
	s_xor_b32 s50, exec_lo, s52
; %bb.44:                               ;   in Loop: Header=BB5_9 Depth=3
	v_add_co_u32 v12, vcc_lo, s38, v7
	v_add_co_ci_u32_e32 v13, vcc_lo, s39, v8, vcc_lo
	s_or_b32 s51, s48, exec_lo
; %bb.45:                               ;   in Loop: Header=BB5_9 Depth=3
	s_or_b32 exec_lo, exec_lo, s50
	s_delay_alu instid0(SALU_CYCLE_1) | instskip(SKIP_1) | instid1(SALU_CYCLE_1)
	s_and_not1_b32 s50, s48, exec_lo
	s_and_b32 s51, s51, exec_lo
	s_or_b32 s50, s50, s51
.LBB5_46:                               ;   in Loop: Header=BB5_9 Depth=3
	s_or_b32 exec_lo, exec_lo, s49
	s_delay_alu instid0(SALU_CYCLE_1) | instskip(SKIP_1) | instid1(SALU_CYCLE_1)
	s_and_not1_b32 s48, s48, exec_lo
	s_and_b32 s49, s50, exec_lo
	s_or_b32 s48, s48, s49
	s_or_b32 exec_lo, exec_lo, s3
	s_delay_alu instid0(SALU_CYCLE_1)
	s_and_b32 exec_lo, exec_lo, s48
	s_cbranch_execz .LBB5_8
.LBB5_47:                               ;   in Loop: Header=BB5_9 Depth=3
	global_store_b32 v[12:13], v4, off
	s_branch .LBB5_8
.LBB5_48:                               ;   in Loop: Header=BB5_3 Depth=1
	s_and_saveexec_b32 s3, s0
	s_cbranch_execz .LBB5_2
; %bb.49:                               ;   in Loop: Header=BB5_3 Depth=1
	v_mov_b32_e32 v2, v18
	s_mov_b32 s44, 0
	s_branch .LBB5_51
.LBB5_50:                               ;   in Loop: Header=BB5_51 Depth=2
	s_or_b32 exec_lo, exec_lo, s45
	v_add_nc_u32_e32 v2, 32, v2
	s_delay_alu instid0(VALU_DEP_1) | instskip(SKIP_1) | instid1(SALU_CYCLE_1)
	v_cmp_le_u32_e32 vcc_lo, s43, v2
	s_or_b32 s44, vcc_lo, s44
	s_and_not1_b32 exec_lo, exec_lo, s44
	s_cbranch_execz .LBB5_2
.LBB5_51:                               ;   Parent Loop BB5_3 Depth=1
                                        ; =>  This Loop Header: Depth=2
                                        ;       Child Loop BB5_54 Depth 3
                                        ;       Child Loop BB5_57 Depth 3
	s_mov_b32 s45, exec_lo
	s_delay_alu instid0(VALU_DEP_1)
	v_cmpx_gt_i32_e64 s35, v2
	s_cbranch_execz .LBB5_50
; %bb.52:                               ;   in Loop: Header=BB5_51 Depth=2
	v_ashrrev_i32_e32 v3, 31, v2
	s_mov_b32 s46, exec_lo
	s_delay_alu instid0(VALU_DEP_1) | instskip(NEXT) | instid1(VALU_DEP_1)
	v_lshlrev_b64 v[3:4], 2, v[2:3]
	v_add_co_u32 v5, vcc_lo, s12, v3
	s_delay_alu instid0(VALU_DEP_2)
	v_add_co_ci_u32_e32 v6, vcc_lo, s13, v4, vcc_lo
	v_add_co_u32 v7, vcc_lo, s14, v3
	v_add_co_ci_u32_e32 v8, vcc_lo, s15, v4, vcc_lo
	global_load_b32 v0, v[5:6], off
	global_load_b32 v6, v[7:8], off
	s_waitcnt vmcnt(1)
	v_add_nc_u32_e32 v5, v20, v0
	s_waitcnt vmcnt(0)
	v_subrev_nc_u32_e32 v0, s41, v6
	s_delay_alu instid0(VALU_DEP_1)
	v_cmpx_lt_i32_e64 v5, v0
	s_cbranch_execz .LBB5_55
; %bb.53:                               ;   in Loop: Header=BB5_51 Depth=2
	v_ashrrev_i32_e32 v6, 31, v5
	s_mov_b32 s47, 0
	s_delay_alu instid0(VALU_DEP_1) | instskip(NEXT) | instid1(VALU_DEP_1)
	v_lshlrev_b64 v[8:9], 2, v[5:6]
	v_add_co_u32 v6, vcc_lo, s38, v8
	s_delay_alu instid0(VALU_DEP_2)
	v_add_co_ci_u32_e32 v7, vcc_lo, s39, v9, vcc_lo
	v_add_co_u32 v8, vcc_lo, s18, v8
	v_add_co_ci_u32_e32 v9, vcc_lo, s19, v9, vcc_lo
	.p2align	6
.LBB5_54:                               ;   Parent Loop BB5_3 Depth=1
                                        ;     Parent Loop BB5_51 Depth=2
                                        ; =>    This Inner Loop Header: Depth=3
	global_load_b32 v10, v[6:7], off
	v_add_nc_u32_e32 v5, 32, v5
	v_add_co_u32 v6, vcc_lo, 0x80, v6
	v_add_co_ci_u32_e32 v7, vcc_lo, 0, v7, vcc_lo
	s_delay_alu instid0(VALU_DEP_3) | instskip(SKIP_4) | instid1(VALU_DEP_1)
	v_cmp_ge_i32_e32 vcc_lo, v5, v0
	s_or_b32 s47, vcc_lo, s47
	s_waitcnt vmcnt(0)
	global_store_b32 v[8:9], v10, off
	v_add_co_u32 v8, s2, 0x80, v8
	v_add_co_ci_u32_e64 v9, s2, 0, v9, s2
	s_and_not1_b32 exec_lo, exec_lo, s47
	s_cbranch_execnz .LBB5_54
.LBB5_55:                               ;   in Loop: Header=BB5_51 Depth=2
	s_or_b32 exec_lo, exec_lo, s46
	v_add_co_u32 v5, vcc_lo, s4, v3
	v_add_co_ci_u32_e32 v6, vcc_lo, s5, v4, vcc_lo
	v_add_co_u32 v7, vcc_lo, s6, v3
	v_add_co_ci_u32_e32 v8, vcc_lo, s7, v4, vcc_lo
	s_mov_b32 s46, exec_lo
	global_load_b32 v0, v[5:6], off
	global_load_b32 v6, v[7:8], off
	s_waitcnt vmcnt(1)
	v_add_nc_u32_e32 v5, v21, v0
	s_waitcnt vmcnt(0)
	v_subrev_nc_u32_e32 v0, s42, v6
	s_delay_alu instid0(VALU_DEP_1)
	v_cmpx_lt_i32_e64 v5, v0
	s_cbranch_execz .LBB5_58
; %bb.56:                               ;   in Loop: Header=BB5_51 Depth=2
	v_ashrrev_i32_e32 v6, 31, v5
	s_mov_b32 s47, 0
	s_delay_alu instid0(VALU_DEP_1) | instskip(NEXT) | instid1(VALU_DEP_1)
	v_lshlrev_b64 v[8:9], 2, v[5:6]
	v_add_co_u32 v6, vcc_lo, s36, v8
	s_delay_alu instid0(VALU_DEP_2)
	v_add_co_ci_u32_e32 v7, vcc_lo, s37, v9, vcc_lo
	v_add_co_u32 v8, vcc_lo, s10, v8
	v_add_co_ci_u32_e32 v9, vcc_lo, s11, v9, vcc_lo
	.p2align	6
.LBB5_57:                               ;   Parent Loop BB5_3 Depth=1
                                        ;     Parent Loop BB5_51 Depth=2
                                        ; =>    This Inner Loop Header: Depth=3
	global_load_b32 v10, v[6:7], off
	v_add_nc_u32_e32 v5, 32, v5
	v_add_co_u32 v6, vcc_lo, 0x80, v6
	v_add_co_ci_u32_e32 v7, vcc_lo, 0, v7, vcc_lo
	s_delay_alu instid0(VALU_DEP_3) | instskip(SKIP_4) | instid1(VALU_DEP_1)
	v_cmp_ge_i32_e32 vcc_lo, v5, v0
	s_or_b32 s47, vcc_lo, s47
	s_waitcnt vmcnt(0)
	global_store_b32 v[8:9], v10, off
	v_add_co_u32 v8, s2, 0x80, v8
	v_add_co_ci_u32_e64 v9, s2, 0, v9, s2
	s_and_not1_b32 exec_lo, exec_lo, s47
	s_cbranch_execnz .LBB5_57
.LBB5_58:                               ;   in Loop: Header=BB5_51 Depth=2
	s_or_b32 exec_lo, exec_lo, s46
	s_delay_alu instid0(SALU_CYCLE_1)
	s_and_b32 exec_lo, exec_lo, s1
	s_cbranch_execz .LBB5_50
; %bb.59:                               ;   in Loop: Header=BB5_51 Depth=2
	v_add_co_u32 v5, vcc_lo, s30, v3
	v_add_co_ci_u32_e32 v6, vcc_lo, s31, v4, vcc_lo
	v_add_co_u32 v3, vcc_lo, s28, v3
	v_add_co_ci_u32_e32 v4, vcc_lo, s29, v4, vcc_lo
	global_load_b32 v0, v[5:6], off
	s_waitcnt vmcnt(0)
	global_store_b32 v[3:4], v0, off
	s_branch .LBB5_50
.LBB5_60:
	s_nop 0
	s_sendmsg sendmsg(MSG_DEALLOC_VGPRS)
	s_endpgm
	.section	.rodata,"a",@progbits
	.p2align	6, 0x0
	.amdhsa_kernel _ZN9rocsparseL14kernel_freerunILi1024ELi32EfiiEEvT3_S1_T2_PKS2_S4_PKS1_PKT1_21rocsparse_index_base_S4_S4_S6_PS7_SB_SA_S4_S4_S6_SB_SB_SA_SB_SB_
		.amdhsa_group_segment_fixed_size 0
		.amdhsa_private_segment_fixed_size 0
		.amdhsa_kernarg_size 168
		.amdhsa_user_sgpr_count 15
		.amdhsa_user_sgpr_dispatch_ptr 0
		.amdhsa_user_sgpr_queue_ptr 0
		.amdhsa_user_sgpr_kernarg_segment_ptr 1
		.amdhsa_user_sgpr_dispatch_id 0
		.amdhsa_user_sgpr_private_segment_size 0
		.amdhsa_wavefront_size32 1
		.amdhsa_uses_dynamic_stack 0
		.amdhsa_enable_private_segment 0
		.amdhsa_system_sgpr_workgroup_id_x 1
		.amdhsa_system_sgpr_workgroup_id_y 0
		.amdhsa_system_sgpr_workgroup_id_z 0
		.amdhsa_system_sgpr_workgroup_info 0
		.amdhsa_system_vgpr_workitem_id 0
		.amdhsa_next_free_vgpr 37
		.amdhsa_next_free_sgpr 57
		.amdhsa_reserve_vcc 1
		.amdhsa_float_round_mode_32 0
		.amdhsa_float_round_mode_16_64 0
		.amdhsa_float_denorm_mode_32 3
		.amdhsa_float_denorm_mode_16_64 3
		.amdhsa_dx10_clamp 1
		.amdhsa_ieee_mode 1
		.amdhsa_fp16_overflow 0
		.amdhsa_workgroup_processor_mode 1
		.amdhsa_memory_ordered 1
		.amdhsa_forward_progress 0
		.amdhsa_shared_vgpr_count 0
		.amdhsa_exception_fp_ieee_invalid_op 0
		.amdhsa_exception_fp_denorm_src 0
		.amdhsa_exception_fp_ieee_div_zero 0
		.amdhsa_exception_fp_ieee_overflow 0
		.amdhsa_exception_fp_ieee_underflow 0
		.amdhsa_exception_fp_ieee_inexact 0
		.amdhsa_exception_int_div_zero 0
	.end_amdhsa_kernel
	.section	.text._ZN9rocsparseL14kernel_freerunILi1024ELi32EfiiEEvT3_S1_T2_PKS2_S4_PKS1_PKT1_21rocsparse_index_base_S4_S4_S6_PS7_SB_SA_S4_S4_S6_SB_SB_SA_SB_SB_,"axG",@progbits,_ZN9rocsparseL14kernel_freerunILi1024ELi32EfiiEEvT3_S1_T2_PKS2_S4_PKS1_PKT1_21rocsparse_index_base_S4_S4_S6_PS7_SB_SA_S4_S4_S6_SB_SB_SA_SB_SB_,comdat
.Lfunc_end5:
	.size	_ZN9rocsparseL14kernel_freerunILi1024ELi32EfiiEEvT3_S1_T2_PKS2_S4_PKS1_PKT1_21rocsparse_index_base_S4_S4_S6_PS7_SB_SA_S4_S4_S6_SB_SB_SA_SB_SB_, .Lfunc_end5-_ZN9rocsparseL14kernel_freerunILi1024ELi32EfiiEEvT3_S1_T2_PKS2_S4_PKS1_PKT1_21rocsparse_index_base_S4_S4_S6_PS7_SB_SA_S4_S4_S6_SB_SB_SA_SB_SB_
                                        ; -- End function
	.section	.AMDGPU.csdata,"",@progbits
; Kernel info:
; codeLenInByte = 2448
; NumSgprs: 59
; NumVgprs: 37
; ScratchSize: 0
; MemoryBound: 0
; FloatMode: 240
; IeeeMode: 1
; LDSByteSize: 0 bytes/workgroup (compile time only)
; SGPRBlocks: 7
; VGPRBlocks: 4
; NumSGPRsForWavesPerEU: 59
; NumVGPRsForWavesPerEU: 37
; Occupancy: 16
; WaveLimiterHint : 1
; COMPUTE_PGM_RSRC2:SCRATCH_EN: 0
; COMPUTE_PGM_RSRC2:USER_SGPR: 15
; COMPUTE_PGM_RSRC2:TRAP_HANDLER: 0
; COMPUTE_PGM_RSRC2:TGID_X_EN: 1
; COMPUTE_PGM_RSRC2:TGID_Y_EN: 0
; COMPUTE_PGM_RSRC2:TGID_Z_EN: 0
; COMPUTE_PGM_RSRC2:TIDIG_COMP_CNT: 0
	.section	.text._ZN9rocsparseL14kernel_freerunILi1024ELi64EfiiEEvT3_S1_T2_PKS2_S4_PKS1_PKT1_21rocsparse_index_base_S4_S4_S6_PS7_SB_SA_S4_S4_S6_SB_SB_SA_SB_SB_,"axG",@progbits,_ZN9rocsparseL14kernel_freerunILi1024ELi64EfiiEEvT3_S1_T2_PKS2_S4_PKS1_PKT1_21rocsparse_index_base_S4_S4_S6_PS7_SB_SA_S4_S4_S6_SB_SB_SA_SB_SB_,comdat
	.globl	_ZN9rocsparseL14kernel_freerunILi1024ELi64EfiiEEvT3_S1_T2_PKS2_S4_PKS1_PKT1_21rocsparse_index_base_S4_S4_S6_PS7_SB_SA_S4_S4_S6_SB_SB_SA_SB_SB_ ; -- Begin function _ZN9rocsparseL14kernel_freerunILi1024ELi64EfiiEEvT3_S1_T2_PKS2_S4_PKS1_PKT1_21rocsparse_index_base_S4_S4_S6_PS7_SB_SA_S4_S4_S6_SB_SB_SA_SB_SB_
	.p2align	8
	.type	_ZN9rocsparseL14kernel_freerunILi1024ELi64EfiiEEvT3_S1_T2_PKS2_S4_PKS1_PKT1_21rocsparse_index_base_S4_S4_S6_PS7_SB_SA_S4_S4_S6_SB_SB_SA_SB_SB_,@function
_ZN9rocsparseL14kernel_freerunILi1024ELi64EfiiEEvT3_S1_T2_PKS2_S4_PKS1_PKT1_21rocsparse_index_base_S4_S4_S6_PS7_SB_SA_S4_S4_S6_SB_SB_SA_SB_SB_: ; @_ZN9rocsparseL14kernel_freerunILi1024ELi64EfiiEEvT3_S1_T2_PKS2_S4_PKS1_PKT1_21rocsparse_index_base_S4_S4_S6_PS7_SB_SA_S4_S4_S6_SB_SB_SA_SB_SB_
; %bb.0:
	s_load_b64 s[34:35], s[0:1], 0x0
	v_lshrrev_b32_e32 v1, 6, v0
	s_lshl_b32 s43, s15, 10
	s_mov_b32 s33, 0
	s_delay_alu instid0(VALU_DEP_1) | instskip(SKIP_1) | instid1(VALU_DEP_1)
	v_or_b32_e32 v18, s43, v1
	s_waitcnt lgkmcnt(0)
	v_cmp_gt_i32_e32 vcc_lo, s35, v18
	s_cmp_gt_i32 s34, 0
	s_cselect_b32 s2, -1, 0
	s_delay_alu instid0(SALU_CYCLE_1) | instskip(NEXT) | instid1(SALU_CYCLE_1)
	s_and_b32 s2, vcc_lo, s2
	s_and_saveexec_b32 s3, s2
	s_cbranch_execz .LBB6_60
; %bb.1:
	s_clause 0x8
	s_load_b32 s40, s[0:1], 0x30
	s_load_b32 s41, s[0:1], 0x60
	;; [unrolled: 1-line block ×3, first 2 shown]
	s_load_b64 s[36:37], s[0:1], 0x88
	s_load_b64 s[38:39], s[0:1], 0x58
	s_load_b128 s[28:31], s[0:1], 0x98
	s_load_b256 s[4:11], s[0:1], 0x68
	s_load_b256 s[12:19], s[0:1], 0x38
	;; [unrolled: 1-line block ×3, first 2 shown]
	v_dual_mov_b32 v1, 0 :: v_dual_and_b32 v0, 63, v0
	s_addk_i32 s43, 0x400
	s_delay_alu instid0(SALU_CYCLE_1) | instskip(NEXT) | instid1(VALU_DEP_2)
	v_cmp_gt_u32_e64 s0, s43, v18
	v_cmp_eq_u32_e64 s1, 0, v0
	s_waitcnt lgkmcnt(0)
	v_subrev_nc_u32_e32 v19, s40, v0
	v_subrev_nc_u32_e32 v20, s41, v0
	;; [unrolled: 1-line block ×3, first 2 shown]
	s_branch .LBB6_3
.LBB6_2:                                ;   in Loop: Header=BB6_3 Depth=1
	s_or_b32 exec_lo, exec_lo, s3
	s_add_i32 s33, s33, 1
	s_delay_alu instid0(SALU_CYCLE_1)
	s_cmp_eq_u32 s33, s34
	s_cbranch_scc1 .LBB6_60
.LBB6_3:                                ; =>This Loop Header: Depth=1
                                        ;     Child Loop BB6_5 Depth 2
                                        ;       Child Loop BB6_9 Depth 3
                                        ;         Child Loop BB6_13 Depth 4
                                        ;         Child Loop BB6_31 Depth 4
	;; [unrolled: 1-line block ×3, first 2 shown]
                                        ;     Child Loop BB6_51 Depth 2
                                        ;       Child Loop BB6_54 Depth 3
                                        ;       Child Loop BB6_57 Depth 3
	s_mov_b32 s44, 0
	s_branch .LBB6_5
.LBB6_4:                                ;   in Loop: Header=BB6_5 Depth=2
	s_or_b32 exec_lo, exec_lo, s45
	s_add_i32 s44, s44, 1
	s_delay_alu instid0(SALU_CYCLE_1)
	s_cmp_eq_u32 s44, 64
	s_cbranch_scc1 .LBB6_48
.LBB6_5:                                ;   Parent Loop BB6_3 Depth=1
                                        ; =>  This Loop Header: Depth=2
                                        ;       Child Loop BB6_9 Depth 3
                                        ;         Child Loop BB6_13 Depth 4
                                        ;         Child Loop BB6_31 Depth 4
                                        ;         Child Loop BB6_41 Depth 4
	v_lshl_add_u32 v2, s44, 4, v18
	s_mov_b32 s45, exec_lo
	s_delay_alu instid0(VALU_DEP_1)
	v_cmpx_gt_i32_e64 s35, v2
	s_cbranch_execz .LBB6_4
; %bb.6:                                ;   in Loop: Header=BB6_5 Depth=2
	v_ashrrev_i32_e32 v3, 31, v2
	s_delay_alu instid0(VALU_DEP_1) | instskip(NEXT) | instid1(VALU_DEP_1)
	v_lshlrev_b64 v[4:5], 2, v[2:3]
	v_add_co_u32 v6, vcc_lo, s20, v4
	s_delay_alu instid0(VALU_DEP_2)
	v_add_co_ci_u32_e32 v7, vcc_lo, s21, v5, vcc_lo
	v_add_co_u32 v8, vcc_lo, s22, v4
	v_add_co_ci_u32_e32 v9, vcc_lo, s23, v5, vcc_lo
	global_load_b32 v0, v[6:7], off
	global_load_b32 v6, v[8:9], off
	s_waitcnt vmcnt(1)
	v_add_nc_u32_e32 v3, v19, v0
	s_waitcnt vmcnt(0)
	v_subrev_nc_u32_e32 v22, s40, v6
	s_delay_alu instid0(VALU_DEP_1)
	v_cmp_lt_i32_e32 vcc_lo, v3, v22
	s_and_b32 exec_lo, exec_lo, vcc_lo
	s_cbranch_execz .LBB6_4
; %bb.7:                                ;   in Loop: Header=BB6_5 Depth=2
	v_add_co_u32 v6, vcc_lo, s12, v4
	v_add_co_ci_u32_e32 v7, vcc_lo, s13, v5, vcc_lo
	v_add_co_u32 v4, vcc_lo, s14, v4
	v_add_co_ci_u32_e32 v5, vcc_lo, s15, v5, vcc_lo
	global_load_b32 v0, v[6:7], off
	s_mov_b32 s46, 0
	global_load_b32 v4, v[4:5], off
	s_waitcnt vmcnt(1)
	v_subrev_nc_u32_e32 v5, s41, v0
	s_waitcnt vmcnt(0)
	v_sub_nc_u32_e32 v23, v4, v0
	s_delay_alu instid0(VALU_DEP_2) | instskip(NEXT) | instid1(VALU_DEP_2)
	v_ashrrev_i32_e32 v6, 31, v5
	v_cmp_lt_i32_e64 s2, 0, v23
	s_delay_alu instid0(VALU_DEP_2) | instskip(NEXT) | instid1(VALU_DEP_1)
	v_lshlrev_b64 v[6:7], 2, v[5:6]
	v_add_co_u32 v24, vcc_lo, s16, v6
	s_delay_alu instid0(VALU_DEP_2)
	v_add_co_ci_u32_e32 v25, vcc_lo, s17, v7, vcc_lo
	v_add_co_u32 v26, vcc_lo, s18, v6
	v_add_co_ci_u32_e32 v27, vcc_lo, s19, v7, vcc_lo
	s_branch .LBB6_9
.LBB6_8:                                ;   in Loop: Header=BB6_9 Depth=3
	s_or_b32 exec_lo, exec_lo, s47
	v_add_nc_u32_e32 v3, 64, v3
	s_delay_alu instid0(VALU_DEP_1) | instskip(SKIP_1) | instid1(SALU_CYCLE_1)
	v_cmp_ge_i32_e32 vcc_lo, v3, v22
	s_or_b32 s46, vcc_lo, s46
	s_and_not1_b32 exec_lo, exec_lo, s46
	s_cbranch_execz .LBB6_4
.LBB6_9:                                ;   Parent Loop BB6_3 Depth=1
                                        ;     Parent Loop BB6_5 Depth=2
                                        ; =>    This Loop Header: Depth=3
                                        ;         Child Loop BB6_13 Depth 4
                                        ;         Child Loop BB6_31 Depth 4
	;; [unrolled: 1-line block ×3, first 2 shown]
	v_ashrrev_i32_e32 v4, 31, v3
	s_delay_alu instid0(VALU_DEP_1) | instskip(SKIP_1) | instid1(VALU_DEP_2)
	v_lshlrev_b64 v[12:13], 2, v[3:4]
	v_mov_b32_e32 v4, 0
	v_add_co_u32 v6, vcc_lo, s24, v12
	s_delay_alu instid0(VALU_DEP_3) | instskip(SKIP_3) | instid1(VALU_DEP_1)
	v_add_co_ci_u32_e32 v7, vcc_lo, s25, v13, vcc_lo
	global_load_b32 v0, v[6:7], off
	s_waitcnt vmcnt(0)
	v_subrev_nc_u32_e32 v6, s40, v0
	v_ashrrev_i32_e32 v7, 31, v6
	s_delay_alu instid0(VALU_DEP_1) | instskip(NEXT) | instid1(VALU_DEP_1)
	v_lshlrev_b64 v[10:11], 2, v[6:7]
	v_add_co_u32 v7, vcc_lo, s4, v10
	s_delay_alu instid0(VALU_DEP_2)
	v_add_co_ci_u32_e32 v8, vcc_lo, s5, v11, vcc_lo
	v_add_co_u32 v14, vcc_lo, s6, v10
	v_add_co_ci_u32_e32 v15, vcc_lo, s7, v11, vcc_lo
	global_load_b32 v0, v[7:8], off
	global_load_b32 v9, v[14:15], off
	v_mov_b32_e32 v8, 0
	s_waitcnt vmcnt(1)
	v_subrev_nc_u32_e32 v7, s42, v0
	s_waitcnt vmcnt(0)
	v_sub_nc_u32_e32 v28, v9, v0
	v_mov_b32_e32 v0, 0
	s_and_saveexec_b32 s47, s2
	s_cbranch_execz .LBB6_17
; %bb.10:                               ;   in Loop: Header=BB6_9 Depth=3
	v_ashrrev_i32_e32 v8, 31, v7
	v_mov_b32_e32 v0, 0
	v_mov_b32_e32 v4, 0
	s_mov_b32 s48, 0
                                        ; implicit-def: $sgpr49
	s_delay_alu instid0(VALU_DEP_3) | instskip(NEXT) | instid1(VALU_DEP_1)
	v_lshlrev_b64 v[8:9], 2, v[7:8]
	v_add_co_u32 v29, vcc_lo, s8, v8
	s_delay_alu instid0(VALU_DEP_2)
	v_add_co_ci_u32_e32 v30, vcc_lo, s9, v9, vcc_lo
	v_add_co_u32 v31, vcc_lo, s10, v8
	v_add_co_ci_u32_e32 v32, vcc_lo, s11, v9, vcc_lo
	v_mov_b32_e32 v8, v0
	s_branch .LBB6_13
.LBB6_11:                               ;   in Loop: Header=BB6_13 Depth=4
	s_or_b32 exec_lo, exec_lo, s3
	v_cmp_le_i32_e32 vcc_lo, v9, v33
	v_cmp_ge_i32_e64 s3, v9, v33
	v_add_co_ci_u32_e32 v0, vcc_lo, 0, v0, vcc_lo
	s_delay_alu instid0(VALU_DEP_2) | instskip(SKIP_1) | instid1(VALU_DEP_2)
	v_add_co_ci_u32_e64 v8, s3, 0, v8, s3
	s_and_not1_b32 s3, s49, exec_lo
	v_cmp_ge_i32_e32 vcc_lo, v0, v23
	s_and_b32 s49, vcc_lo, exec_lo
	s_delay_alu instid0(SALU_CYCLE_1)
	s_or_b32 s49, s3, s49
.LBB6_12:                               ;   in Loop: Header=BB6_13 Depth=4
	s_or_b32 exec_lo, exec_lo, s50
	s_delay_alu instid0(SALU_CYCLE_1) | instskip(NEXT) | instid1(SALU_CYCLE_1)
	s_and_b32 s3, exec_lo, s49
	s_or_b32 s48, s3, s48
	s_delay_alu instid0(SALU_CYCLE_1)
	s_and_not1_b32 exec_lo, exec_lo, s48
	s_cbranch_execz .LBB6_16
.LBB6_13:                               ;   Parent Loop BB6_3 Depth=1
                                        ;     Parent Loop BB6_5 Depth=2
                                        ;       Parent Loop BB6_9 Depth=3
                                        ; =>      This Inner Loop Header: Depth=4
	s_or_b32 s49, s49, exec_lo
	s_mov_b32 s50, exec_lo
	s_delay_alu instid0(VALU_DEP_1)
	v_cmpx_lt_i32_e64 v8, v28
	s_cbranch_execz .LBB6_12
; %bb.14:                               ;   in Loop: Header=BB6_13 Depth=4
	v_mov_b32_e32 v9, v1
	v_lshlrev_b64 v[16:17], 2, v[0:1]
	s_mov_b32 s3, exec_lo
	s_delay_alu instid0(VALU_DEP_2) | instskip(NEXT) | instid1(VALU_DEP_2)
	v_lshlrev_b64 v[14:15], 2, v[8:9]
	v_add_co_u32 v33, vcc_lo, v24, v16
	s_delay_alu instid0(VALU_DEP_3) | instskip(NEXT) | instid1(VALU_DEP_3)
	v_add_co_ci_u32_e32 v34, vcc_lo, v25, v17, vcc_lo
	v_add_co_u32 v35, vcc_lo, v29, v14
	s_delay_alu instid0(VALU_DEP_4)
	v_add_co_ci_u32_e32 v36, vcc_lo, v30, v15, vcc_lo
	global_load_b32 v9, v[33:34], off
	global_load_b32 v33, v[35:36], off
	s_waitcnt vmcnt(1)
	v_subrev_nc_u32_e32 v9, s41, v9
	s_waitcnt vmcnt(0)
	v_subrev_nc_u32_e32 v33, s42, v33
	s_delay_alu instid0(VALU_DEP_1)
	v_cmpx_eq_u32_e64 v9, v33
	s_cbranch_execz .LBB6_11
; %bb.15:                               ;   in Loop: Header=BB6_13 Depth=4
	v_add_co_u32 v16, vcc_lo, v26, v16
	v_add_co_ci_u32_e32 v17, vcc_lo, v27, v17, vcc_lo
	v_add_co_u32 v14, vcc_lo, v31, v14
	v_add_co_ci_u32_e32 v15, vcc_lo, v32, v15, vcc_lo
	global_load_b32 v16, v[16:17], off
	global_load_b32 v14, v[14:15], off
	s_waitcnt vmcnt(0)
	v_fmac_f32_e32 v4, v16, v14
	s_branch .LBB6_11
.LBB6_16:                               ;   in Loop: Header=BB6_9 Depth=3
	s_or_b32 exec_lo, exec_lo, s48
.LBB6_17:                               ;   in Loop: Header=BB6_9 Depth=3
	s_delay_alu instid0(SALU_CYCLE_1)
	s_or_b32 exec_lo, exec_lo, s47
	v_add_co_u32 v12, vcc_lo, s26, v12
	v_add_co_ci_u32_e32 v13, vcc_lo, s27, v13, vcc_lo
	v_cmp_le_i32_e64 s3, v2, v6
	s_mov_b32 s47, exec_lo
	global_load_b32 v9, v[12:13], off
	s_waitcnt vmcnt(0)
	v_sub_f32_e32 v4, v9, v4
	v_cmpx_gt_i32_e64 v2, v6
	s_cbranch_execz .LBB6_21
; %bb.18:                               ;   in Loop: Header=BB6_9 Depth=3
	v_add_co_u32 v12, vcc_lo, s28, v10
	v_add_co_ci_u32_e32 v13, vcc_lo, s29, v11, vcc_lo
	s_mov_b32 s48, exec_lo
	global_load_b32 v9, v[12:13], off
	v_mov_b32_e32 v12, 0
	s_waitcnt vmcnt(0)
	v_cmpx_lg_f32_e32 0, v9
; %bb.19:                               ;   in Loop: Header=BB6_9 Depth=3
	v_div_scale_f32 v12, null, v9, v9, v4
	s_delay_alu instid0(VALU_DEP_1) | instskip(SKIP_2) | instid1(VALU_DEP_1)
	v_rcp_f32_e32 v13, v12
	s_waitcnt_depctr 0xfff
	v_fma_f32 v14, -v12, v13, 1.0
	v_fmac_f32_e32 v13, v14, v13
	v_div_scale_f32 v14, vcc_lo, v4, v9, v4
	s_delay_alu instid0(VALU_DEP_1) | instskip(NEXT) | instid1(VALU_DEP_1)
	v_mul_f32_e32 v15, v14, v13
	v_fma_f32 v16, -v12, v15, v14
	s_delay_alu instid0(VALU_DEP_1) | instskip(NEXT) | instid1(VALU_DEP_1)
	v_fmac_f32_e32 v15, v16, v13
	v_fma_f32 v12, -v12, v15, v14
	s_delay_alu instid0(VALU_DEP_1) | instskip(NEXT) | instid1(VALU_DEP_1)
	v_div_fmas_f32 v12, v12, v13, v15
	v_div_fixup_f32 v12, v12, v9, v4
; %bb.20:                               ;   in Loop: Header=BB6_9 Depth=3
	s_or_b32 exec_lo, exec_lo, s48
	s_delay_alu instid0(VALU_DEP_1)
	v_mov_b32_e32 v4, v12
.LBB6_21:                               ;   in Loop: Header=BB6_9 Depth=3
	s_or_b32 exec_lo, exec_lo, s47
	s_delay_alu instid0(VALU_DEP_1) | instskip(NEXT) | instid1(VALU_DEP_1)
	v_cmp_class_f32_e64 s48, v4, 0x1f8
	s_and_saveexec_b32 s47, s48
	s_cbranch_execz .LBB6_8
; %bb.22:                               ;   in Loop: Header=BB6_9 Depth=3
	s_mov_b32 s48, 0
                                        ; implicit-def: $vgpr12_vgpr13
	s_and_saveexec_b32 s49, s3
	s_delay_alu instid0(SALU_CYCLE_1)
	s_xor_b32 s3, exec_lo, s49
	s_cbranch_execnz .LBB6_25
; %bb.23:                               ;   in Loop: Header=BB6_9 Depth=3
	s_and_not1_saveexec_b32 s3, s3
	s_cbranch_execnz .LBB6_38
.LBB6_24:                               ;   in Loop: Header=BB6_9 Depth=3
	s_or_b32 exec_lo, exec_lo, s3
	s_delay_alu instid0(SALU_CYCLE_1)
	s_and_b32 exec_lo, exec_lo, s48
	s_cbranch_execz .LBB6_8
	s_branch .LBB6_47
.LBB6_25:                               ;   in Loop: Header=BB6_9 Depth=3
	s_mov_b32 s49, exec_lo
                                        ; implicit-def: $vgpr12_vgpr13
	v_cmpx_ge_i32_e64 v2, v6
	s_xor_b32 s49, exec_lo, s49
; %bb.26:                               ;   in Loop: Header=BB6_9 Depth=3
	v_add_co_u32 v12, vcc_lo, s30, v10
	s_mov_b32 s48, exec_lo
	v_add_co_ci_u32_e32 v13, vcc_lo, s31, v11, vcc_lo
                                        ; implicit-def: $vgpr8
                                        ; implicit-def: $vgpr28
                                        ; implicit-def: $vgpr7
; %bb.27:                               ;   in Loop: Header=BB6_9 Depth=3
	s_and_not1_saveexec_b32 s49, s49
	s_cbranch_execz .LBB6_37
; %bb.28:                               ;   in Loop: Header=BB6_9 Depth=3
	s_mov_b32 s51, s48
	s_mov_b32 s50, exec_lo
                                        ; implicit-def: $vgpr12_vgpr13
	v_cmpx_lt_i32_e64 v8, v28
	s_cbranch_execz .LBB6_36
; %bb.29:                               ;   in Loop: Header=BB6_9 Depth=3
	s_mov_b32 s52, 0
                                        ; implicit-def: $sgpr51
                                        ; implicit-def: $sgpr54
                                        ; implicit-def: $sgpr53
	s_set_inst_prefetch_distance 0x1
	s_branch .LBB6_31
	.p2align	6
.LBB6_30:                               ;   in Loop: Header=BB6_31 Depth=4
	s_or_b32 exec_lo, exec_lo, s55
	s_delay_alu instid0(SALU_CYCLE_1) | instskip(NEXT) | instid1(SALU_CYCLE_1)
	s_and_b32 s55, exec_lo, s54
	s_or_b32 s52, s55, s52
	s_and_not1_b32 s51, s51, exec_lo
	s_and_b32 s55, s53, exec_lo
	s_delay_alu instid0(SALU_CYCLE_1)
	s_or_b32 s51, s51, s55
	s_and_not1_b32 exec_lo, exec_lo, s52
	s_cbranch_execz .LBB6_33
.LBB6_31:                               ;   Parent Loop BB6_3 Depth=1
                                        ;     Parent Loop BB6_5 Depth=2
                                        ;       Parent Loop BB6_9 Depth=3
                                        ; =>      This Inner Loop Header: Depth=4
	v_add_nc_u32_e32 v9, v7, v8
	s_or_b32 s53, s53, exec_lo
	s_or_b32 s54, s54, exec_lo
	s_mov_b32 s55, exec_lo
	s_delay_alu instid0(VALU_DEP_1) | instskip(NEXT) | instid1(VALU_DEP_1)
	v_ashrrev_i32_e32 v10, 31, v9
	v_lshlrev_b64 v[9:10], 2, v[9:10]
	s_delay_alu instid0(VALU_DEP_1) | instskip(NEXT) | instid1(VALU_DEP_2)
	v_add_co_u32 v11, vcc_lo, s8, v9
	v_add_co_ci_u32_e32 v12, vcc_lo, s9, v10, vcc_lo
	global_load_b32 v0, v[11:12], off
	s_waitcnt vmcnt(0)
	v_subrev_nc_u32_e32 v0, s42, v0
	s_delay_alu instid0(VALU_DEP_1)
	v_cmpx_ne_u32_e64 v0, v2
	s_cbranch_execz .LBB6_30
; %bb.32:                               ;   in Loop: Header=BB6_31 Depth=4
	v_add_nc_u32_e32 v8, 1, v8
	s_and_not1_b32 s54, s54, exec_lo
	s_and_not1_b32 s53, s53, exec_lo
	s_delay_alu instid0(VALU_DEP_1) | instskip(SKIP_1) | instid1(SALU_CYCLE_1)
	v_cmp_ge_i32_e32 vcc_lo, v8, v28
	s_and_b32 s56, vcc_lo, exec_lo
	s_or_b32 s54, s54, s56
	s_branch .LBB6_30
.LBB6_33:                               ;   in Loop: Header=BB6_9 Depth=3
	s_set_inst_prefetch_distance 0x2
	s_or_b32 exec_lo, exec_lo, s52
	s_mov_b32 s52, s48
                                        ; implicit-def: $vgpr12_vgpr13
	s_and_saveexec_b32 s53, s51
	s_delay_alu instid0(SALU_CYCLE_1)
	s_xor_b32 s51, exec_lo, s53
; %bb.34:                               ;   in Loop: Header=BB6_9 Depth=3
	v_add_co_u32 v12, vcc_lo, s36, v9
	v_add_co_ci_u32_e32 v13, vcc_lo, s37, v10, vcc_lo
	s_or_b32 s52, s48, exec_lo
; %bb.35:                               ;   in Loop: Header=BB6_9 Depth=3
	s_or_b32 exec_lo, exec_lo, s51
	s_delay_alu instid0(SALU_CYCLE_1) | instskip(SKIP_1) | instid1(SALU_CYCLE_1)
	s_and_not1_b32 s51, s48, exec_lo
	s_and_b32 s52, s52, exec_lo
	s_or_b32 s51, s51, s52
.LBB6_36:                               ;   in Loop: Header=BB6_9 Depth=3
	s_or_b32 exec_lo, exec_lo, s50
	s_delay_alu instid0(SALU_CYCLE_1) | instskip(SKIP_1) | instid1(SALU_CYCLE_1)
	s_and_not1_b32 s48, s48, exec_lo
	s_and_b32 s50, s51, exec_lo
	s_or_b32 s48, s48, s50
.LBB6_37:                               ;   in Loop: Header=BB6_9 Depth=3
	s_or_b32 exec_lo, exec_lo, s49
	s_delay_alu instid0(SALU_CYCLE_1)
	s_and_b32 s48, s48, exec_lo
                                        ; implicit-def: $vgpr6_vgpr7
	s_and_not1_saveexec_b32 s3, s3
	s_cbranch_execz .LBB6_24
.LBB6_38:                               ;   in Loop: Header=BB6_9 Depth=3
	s_mov_b32 s50, s48
	s_mov_b32 s49, exec_lo
                                        ; implicit-def: $vgpr12_vgpr13
	v_cmpx_lt_i32_e64 v0, v23
	s_cbranch_execz .LBB6_46
; %bb.39:                               ;   in Loop: Header=BB6_9 Depth=3
	s_mov_b32 s51, 0
                                        ; implicit-def: $sgpr50
                                        ; implicit-def: $sgpr53
                                        ; implicit-def: $sgpr52
	s_set_inst_prefetch_distance 0x1
	s_branch .LBB6_41
	.p2align	6
.LBB6_40:                               ;   in Loop: Header=BB6_41 Depth=4
	s_or_b32 exec_lo, exec_lo, s54
	s_delay_alu instid0(SALU_CYCLE_1) | instskip(NEXT) | instid1(SALU_CYCLE_1)
	s_and_b32 s54, exec_lo, s53
	s_or_b32 s51, s54, s51
	s_and_not1_b32 s50, s50, exec_lo
	s_and_b32 s54, s52, exec_lo
	s_delay_alu instid0(SALU_CYCLE_1)
	s_or_b32 s50, s50, s54
	s_and_not1_b32 exec_lo, exec_lo, s51
	s_cbranch_execz .LBB6_43
.LBB6_41:                               ;   Parent Loop BB6_3 Depth=1
                                        ;     Parent Loop BB6_5 Depth=2
                                        ;       Parent Loop BB6_9 Depth=3
                                        ; =>      This Inner Loop Header: Depth=4
	v_add_nc_u32_e32 v7, v5, v0
	s_or_b32 s52, s52, exec_lo
	s_or_b32 s53, s53, exec_lo
	s_mov_b32 s54, exec_lo
	s_delay_alu instid0(VALU_DEP_1) | instskip(NEXT) | instid1(VALU_DEP_1)
	v_ashrrev_i32_e32 v8, 31, v7
	v_lshlrev_b64 v[7:8], 2, v[7:8]
	s_delay_alu instid0(VALU_DEP_1) | instskip(NEXT) | instid1(VALU_DEP_2)
	v_add_co_u32 v9, vcc_lo, s16, v7
	v_add_co_ci_u32_e32 v10, vcc_lo, s17, v8, vcc_lo
	global_load_b32 v9, v[9:10], off
	s_waitcnt vmcnt(0)
	v_subrev_nc_u32_e32 v9, s41, v9
	s_delay_alu instid0(VALU_DEP_1)
	v_cmpx_ne_u32_e64 v9, v6
	s_cbranch_execz .LBB6_40
; %bb.42:                               ;   in Loop: Header=BB6_41 Depth=4
	v_add_nc_u32_e32 v0, 1, v0
	s_and_not1_b32 s53, s53, exec_lo
	s_and_not1_b32 s52, s52, exec_lo
	s_delay_alu instid0(VALU_DEP_1) | instskip(SKIP_1) | instid1(SALU_CYCLE_1)
	v_cmp_ge_i32_e32 vcc_lo, v0, v23
	s_and_b32 s55, vcc_lo, exec_lo
	s_or_b32 s53, s53, s55
	s_branch .LBB6_40
.LBB6_43:                               ;   in Loop: Header=BB6_9 Depth=3
	s_set_inst_prefetch_distance 0x2
	s_or_b32 exec_lo, exec_lo, s51
	s_mov_b32 s51, s48
                                        ; implicit-def: $vgpr12_vgpr13
	s_and_saveexec_b32 s52, s50
	s_delay_alu instid0(SALU_CYCLE_1)
	s_xor_b32 s50, exec_lo, s52
; %bb.44:                               ;   in Loop: Header=BB6_9 Depth=3
	v_add_co_u32 v12, vcc_lo, s38, v7
	v_add_co_ci_u32_e32 v13, vcc_lo, s39, v8, vcc_lo
	s_or_b32 s51, s48, exec_lo
; %bb.45:                               ;   in Loop: Header=BB6_9 Depth=3
	s_or_b32 exec_lo, exec_lo, s50
	s_delay_alu instid0(SALU_CYCLE_1) | instskip(SKIP_1) | instid1(SALU_CYCLE_1)
	s_and_not1_b32 s50, s48, exec_lo
	s_and_b32 s51, s51, exec_lo
	s_or_b32 s50, s50, s51
.LBB6_46:                               ;   in Loop: Header=BB6_9 Depth=3
	s_or_b32 exec_lo, exec_lo, s49
	s_delay_alu instid0(SALU_CYCLE_1) | instskip(SKIP_1) | instid1(SALU_CYCLE_1)
	s_and_not1_b32 s48, s48, exec_lo
	s_and_b32 s49, s50, exec_lo
	s_or_b32 s48, s48, s49
	s_or_b32 exec_lo, exec_lo, s3
	s_delay_alu instid0(SALU_CYCLE_1)
	s_and_b32 exec_lo, exec_lo, s48
	s_cbranch_execz .LBB6_8
.LBB6_47:                               ;   in Loop: Header=BB6_9 Depth=3
	global_store_b32 v[12:13], v4, off
	s_branch .LBB6_8
.LBB6_48:                               ;   in Loop: Header=BB6_3 Depth=1
	s_and_saveexec_b32 s3, s0
	s_cbranch_execz .LBB6_2
; %bb.49:                               ;   in Loop: Header=BB6_3 Depth=1
	v_mov_b32_e32 v2, v18
	s_mov_b32 s44, 0
	s_branch .LBB6_51
.LBB6_50:                               ;   in Loop: Header=BB6_51 Depth=2
	s_or_b32 exec_lo, exec_lo, s45
	v_add_nc_u32_e32 v2, 16, v2
	s_delay_alu instid0(VALU_DEP_1) | instskip(SKIP_1) | instid1(SALU_CYCLE_1)
	v_cmp_le_u32_e32 vcc_lo, s43, v2
	s_or_b32 s44, vcc_lo, s44
	s_and_not1_b32 exec_lo, exec_lo, s44
	s_cbranch_execz .LBB6_2
.LBB6_51:                               ;   Parent Loop BB6_3 Depth=1
                                        ; =>  This Loop Header: Depth=2
                                        ;       Child Loop BB6_54 Depth 3
                                        ;       Child Loop BB6_57 Depth 3
	s_mov_b32 s45, exec_lo
	s_delay_alu instid0(VALU_DEP_1)
	v_cmpx_gt_i32_e64 s35, v2
	s_cbranch_execz .LBB6_50
; %bb.52:                               ;   in Loop: Header=BB6_51 Depth=2
	v_ashrrev_i32_e32 v3, 31, v2
	s_mov_b32 s46, exec_lo
	s_delay_alu instid0(VALU_DEP_1) | instskip(NEXT) | instid1(VALU_DEP_1)
	v_lshlrev_b64 v[3:4], 2, v[2:3]
	v_add_co_u32 v5, vcc_lo, s12, v3
	s_delay_alu instid0(VALU_DEP_2)
	v_add_co_ci_u32_e32 v6, vcc_lo, s13, v4, vcc_lo
	v_add_co_u32 v7, vcc_lo, s14, v3
	v_add_co_ci_u32_e32 v8, vcc_lo, s15, v4, vcc_lo
	global_load_b32 v0, v[5:6], off
	global_load_b32 v6, v[7:8], off
	s_waitcnt vmcnt(1)
	v_add_nc_u32_e32 v5, v20, v0
	s_waitcnt vmcnt(0)
	v_subrev_nc_u32_e32 v0, s41, v6
	s_delay_alu instid0(VALU_DEP_1)
	v_cmpx_lt_i32_e64 v5, v0
	s_cbranch_execz .LBB6_55
; %bb.53:                               ;   in Loop: Header=BB6_51 Depth=2
	v_ashrrev_i32_e32 v6, 31, v5
	s_mov_b32 s47, 0
	s_delay_alu instid0(VALU_DEP_1) | instskip(NEXT) | instid1(VALU_DEP_1)
	v_lshlrev_b64 v[8:9], 2, v[5:6]
	v_add_co_u32 v6, vcc_lo, s38, v8
	s_delay_alu instid0(VALU_DEP_2)
	v_add_co_ci_u32_e32 v7, vcc_lo, s39, v9, vcc_lo
	v_add_co_u32 v8, vcc_lo, s18, v8
	v_add_co_ci_u32_e32 v9, vcc_lo, s19, v9, vcc_lo
	.p2align	6
.LBB6_54:                               ;   Parent Loop BB6_3 Depth=1
                                        ;     Parent Loop BB6_51 Depth=2
                                        ; =>    This Inner Loop Header: Depth=3
	global_load_b32 v10, v[6:7], off
	v_add_nc_u32_e32 v5, 64, v5
	v_add_co_u32 v6, vcc_lo, 0x100, v6
	v_add_co_ci_u32_e32 v7, vcc_lo, 0, v7, vcc_lo
	s_delay_alu instid0(VALU_DEP_3) | instskip(SKIP_4) | instid1(VALU_DEP_1)
	v_cmp_ge_i32_e32 vcc_lo, v5, v0
	s_or_b32 s47, vcc_lo, s47
	s_waitcnt vmcnt(0)
	global_store_b32 v[8:9], v10, off
	v_add_co_u32 v8, s2, 0x100, v8
	v_add_co_ci_u32_e64 v9, s2, 0, v9, s2
	s_and_not1_b32 exec_lo, exec_lo, s47
	s_cbranch_execnz .LBB6_54
.LBB6_55:                               ;   in Loop: Header=BB6_51 Depth=2
	s_or_b32 exec_lo, exec_lo, s46
	v_add_co_u32 v5, vcc_lo, s4, v3
	v_add_co_ci_u32_e32 v6, vcc_lo, s5, v4, vcc_lo
	v_add_co_u32 v7, vcc_lo, s6, v3
	v_add_co_ci_u32_e32 v8, vcc_lo, s7, v4, vcc_lo
	s_mov_b32 s46, exec_lo
	global_load_b32 v0, v[5:6], off
	global_load_b32 v6, v[7:8], off
	s_waitcnt vmcnt(1)
	v_add_nc_u32_e32 v5, v21, v0
	s_waitcnt vmcnt(0)
	v_subrev_nc_u32_e32 v0, s42, v6
	s_delay_alu instid0(VALU_DEP_1)
	v_cmpx_lt_i32_e64 v5, v0
	s_cbranch_execz .LBB6_58
; %bb.56:                               ;   in Loop: Header=BB6_51 Depth=2
	v_ashrrev_i32_e32 v6, 31, v5
	s_mov_b32 s47, 0
	s_delay_alu instid0(VALU_DEP_1) | instskip(NEXT) | instid1(VALU_DEP_1)
	v_lshlrev_b64 v[8:9], 2, v[5:6]
	v_add_co_u32 v6, vcc_lo, s36, v8
	s_delay_alu instid0(VALU_DEP_2)
	v_add_co_ci_u32_e32 v7, vcc_lo, s37, v9, vcc_lo
	v_add_co_u32 v8, vcc_lo, s10, v8
	v_add_co_ci_u32_e32 v9, vcc_lo, s11, v9, vcc_lo
	.p2align	6
.LBB6_57:                               ;   Parent Loop BB6_3 Depth=1
                                        ;     Parent Loop BB6_51 Depth=2
                                        ; =>    This Inner Loop Header: Depth=3
	global_load_b32 v10, v[6:7], off
	v_add_nc_u32_e32 v5, 64, v5
	v_add_co_u32 v6, vcc_lo, 0x100, v6
	v_add_co_ci_u32_e32 v7, vcc_lo, 0, v7, vcc_lo
	s_delay_alu instid0(VALU_DEP_3) | instskip(SKIP_4) | instid1(VALU_DEP_1)
	v_cmp_ge_i32_e32 vcc_lo, v5, v0
	s_or_b32 s47, vcc_lo, s47
	s_waitcnt vmcnt(0)
	global_store_b32 v[8:9], v10, off
	v_add_co_u32 v8, s2, 0x100, v8
	v_add_co_ci_u32_e64 v9, s2, 0, v9, s2
	s_and_not1_b32 exec_lo, exec_lo, s47
	s_cbranch_execnz .LBB6_57
.LBB6_58:                               ;   in Loop: Header=BB6_51 Depth=2
	s_or_b32 exec_lo, exec_lo, s46
	s_delay_alu instid0(SALU_CYCLE_1)
	s_and_b32 exec_lo, exec_lo, s1
	s_cbranch_execz .LBB6_50
; %bb.59:                               ;   in Loop: Header=BB6_51 Depth=2
	v_add_co_u32 v5, vcc_lo, s30, v3
	v_add_co_ci_u32_e32 v6, vcc_lo, s31, v4, vcc_lo
	v_add_co_u32 v3, vcc_lo, s28, v3
	v_add_co_ci_u32_e32 v4, vcc_lo, s29, v4, vcc_lo
	global_load_b32 v0, v[5:6], off
	s_waitcnt vmcnt(0)
	global_store_b32 v[3:4], v0, off
	s_branch .LBB6_50
.LBB6_60:
	s_nop 0
	s_sendmsg sendmsg(MSG_DEALLOC_VGPRS)
	s_endpgm
	.section	.rodata,"a",@progbits
	.p2align	6, 0x0
	.amdhsa_kernel _ZN9rocsparseL14kernel_freerunILi1024ELi64EfiiEEvT3_S1_T2_PKS2_S4_PKS1_PKT1_21rocsparse_index_base_S4_S4_S6_PS7_SB_SA_S4_S4_S6_SB_SB_SA_SB_SB_
		.amdhsa_group_segment_fixed_size 0
		.amdhsa_private_segment_fixed_size 0
		.amdhsa_kernarg_size 168
		.amdhsa_user_sgpr_count 15
		.amdhsa_user_sgpr_dispatch_ptr 0
		.amdhsa_user_sgpr_queue_ptr 0
		.amdhsa_user_sgpr_kernarg_segment_ptr 1
		.amdhsa_user_sgpr_dispatch_id 0
		.amdhsa_user_sgpr_private_segment_size 0
		.amdhsa_wavefront_size32 1
		.amdhsa_uses_dynamic_stack 0
		.amdhsa_enable_private_segment 0
		.amdhsa_system_sgpr_workgroup_id_x 1
		.amdhsa_system_sgpr_workgroup_id_y 0
		.amdhsa_system_sgpr_workgroup_id_z 0
		.amdhsa_system_sgpr_workgroup_info 0
		.amdhsa_system_vgpr_workitem_id 0
		.amdhsa_next_free_vgpr 37
		.amdhsa_next_free_sgpr 57
		.amdhsa_reserve_vcc 1
		.amdhsa_float_round_mode_32 0
		.amdhsa_float_round_mode_16_64 0
		.amdhsa_float_denorm_mode_32 3
		.amdhsa_float_denorm_mode_16_64 3
		.amdhsa_dx10_clamp 1
		.amdhsa_ieee_mode 1
		.amdhsa_fp16_overflow 0
		.amdhsa_workgroup_processor_mode 1
		.amdhsa_memory_ordered 1
		.amdhsa_forward_progress 0
		.amdhsa_shared_vgpr_count 0
		.amdhsa_exception_fp_ieee_invalid_op 0
		.amdhsa_exception_fp_denorm_src 0
		.amdhsa_exception_fp_ieee_div_zero 0
		.amdhsa_exception_fp_ieee_overflow 0
		.amdhsa_exception_fp_ieee_underflow 0
		.amdhsa_exception_fp_ieee_inexact 0
		.amdhsa_exception_int_div_zero 0
	.end_amdhsa_kernel
	.section	.text._ZN9rocsparseL14kernel_freerunILi1024ELi64EfiiEEvT3_S1_T2_PKS2_S4_PKS1_PKT1_21rocsparse_index_base_S4_S4_S6_PS7_SB_SA_S4_S4_S6_SB_SB_SA_SB_SB_,"axG",@progbits,_ZN9rocsparseL14kernel_freerunILi1024ELi64EfiiEEvT3_S1_T2_PKS2_S4_PKS1_PKT1_21rocsparse_index_base_S4_S4_S6_PS7_SB_SA_S4_S4_S6_SB_SB_SA_SB_SB_,comdat
.Lfunc_end6:
	.size	_ZN9rocsparseL14kernel_freerunILi1024ELi64EfiiEEvT3_S1_T2_PKS2_S4_PKS1_PKT1_21rocsparse_index_base_S4_S4_S6_PS7_SB_SA_S4_S4_S6_SB_SB_SA_SB_SB_, .Lfunc_end6-_ZN9rocsparseL14kernel_freerunILi1024ELi64EfiiEEvT3_S1_T2_PKS2_S4_PKS1_PKT1_21rocsparse_index_base_S4_S4_S6_PS7_SB_SA_S4_S4_S6_SB_SB_SA_SB_SB_
                                        ; -- End function
	.section	.AMDGPU.csdata,"",@progbits
; Kernel info:
; codeLenInByte = 2448
; NumSgprs: 59
; NumVgprs: 37
; ScratchSize: 0
; MemoryBound: 0
; FloatMode: 240
; IeeeMode: 1
; LDSByteSize: 0 bytes/workgroup (compile time only)
; SGPRBlocks: 7
; VGPRBlocks: 4
; NumSGPRsForWavesPerEU: 59
; NumVGPRsForWavesPerEU: 37
; Occupancy: 16
; WaveLimiterHint : 1
; COMPUTE_PGM_RSRC2:SCRATCH_EN: 0
; COMPUTE_PGM_RSRC2:USER_SGPR: 15
; COMPUTE_PGM_RSRC2:TRAP_HANDLER: 0
; COMPUTE_PGM_RSRC2:TGID_X_EN: 1
; COMPUTE_PGM_RSRC2:TGID_Y_EN: 0
; COMPUTE_PGM_RSRC2:TGID_Z_EN: 0
; COMPUTE_PGM_RSRC2:TIDIG_COMP_CNT: 0
	.section	.text._ZN9rocsparseL6kernelILi1024ELi1EfiiEEvbbbT3_PS1_NS_15floating_traitsIT1_E6data_tES1_T2_PKS7_S9_PKS1_PKS4_21rocsparse_index_base_S9_S9_SB_PS4_SF_SE_S9_S9_SB_SF_SF_SE_SF_SF_PS6_SG_PKS6_,"axG",@progbits,_ZN9rocsparseL6kernelILi1024ELi1EfiiEEvbbbT3_PS1_NS_15floating_traitsIT1_E6data_tES1_T2_PKS7_S9_PKS1_PKS4_21rocsparse_index_base_S9_S9_SB_PS4_SF_SE_S9_S9_SB_SF_SF_SE_SF_SF_PS6_SG_PKS6_,comdat
	.globl	_ZN9rocsparseL6kernelILi1024ELi1EfiiEEvbbbT3_PS1_NS_15floating_traitsIT1_E6data_tES1_T2_PKS7_S9_PKS1_PKS4_21rocsparse_index_base_S9_S9_SB_PS4_SF_SE_S9_S9_SB_SF_SF_SE_SF_SF_PS6_SG_PKS6_ ; -- Begin function _ZN9rocsparseL6kernelILi1024ELi1EfiiEEvbbbT3_PS1_NS_15floating_traitsIT1_E6data_tES1_T2_PKS7_S9_PKS1_PKS4_21rocsparse_index_base_S9_S9_SB_PS4_SF_SE_S9_S9_SB_SF_SF_SE_SF_SF_PS6_SG_PKS6_
	.p2align	8
	.type	_ZN9rocsparseL6kernelILi1024ELi1EfiiEEvbbbT3_PS1_NS_15floating_traitsIT1_E6data_tES1_T2_PKS7_S9_PKS1_PKS4_21rocsparse_index_base_S9_S9_SB_PS4_SF_SE_S9_S9_SB_SF_SF_SE_SF_SF_PS6_SG_PKS6_,@function
_ZN9rocsparseL6kernelILi1024ELi1EfiiEEvbbbT3_PS1_NS_15floating_traitsIT1_E6data_tES1_T2_PKS7_S9_PKS1_PKS4_21rocsparse_index_base_S9_S9_SB_PS4_SF_SE_S9_S9_SB_SF_SF_SE_SF_SF_PS6_SG_PKS6_: ; @_ZN9rocsparseL6kernelILi1024ELi1EfiiEEvbbbT3_PS1_NS_15floating_traitsIT1_E6data_tES1_T2_PKS7_S9_PKS1_PKS4_21rocsparse_index_base_S9_S9_SB_PS4_SF_SE_S9_S9_SB_SF_SF_SE_SF_SF_PS6_SG_PKS6_
; %bb.0:
	s_clause 0x3
	s_load_b32 s2, s[0:1], 0x0
	s_load_b64 s[34:35], s[0:1], 0x0
	s_load_b64 s[48:49], s[0:1], 0x10
	s_load_b128 s[44:47], s[0:1], 0xb8
	v_dual_mov_b32 v1, 0 :: v_dual_lshlrev_b32 v20, 2, v0
	v_dual_mov_b32 v2, 0 :: v_dual_mov_b32 v5, 0
	s_mov_b32 s58, 0
	ds_store_b32 v20, v1
	s_waitcnt lgkmcnt(0)
	s_barrier
	buffer_gl0_inv
	s_bitcmp1_b32 s2, 0
	s_cselect_b32 s57, -1, 0
	s_bitcmp1_b32 s2, 8
	s_cselect_b32 s56, -1, 0
	s_bitcmp1_b32 s34, 16
	s_cselect_b32 s33, -1, 0
	s_lshl_b32 s62, s15, 10
	s_cmp_gt_i32 s35, 0
	v_or_b32_e32 v3, s62, v0
	s_cselect_b32 s2, -1, 0
	s_delay_alu instid0(VALU_DEP_1) | instskip(SKIP_1) | instid1(SALU_CYCLE_1)
	v_cmp_gt_i32_e32 vcc_lo, s49, v3
	s_and_b32 s2, s2, vcc_lo
	s_and_saveexec_b32 s34, s2
	s_cbranch_execz .LBB7_147
; %bb.1:
	s_clause 0x1
	s_load_b256 s[16:23], s[0:1], 0x48
	s_load_b256 s[24:31], s[0:1], 0x20
	v_ashrrev_i32_e32 v4, 31, v3
	s_addk_i32 s62, 0x400
	v_cmp_gt_u32_e64 s2, 0x200, v0
	v_cmp_gt_u32_e64 s3, 0x100, v0
	;; [unrolled: 1-line block ×3, first 2 shown]
	v_lshlrev_b64 v[1:2], 2, v[3:4]
	v_cmp_gt_u32_e64 s5, 64, v0
	v_cmp_gt_u32_e64 s6, 32, v0
	;; [unrolled: 1-line block ×6, first 2 shown]
	v_cmp_eq_u32_e64 s11, 0, v0
	v_cmp_gt_u32_e64 s12, s62, v3
	s_and_b32 s15, s56, s33
	s_xor_b32 s63, s56, -1
	s_xor_b32 s64, s15, -1
	s_mov_b32 s65, 0
	s_waitcnt lgkmcnt(0)
	v_add_co_u32 v4, vcc_lo, s16, v1
	v_add_co_ci_u32_e32 v5, vcc_lo, s17, v2, vcc_lo
	v_add_co_u32 v6, vcc_lo, s18, v1
	v_add_co_ci_u32_e32 v7, vcc_lo, s19, v2, vcc_lo
	global_load_b32 v8, v[4:5], off
	v_add_co_u32 v4, vcc_lo, s24, v1
	v_add_co_ci_u32_e32 v5, vcc_lo, s25, v2, vcc_lo
	v_add_co_u32 v1, vcc_lo, s26, v1
	v_add_co_ci_u32_e32 v2, vcc_lo, s27, v2, vcc_lo
	global_load_b32 v7, v[6:7], off
	global_load_b32 v9, v[4:5], off
	;; [unrolled: 1-line block ×3, first 2 shown]
	s_clause 0x7
	s_load_b32 s59, s[0:1], 0x70
	s_load_b64 s[50:51], s[0:1], 0x68
	s_load_b64 s[52:53], s[0:1], 0xc8
	s_load_b128 s[24:27], s[0:1], 0xa8
	s_load_b256 s[36:43], s[0:1], 0x78
	s_load_b32 s60, s[0:1], 0x40
	s_load_b64 s[54:55], s[0:1], 0x98
	s_load_b32 s61, s[0:1], 0xa0
	v_dual_mov_b32 v6, 0 :: v_dual_mov_b32 v21, 0
	v_mov_b32_e32 v2, 0
	s_waitcnt vmcnt(3) lgkmcnt(0)
	v_subrev_nc_u32_e32 v4, s59, v8
	s_delay_alu instid0(VALU_DEP_1)
	v_ashrrev_i32_e32 v5, 31, v4
	s_waitcnt vmcnt(2)
	v_sub_nc_u32_e32 v22, v7, v8
	s_waitcnt vmcnt(1)
	v_subrev_nc_u32_e32 v23, s60, v9
	v_lshlrev_b64 v[7:8], 2, v[4:5]
	s_waitcnt vmcnt(0)
	v_subrev_nc_u32_e32 v24, s60, v1
	v_cmp_lt_i32_e64 s13, v9, v1
	v_mov_b32_e32 v1, 0
	v_cmp_lt_i32_e64 s14, 0, v22
	v_add_co_u32 v25, vcc_lo, s20, v7
	v_add_co_ci_u32_e32 v26, vcc_lo, s21, v8, vcc_lo
	v_add_co_u32 v27, vcc_lo, s22, v7
	v_add_co_ci_u32_e32 v28, vcc_lo, s23, v8, vcc_lo
	s_branch .LBB7_3
.LBB7_2:                                ;   in Loop: Header=BB7_3 Depth=1
	s_or_b32 exec_lo, exec_lo, s67
	s_delay_alu instid0(SALU_CYCLE_1) | instskip(NEXT) | instid1(SALU_CYCLE_1)
	s_and_b32 s15, exec_lo, s66
	s_or_b32 s58, s15, s58
	s_delay_alu instid0(SALU_CYCLE_1)
	s_and_not1_b32 exec_lo, exec_lo, s58
	s_cbranch_execz .LBB7_146
.LBB7_3:                                ; =>This Loop Header: Depth=1
                                        ;     Child Loop BB7_10 Depth 2
                                        ;       Child Loop BB7_14 Depth 3
                                        ;       Child Loop BB7_35 Depth 3
	;; [unrolled: 1-line block ×5, first 2 shown]
                                        ;     Child Loop BB7_127 Depth 2
                                        ;       Child Loop BB7_130 Depth 3
                                        ;       Child Loop BB7_133 Depth 3
	v_cndmask_b32_e64 v2, v2, 0, s56
	v_cndmask_b32_e64 v1, v1, 0, s33
	s_and_saveexec_b32 s66, s13
	s_cbranch_execnz .LBB7_7
; %bb.4:                                ;   in Loop: Header=BB7_3 Depth=1
	s_or_b32 exec_lo, exec_lo, s66
	s_delay_alu instid0(SALU_CYCLE_1)
	s_and_not1_b32 vcc_lo, exec_lo, s56
	s_cbranch_vccz .LBB7_82
.LBB7_5:                                ;   in Loop: Header=BB7_3 Depth=1
	s_and_not1_b32 vcc_lo, exec_lo, s33
	s_cbranch_vccz .LBB7_103
.LBB7_6:                                ;   in Loop: Header=BB7_3 Depth=1
	s_and_saveexec_b32 s66, s12
	s_cbranch_execnz .LBB7_124
	s_branch .LBB7_134
.LBB7_7:                                ;   in Loop: Header=BB7_3 Depth=1
	v_mov_b32_e32 v7, v23
	s_mov_b32 s67, 0
	s_branch .LBB7_10
.LBB7_8:                                ;   in Loop: Header=BB7_10 Depth=2
	s_or_b32 exec_lo, exec_lo, s68
.LBB7_9:                                ;   in Loop: Header=BB7_10 Depth=2
	s_delay_alu instid0(SALU_CYCLE_1) | instskip(SKIP_1) | instid1(VALU_DEP_1)
	s_or_b32 exec_lo, exec_lo, s15
	v_add_nc_u32_e32 v7, 1, v7
	v_cmp_ge_i32_e32 vcc_lo, v7, v24
	s_or_b32 s67, vcc_lo, s67
	s_delay_alu instid0(SALU_CYCLE_1)
	s_and_not1_b32 exec_lo, exec_lo, s67
	s_cbranch_execz .LBB7_81
.LBB7_10:                               ;   Parent Loop BB7_3 Depth=1
                                        ; =>  This Loop Header: Depth=2
                                        ;       Child Loop BB7_14 Depth 3
                                        ;       Child Loop BB7_35 Depth 3
	;; [unrolled: 1-line block ×5, first 2 shown]
	s_delay_alu instid0(VALU_DEP_1) | instskip(SKIP_1) | instid1(VALU_DEP_2)
	v_ashrrev_i32_e32 v8, 31, v7
	v_mov_b32_e32 v29, 0
	v_lshlrev_b64 v[14:15], 2, v[7:8]
	s_delay_alu instid0(VALU_DEP_1) | instskip(NEXT) | instid1(VALU_DEP_2)
	v_add_co_u32 v8, vcc_lo, s28, v14
	v_add_co_ci_u32_e32 v9, vcc_lo, s29, v15, vcc_lo
	global_load_b32 v5, v[8:9], off
	s_waitcnt vmcnt(0)
	v_subrev_nc_u32_e32 v10, s60, v5
	s_delay_alu instid0(VALU_DEP_1) | instskip(NEXT) | instid1(VALU_DEP_1)
	v_ashrrev_i32_e32 v11, 31, v10
	v_lshlrev_b64 v[8:9], 2, v[10:11]
	s_delay_alu instid0(VALU_DEP_1) | instskip(NEXT) | instid1(VALU_DEP_2)
	v_add_co_u32 v11, vcc_lo, s36, v8
	v_add_co_ci_u32_e32 v12, vcc_lo, s37, v9, vcc_lo
	v_add_co_u32 v16, vcc_lo, s38, v8
	v_add_co_ci_u32_e32 v17, vcc_lo, s39, v9, vcc_lo
	global_load_b32 v5, v[11:12], off
	global_load_b32 v13, v[16:17], off
	v_mov_b32_e32 v12, 0
	s_waitcnt vmcnt(1)
	v_subrev_nc_u32_e32 v11, s61, v5
	s_waitcnt vmcnt(0)
	v_sub_nc_u32_e32 v30, v13, v5
	v_mov_b32_e32 v5, 0
	s_and_saveexec_b32 s68, s14
	s_cbranch_execz .LBB7_18
; %bb.11:                               ;   in Loop: Header=BB7_10 Depth=2
	v_ashrrev_i32_e32 v12, 31, v11
	v_mov_b32_e32 v5, 0
	v_mov_b32_e32 v29, 0
	s_mov_b32 s69, 0
                                        ; implicit-def: $sgpr70
	s_delay_alu instid0(VALU_DEP_3) | instskip(NEXT) | instid1(VALU_DEP_1)
	v_lshlrev_b64 v[12:13], 2, v[11:12]
	v_add_co_u32 v31, vcc_lo, s40, v12
	s_delay_alu instid0(VALU_DEP_2)
	v_add_co_ci_u32_e32 v32, vcc_lo, s41, v13, vcc_lo
	v_add_co_u32 v33, vcc_lo, s42, v12
	v_mov_b32_e32 v12, v5
	v_add_co_ci_u32_e32 v34, vcc_lo, s43, v13, vcc_lo
	s_branch .LBB7_14
.LBB7_12:                               ;   in Loop: Header=BB7_14 Depth=3
	s_or_b32 exec_lo, exec_lo, s15
	v_cmp_le_i32_e32 vcc_lo, v13, v35
	v_cmp_ge_i32_e64 s15, v13, v35
	v_add_co_ci_u32_e32 v5, vcc_lo, 0, v5, vcc_lo
	s_delay_alu instid0(VALU_DEP_2) | instskip(SKIP_1) | instid1(VALU_DEP_2)
	v_add_co_ci_u32_e64 v12, s15, 0, v12, s15
	s_and_not1_b32 s15, s70, exec_lo
	v_cmp_ge_i32_e32 vcc_lo, v5, v22
	s_and_b32 s70, vcc_lo, exec_lo
	s_delay_alu instid0(SALU_CYCLE_1)
	s_or_b32 s70, s15, s70
.LBB7_13:                               ;   in Loop: Header=BB7_14 Depth=3
	s_or_b32 exec_lo, exec_lo, s71
	s_delay_alu instid0(SALU_CYCLE_1) | instskip(NEXT) | instid1(SALU_CYCLE_1)
	s_and_b32 s15, exec_lo, s70
	s_or_b32 s69, s15, s69
	s_delay_alu instid0(SALU_CYCLE_1)
	s_and_not1_b32 exec_lo, exec_lo, s69
	s_cbranch_execz .LBB7_17
.LBB7_14:                               ;   Parent Loop BB7_3 Depth=1
                                        ;     Parent Loop BB7_10 Depth=2
                                        ; =>    This Inner Loop Header: Depth=3
	s_or_b32 s70, s70, exec_lo
	s_mov_b32 s71, exec_lo
	v_cmpx_lt_i32_e64 v12, v30
	s_cbranch_execz .LBB7_13
; %bb.15:                               ;   in Loop: Header=BB7_14 Depth=3
	v_mov_b32_e32 v13, v6
	v_lshlrev_b64 v[18:19], 2, v[5:6]
	s_mov_b32 s15, exec_lo
	s_delay_alu instid0(VALU_DEP_2) | instskip(NEXT) | instid1(VALU_DEP_2)
	v_lshlrev_b64 v[16:17], 2, v[12:13]
	v_add_co_u32 v35, vcc_lo, v25, v18
	s_delay_alu instid0(VALU_DEP_3) | instskip(NEXT) | instid1(VALU_DEP_3)
	v_add_co_ci_u32_e32 v36, vcc_lo, v26, v19, vcc_lo
	v_add_co_u32 v37, vcc_lo, v31, v16
	s_delay_alu instid0(VALU_DEP_4)
	v_add_co_ci_u32_e32 v38, vcc_lo, v32, v17, vcc_lo
	global_load_b32 v13, v[35:36], off
	global_load_b32 v35, v[37:38], off
	s_waitcnt vmcnt(1)
	v_subrev_nc_u32_e32 v13, s59, v13
	s_waitcnt vmcnt(0)
	v_subrev_nc_u32_e32 v35, s61, v35
	s_delay_alu instid0(VALU_DEP_1)
	v_cmpx_eq_u32_e64 v13, v35
	s_cbranch_execz .LBB7_12
; %bb.16:                               ;   in Loop: Header=BB7_14 Depth=3
	v_add_co_u32 v18, vcc_lo, v27, v18
	v_add_co_ci_u32_e32 v19, vcc_lo, v28, v19, vcc_lo
	v_add_co_u32 v16, vcc_lo, v33, v16
	v_add_co_ci_u32_e32 v17, vcc_lo, v34, v17, vcc_lo
	global_load_b32 v18, v[18:19], off
	global_load_b32 v16, v[16:17], off
	s_waitcnt vmcnt(0)
	v_fmac_f32_e32 v29, v18, v16
	s_branch .LBB7_12
.LBB7_17:                               ;   in Loop: Header=BB7_10 Depth=2
	s_or_b32 exec_lo, exec_lo, s69
.LBB7_18:                               ;   in Loop: Header=BB7_10 Depth=2
	s_delay_alu instid0(SALU_CYCLE_1)
	s_or_b32 exec_lo, exec_lo, s68
	v_add_co_u32 v13, vcc_lo, s30, v14
	v_add_co_ci_u32_e32 v14, vcc_lo, s31, v15, vcc_lo
	v_cmp_le_i32_e64 s15, v3, v10
	s_mov_b32 s68, exec_lo
	global_load_b32 v15, v[13:14], off
	s_waitcnt vmcnt(0)
	v_sub_f32_e32 v16, v15, v29
	v_cmpx_gt_i32_e64 v3, v10
	s_cbranch_execnz .LBB7_21
; %bb.19:                               ;   in Loop: Header=BB7_10 Depth=2
	s_or_b32 exec_lo, exec_lo, s68
	s_delay_alu instid0(VALU_DEP_2) | instskip(NEXT) | instid1(VALU_DEP_1)
	v_cmp_class_f32_e64 s68, v16, 0x1f8
	s_and_saveexec_b32 s69, s68
	s_cbranch_execnz .LBB7_24
.LBB7_20:                               ;   in Loop: Header=BB7_10 Depth=2
	s_or_b32 exec_lo, exec_lo, s69
	s_and_b32 s68, s68, s33
	s_delay_alu instid0(SALU_CYCLE_1)
	s_and_saveexec_b32 s15, s68
	s_cbranch_execz .LBB7_9
	s_branch .LBB7_59
.LBB7_21:                               ;   in Loop: Header=BB7_10 Depth=2
	v_add_co_u32 v13, vcc_lo, s24, v8
	v_add_co_ci_u32_e32 v14, vcc_lo, s25, v9, vcc_lo
	s_mov_b32 s69, exec_lo
	global_load_b32 v13, v[13:14], off
	v_mov_b32_e32 v14, 0
	s_waitcnt vmcnt(0)
	v_cmpx_lg_f32_e32 0, v13
; %bb.22:                               ;   in Loop: Header=BB7_10 Depth=2
	v_div_scale_f32 v14, null, v13, v13, v16
	s_delay_alu instid0(VALU_DEP_1) | instskip(SKIP_2) | instid1(VALU_DEP_1)
	v_rcp_f32_e32 v17, v14
	s_waitcnt_depctr 0xfff
	v_fma_f32 v18, -v14, v17, 1.0
	v_fmac_f32_e32 v17, v18, v17
	v_div_scale_f32 v18, vcc_lo, v16, v13, v16
	s_delay_alu instid0(VALU_DEP_1) | instskip(NEXT) | instid1(VALU_DEP_1)
	v_mul_f32_e32 v19, v18, v17
	v_fma_f32 v31, -v14, v19, v18
	s_delay_alu instid0(VALU_DEP_1) | instskip(NEXT) | instid1(VALU_DEP_1)
	v_fmac_f32_e32 v19, v31, v17
	v_fma_f32 v14, -v14, v19, v18
	s_delay_alu instid0(VALU_DEP_1) | instskip(NEXT) | instid1(VALU_DEP_1)
	v_div_fmas_f32 v14, v14, v17, v19
	v_div_fixup_f32 v14, v14, v13, v16
; %bb.23:                               ;   in Loop: Header=BB7_10 Depth=2
	s_or_b32 exec_lo, exec_lo, s69
	s_delay_alu instid0(VALU_DEP_1) | instskip(SKIP_1) | instid1(VALU_DEP_1)
	v_mov_b32_e32 v16, v14
	s_or_b32 exec_lo, exec_lo, s68
	v_cmp_class_f32_e64 s68, v16, 0x1f8
	s_delay_alu instid0(VALU_DEP_1)
	s_and_saveexec_b32 s69, s68
	s_cbranch_execz .LBB7_20
.LBB7_24:                               ;   in Loop: Header=BB7_10 Depth=2
	s_and_saveexec_b32 s70, s15
	s_delay_alu instid0(SALU_CYCLE_1)
	s_xor_b32 s15, exec_lo, s70
	s_cbranch_execz .LBB7_45
; %bb.25:                               ;   in Loop: Header=BB7_10 Depth=2
	s_mov_b32 s70, exec_lo
	v_cmpx_ge_i32_e64 v3, v10
	s_xor_b32 s70, exec_lo, s70
	s_cbranch_execz .LBB7_31
; %bb.26:                               ;   in Loop: Header=BB7_10 Depth=2
	v_add_co_u32 v13, vcc_lo, s26, v8
	v_add_co_ci_u32_e32 v14, vcc_lo, s27, v9, vcc_lo
	s_and_not1_b32 vcc_lo, exec_lo, s56
	global_store_b32 v[13:14], v16, off
	s_cbranch_vccnz .LBB7_30
; %bb.27:                               ;   in Loop: Header=BB7_10 Depth=2
	v_add_co_u32 v13, vcc_lo, s24, v8
	v_add_co_ci_u32_e32 v14, vcc_lo, s25, v9, vcc_lo
	global_load_b32 v13, v[13:14], off
	s_waitcnt vmcnt(0)
	v_sub_f32_e32 v13, v13, v16
	s_delay_alu instid0(VALU_DEP_1) | instskip(NEXT) | instid1(VALU_DEP_1)
	v_cmp_class_f32_e64 s72, v13, 0x1f8
	s_and_saveexec_b32 s71, s72
; %bb.28:                               ;   in Loop: Header=BB7_10 Depth=2
	v_cmp_lt_f32_e64 s72, v2, |v13|
	s_delay_alu instid0(VALU_DEP_1)
	v_cndmask_b32_e64 v2, v2, |v13|, s72
; %bb.29:                               ;   in Loop: Header=BB7_10 Depth=2
	s_or_b32 exec_lo, exec_lo, s71
.LBB7_30:                               ;   in Loop: Header=BB7_10 Depth=2
                                        ; implicit-def: $vgpr16
.LBB7_31:                               ;   in Loop: Header=BB7_10 Depth=2
	s_and_not1_saveexec_b32 s70, s70
	s_cbranch_execz .LBB7_44
; %bb.32:                               ;   in Loop: Header=BB7_10 Depth=2
	s_mov_b32 s71, exec_lo
	v_cmpx_lt_i32_e64 v12, v30
	s_cbranch_execz .LBB7_43
; %bb.33:                               ;   in Loop: Header=BB7_10 Depth=2
	v_mov_b32_e32 v17, v12
	s_mov_b32 s72, 0
                                        ; implicit-def: $sgpr73
                                        ; implicit-def: $sgpr75
                                        ; implicit-def: $sgpr74
	s_set_inst_prefetch_distance 0x1
	s_branch .LBB7_35
	.p2align	6
.LBB7_34:                               ;   in Loop: Header=BB7_35 Depth=3
	s_or_b32 exec_lo, exec_lo, s76
	s_delay_alu instid0(SALU_CYCLE_1) | instskip(NEXT) | instid1(SALU_CYCLE_1)
	s_and_b32 s76, exec_lo, s75
	s_or_b32 s72, s76, s72
	s_and_not1_b32 s73, s73, exec_lo
	s_and_b32 s76, s74, exec_lo
	s_delay_alu instid0(SALU_CYCLE_1)
	s_or_b32 s73, s73, s76
	s_and_not1_b32 exec_lo, exec_lo, s72
	s_cbranch_execz .LBB7_37
.LBB7_35:                               ;   Parent Loop BB7_3 Depth=1
                                        ;     Parent Loop BB7_10 Depth=2
                                        ; =>    This Inner Loop Header: Depth=3
	s_delay_alu instid0(VALU_DEP_1) | instskip(SKIP_3) | instid1(VALU_DEP_1)
	v_add_nc_u32_e32 v13, v11, v17
	s_or_b32 s74, s74, exec_lo
	s_or_b32 s75, s75, exec_lo
	s_mov_b32 s76, exec_lo
	v_ashrrev_i32_e32 v14, 31, v13
	s_delay_alu instid0(VALU_DEP_1) | instskip(NEXT) | instid1(VALU_DEP_1)
	v_lshlrev_b64 v[13:14], 2, v[13:14]
	v_add_co_u32 v18, vcc_lo, s40, v13
	s_delay_alu instid0(VALU_DEP_2) | instskip(SKIP_3) | instid1(VALU_DEP_1)
	v_add_co_ci_u32_e32 v19, vcc_lo, s41, v14, vcc_lo
	global_load_b32 v18, v[18:19], off
	s_waitcnt vmcnt(0)
	v_subrev_nc_u32_e32 v18, s61, v18
	v_cmpx_ne_u32_e64 v18, v3
	s_cbranch_execz .LBB7_34
; %bb.36:                               ;   in Loop: Header=BB7_35 Depth=3
	v_add_nc_u32_e32 v17, 1, v17
	s_and_not1_b32 s75, s75, exec_lo
	s_and_not1_b32 s74, s74, exec_lo
	s_delay_alu instid0(VALU_DEP_1) | instskip(SKIP_1) | instid1(SALU_CYCLE_1)
	v_cmp_ge_i32_e32 vcc_lo, v17, v30
	s_and_b32 s77, vcc_lo, exec_lo
	s_or_b32 s75, s75, s77
	s_branch .LBB7_34
.LBB7_37:                               ;   in Loop: Header=BB7_10 Depth=2
	s_set_inst_prefetch_distance 0x2
	s_or_b32 exec_lo, exec_lo, s72
	s_and_saveexec_b32 s72, s73
	s_delay_alu instid0(SALU_CYCLE_1)
	s_xor_b32 s72, exec_lo, s72
	s_cbranch_execz .LBB7_42
; %bb.38:                               ;   in Loop: Header=BB7_10 Depth=2
	v_add_co_u32 v17, vcc_lo, s54, v13
	v_add_co_ci_u32_e32 v18, vcc_lo, s55, v14, vcc_lo
	s_and_not1_b32 vcc_lo, exec_lo, s56
	global_store_b32 v[17:18], v16, off
	s_cbranch_vccnz .LBB7_42
; %bb.39:                               ;   in Loop: Header=BB7_10 Depth=2
	v_add_co_u32 v13, vcc_lo, s42, v13
	v_add_co_ci_u32_e32 v14, vcc_lo, s43, v14, vcc_lo
	global_load_b32 v13, v[13:14], off
	s_waitcnt vmcnt(0)
	v_sub_f32_e32 v13, v13, v16
	s_delay_alu instid0(VALU_DEP_1) | instskip(NEXT) | instid1(VALU_DEP_1)
	v_cmp_class_f32_e64 s74, v13, 0x1f8
	s_and_saveexec_b32 s73, s74
; %bb.40:                               ;   in Loop: Header=BB7_10 Depth=2
	v_cmp_lt_f32_e64 s74, v2, |v13|
	s_delay_alu instid0(VALU_DEP_1)
	v_cndmask_b32_e64 v2, v2, |v13|, s74
; %bb.41:                               ;   in Loop: Header=BB7_10 Depth=2
	s_or_b32 exec_lo, exec_lo, s73
.LBB7_42:                               ;   in Loop: Header=BB7_10 Depth=2
	s_delay_alu instid0(SALU_CYCLE_1)
	s_or_b32 exec_lo, exec_lo, s72
.LBB7_43:                               ;   in Loop: Header=BB7_10 Depth=2
	s_delay_alu instid0(SALU_CYCLE_1)
	s_or_b32 exec_lo, exec_lo, s71
.LBB7_44:                               ;   in Loop: Header=BB7_10 Depth=2
	s_delay_alu instid0(SALU_CYCLE_1)
	s_or_b32 exec_lo, exec_lo, s70
                                        ; implicit-def: $vgpr16
.LBB7_45:                               ;   in Loop: Header=BB7_10 Depth=2
	s_and_not1_saveexec_b32 s15, s15
	s_cbranch_execz .LBB7_58
; %bb.46:                               ;   in Loop: Header=BB7_10 Depth=2
	s_mov_b32 s70, exec_lo
	v_cmpx_lt_i32_e64 v5, v22
	s_cbranch_execz .LBB7_57
; %bb.47:                               ;   in Loop: Header=BB7_10 Depth=2
	v_mov_b32_e32 v17, v5
	s_mov_b32 s71, 0
                                        ; implicit-def: $sgpr72
                                        ; implicit-def: $sgpr74
                                        ; implicit-def: $sgpr73
	s_set_inst_prefetch_distance 0x1
	s_branch .LBB7_49
	.p2align	6
.LBB7_48:                               ;   in Loop: Header=BB7_49 Depth=3
	s_or_b32 exec_lo, exec_lo, s75
	s_delay_alu instid0(SALU_CYCLE_1) | instskip(NEXT) | instid1(SALU_CYCLE_1)
	s_and_b32 s75, exec_lo, s74
	s_or_b32 s71, s75, s71
	s_and_not1_b32 s72, s72, exec_lo
	s_and_b32 s75, s73, exec_lo
	s_delay_alu instid0(SALU_CYCLE_1)
	s_or_b32 s72, s72, s75
	s_and_not1_b32 exec_lo, exec_lo, s71
	s_cbranch_execz .LBB7_51
.LBB7_49:                               ;   Parent Loop BB7_3 Depth=1
                                        ;     Parent Loop BB7_10 Depth=2
                                        ; =>    This Inner Loop Header: Depth=3
	s_delay_alu instid0(VALU_DEP_1) | instskip(SKIP_3) | instid1(VALU_DEP_1)
	v_add_nc_u32_e32 v13, v4, v17
	s_or_b32 s73, s73, exec_lo
	s_or_b32 s74, s74, exec_lo
	s_mov_b32 s75, exec_lo
	v_ashrrev_i32_e32 v14, 31, v13
	s_delay_alu instid0(VALU_DEP_1) | instskip(NEXT) | instid1(VALU_DEP_1)
	v_lshlrev_b64 v[13:14], 2, v[13:14]
	v_add_co_u32 v18, vcc_lo, s20, v13
	s_delay_alu instid0(VALU_DEP_2) | instskip(SKIP_3) | instid1(VALU_DEP_1)
	v_add_co_ci_u32_e32 v19, vcc_lo, s21, v14, vcc_lo
	global_load_b32 v18, v[18:19], off
	s_waitcnt vmcnt(0)
	v_subrev_nc_u32_e32 v18, s59, v18
	v_cmpx_ne_u32_e64 v18, v10
	s_cbranch_execz .LBB7_48
; %bb.50:                               ;   in Loop: Header=BB7_49 Depth=3
	v_add_nc_u32_e32 v17, 1, v17
	s_and_not1_b32 s74, s74, exec_lo
	s_and_not1_b32 s73, s73, exec_lo
	s_delay_alu instid0(VALU_DEP_1) | instskip(SKIP_1) | instid1(SALU_CYCLE_1)
	v_cmp_ge_i32_e32 vcc_lo, v17, v22
	s_and_b32 s76, vcc_lo, exec_lo
	s_or_b32 s74, s74, s76
	s_branch .LBB7_48
.LBB7_51:                               ;   in Loop: Header=BB7_10 Depth=2
	s_set_inst_prefetch_distance 0x2
	s_or_b32 exec_lo, exec_lo, s71
	s_and_saveexec_b32 s71, s72
	s_delay_alu instid0(SALU_CYCLE_1)
	s_xor_b32 s71, exec_lo, s71
	s_cbranch_execz .LBB7_56
; %bb.52:                               ;   in Loop: Header=BB7_10 Depth=2
	v_add_co_u32 v17, vcc_lo, s50, v13
	v_add_co_ci_u32_e32 v18, vcc_lo, s51, v14, vcc_lo
	s_and_not1_b32 vcc_lo, exec_lo, s56
	global_store_b32 v[17:18], v16, off
	s_cbranch_vccnz .LBB7_56
; %bb.53:                               ;   in Loop: Header=BB7_10 Depth=2
	v_add_co_u32 v13, vcc_lo, s22, v13
	v_add_co_ci_u32_e32 v14, vcc_lo, s23, v14, vcc_lo
	global_load_b32 v13, v[13:14], off
	s_waitcnt vmcnt(0)
	v_sub_f32_e32 v13, v13, v16
	s_delay_alu instid0(VALU_DEP_1) | instskip(NEXT) | instid1(VALU_DEP_1)
	v_cmp_class_f32_e64 s73, v13, 0x1f8
	s_and_saveexec_b32 s72, s73
; %bb.54:                               ;   in Loop: Header=BB7_10 Depth=2
	v_cmp_lt_f32_e64 s73, v2, |v13|
	s_delay_alu instid0(VALU_DEP_1)
	v_cndmask_b32_e64 v2, v2, |v13|, s73
; %bb.55:                               ;   in Loop: Header=BB7_10 Depth=2
	s_or_b32 exec_lo, exec_lo, s72
.LBB7_56:                               ;   in Loop: Header=BB7_10 Depth=2
	s_delay_alu instid0(SALU_CYCLE_1)
	s_or_b32 exec_lo, exec_lo, s71
.LBB7_57:                               ;   in Loop: Header=BB7_10 Depth=2
	s_delay_alu instid0(SALU_CYCLE_1)
	s_or_b32 exec_lo, exec_lo, s70
.LBB7_58:                               ;   in Loop: Header=BB7_10 Depth=2
	s_delay_alu instid0(SALU_CYCLE_1) | instskip(NEXT) | instid1(SALU_CYCLE_1)
	s_or_b32 exec_lo, exec_lo, s15
	s_or_b32 exec_lo, exec_lo, s69
	s_and_b32 s68, s68, s33
	s_delay_alu instid0(SALU_CYCLE_1)
	s_and_saveexec_b32 s15, s68
	s_cbranch_execz .LBB7_9
.LBB7_59:                               ;   in Loop: Header=BB7_10 Depth=2
	s_mov_b32 s68, exec_lo
	v_cmpx_ge_i32_e64 v12, v30
	s_xor_b32 s68, exec_lo, s68
	s_cbranch_execnz .LBB7_65
; %bb.60:                               ;   in Loop: Header=BB7_10 Depth=2
	s_and_not1_saveexec_b32 s68, s68
	s_cbranch_execnz .LBB7_74
.LBB7_61:                               ;   in Loop: Header=BB7_10 Depth=2
	s_or_b32 exec_lo, exec_lo, s68
	s_delay_alu instid0(SALU_CYCLE_1)
	s_mov_b32 s68, exec_lo
	v_cmpx_eq_u32_e64 v3, v10
	s_cbranch_execz .LBB7_63
.LBB7_62:                               ;   in Loop: Header=BB7_10 Depth=2
	v_add_co_u32 v8, vcc_lo, s24, v8
	v_add_co_ci_u32_e32 v9, vcc_lo, s25, v9, vcc_lo
	global_load_b32 v5, v[8:9], off
	s_waitcnt vmcnt(0)
	v_add_f32_e32 v29, v29, v5
.LBB7_63:                               ;   in Loop: Header=BB7_10 Depth=2
	s_or_b32 exec_lo, exec_lo, s68
	s_delay_alu instid0(VALU_DEP_1) | instskip(NEXT) | instid1(VALU_DEP_1)
	v_sub_f32_e32 v5, v15, v29
	v_cmp_class_f32_e64 s69, v5, 0x1f8
	s_delay_alu instid0(VALU_DEP_1)
	s_and_saveexec_b32 s68, s69
	s_cbranch_execz .LBB7_8
; %bb.64:                               ;   in Loop: Header=BB7_10 Depth=2
	v_cmp_lt_f32_e64 s69, v1, |v5|
	s_delay_alu instid0(VALU_DEP_1)
	v_cndmask_b32_e64 v1, v1, |v5|, s69
	s_branch .LBB7_8
.LBB7_65:                               ;   in Loop: Header=BB7_10 Depth=2
	s_mov_b32 s69, exec_lo
	v_cmpx_lt_i32_e64 v5, v22
	s_cbranch_execz .LBB7_73
; %bb.66:                               ;   in Loop: Header=BB7_10 Depth=2
	s_mov_b32 s70, 0
                                        ; implicit-def: $sgpr71
                                        ; implicit-def: $sgpr73
                                        ; implicit-def: $sgpr72
	s_set_inst_prefetch_distance 0x1
	s_branch .LBB7_68
	.p2align	6
.LBB7_67:                               ;   in Loop: Header=BB7_68 Depth=3
	s_or_b32 exec_lo, exec_lo, s74
	s_delay_alu instid0(SALU_CYCLE_1) | instskip(NEXT) | instid1(SALU_CYCLE_1)
	s_and_b32 s74, exec_lo, s73
	s_or_b32 s70, s74, s70
	s_and_not1_b32 s71, s71, exec_lo
	s_and_b32 s74, s72, exec_lo
	s_delay_alu instid0(SALU_CYCLE_1)
	s_or_b32 s71, s71, s74
	s_and_not1_b32 exec_lo, exec_lo, s70
	s_cbranch_execz .LBB7_70
.LBB7_68:                               ;   Parent Loop BB7_3 Depth=1
                                        ;     Parent Loop BB7_10 Depth=2
                                        ; =>    This Inner Loop Header: Depth=3
	v_add_nc_u32_e32 v11, v4, v5
	s_or_b32 s72, s72, exec_lo
	s_or_b32 s73, s73, exec_lo
	s_mov_b32 s74, exec_lo
	s_delay_alu instid0(VALU_DEP_1) | instskip(NEXT) | instid1(VALU_DEP_1)
	v_ashrrev_i32_e32 v12, 31, v11
	v_lshlrev_b64 v[11:12], 2, v[11:12]
	s_delay_alu instid0(VALU_DEP_1) | instskip(NEXT) | instid1(VALU_DEP_2)
	v_add_co_u32 v13, vcc_lo, s20, v11
	v_add_co_ci_u32_e32 v14, vcc_lo, s21, v12, vcc_lo
	global_load_b32 v13, v[13:14], off
	s_waitcnt vmcnt(0)
	v_subrev_nc_u32_e32 v13, s59, v13
	s_delay_alu instid0(VALU_DEP_1)
	v_cmpx_ne_u32_e64 v13, v10
	s_cbranch_execz .LBB7_67
; %bb.69:                               ;   in Loop: Header=BB7_68 Depth=3
	v_add_nc_u32_e32 v5, 1, v5
	s_and_not1_b32 s73, s73, exec_lo
	s_and_not1_b32 s72, s72, exec_lo
	s_delay_alu instid0(VALU_DEP_1) | instskip(SKIP_1) | instid1(SALU_CYCLE_1)
	v_cmp_ge_i32_e32 vcc_lo, v5, v22
	s_and_b32 s75, vcc_lo, exec_lo
	s_or_b32 s73, s73, s75
	s_branch .LBB7_67
.LBB7_70:                               ;   in Loop: Header=BB7_10 Depth=2
	s_set_inst_prefetch_distance 0x2
	s_or_b32 exec_lo, exec_lo, s70
	s_and_saveexec_b32 s70, s71
	s_delay_alu instid0(SALU_CYCLE_1)
	s_xor_b32 s70, exec_lo, s70
	s_cbranch_execz .LBB7_72
; %bb.71:                               ;   in Loop: Header=BB7_10 Depth=2
	v_add_co_u32 v11, vcc_lo, s22, v11
	v_add_co_ci_u32_e32 v12, vcc_lo, s23, v12, vcc_lo
	v_add_co_u32 v13, vcc_lo, s24, v8
	v_add_co_ci_u32_e32 v14, vcc_lo, s25, v9, vcc_lo
	global_load_b32 v5, v[11:12], off
	global_load_b32 v11, v[13:14], off
	s_waitcnt vmcnt(0)
	v_fmac_f32_e32 v29, v5, v11
.LBB7_72:                               ;   in Loop: Header=BB7_10 Depth=2
	s_or_b32 exec_lo, exec_lo, s70
.LBB7_73:                               ;   in Loop: Header=BB7_10 Depth=2
	s_delay_alu instid0(SALU_CYCLE_1)
	s_or_b32 exec_lo, exec_lo, s69
                                        ; implicit-def: $vgpr12
                                        ; implicit-def: $vgpr11
                                        ; implicit-def: $vgpr30
	s_and_not1_saveexec_b32 s68, s68
	s_cbranch_execz .LBB7_61
.LBB7_74:                               ;   in Loop: Header=BB7_10 Depth=2
	s_mov_b32 s69, 0
                                        ; implicit-def: $sgpr70
                                        ; implicit-def: $sgpr72
                                        ; implicit-def: $sgpr71
	s_set_inst_prefetch_distance 0x1
	s_branch .LBB7_76
	.p2align	6
.LBB7_75:                               ;   in Loop: Header=BB7_76 Depth=3
	s_or_b32 exec_lo, exec_lo, s73
	s_delay_alu instid0(SALU_CYCLE_1) | instskip(NEXT) | instid1(SALU_CYCLE_1)
	s_and_b32 s73, exec_lo, s72
	s_or_b32 s69, s73, s69
	s_and_not1_b32 s70, s70, exec_lo
	s_and_b32 s73, s71, exec_lo
	s_delay_alu instid0(SALU_CYCLE_1)
	s_or_b32 s70, s70, s73
	s_and_not1_b32 exec_lo, exec_lo, s69
	s_cbranch_execz .LBB7_78
.LBB7_76:                               ;   Parent Loop BB7_3 Depth=1
                                        ;     Parent Loop BB7_10 Depth=2
                                        ; =>    This Inner Loop Header: Depth=3
	v_add_nc_u32_e32 v13, v11, v12
	s_or_b32 s71, s71, exec_lo
	s_or_b32 s72, s72, exec_lo
	s_mov_b32 s73, exec_lo
	s_delay_alu instid0(VALU_DEP_1) | instskip(NEXT) | instid1(VALU_DEP_1)
	v_ashrrev_i32_e32 v14, 31, v13
	v_lshlrev_b64 v[13:14], 2, v[13:14]
	s_delay_alu instid0(VALU_DEP_1) | instskip(NEXT) | instid1(VALU_DEP_2)
	v_add_co_u32 v16, vcc_lo, s40, v13
	v_add_co_ci_u32_e32 v17, vcc_lo, s41, v14, vcc_lo
	global_load_b32 v5, v[16:17], off
	s_waitcnt vmcnt(0)
	v_subrev_nc_u32_e32 v5, s61, v5
	s_delay_alu instid0(VALU_DEP_1)
	v_cmpx_ne_u32_e64 v5, v3
	s_cbranch_execz .LBB7_75
; %bb.77:                               ;   in Loop: Header=BB7_76 Depth=3
	v_add_nc_u32_e32 v12, 1, v12
	s_and_not1_b32 s72, s72, exec_lo
	s_and_not1_b32 s71, s71, exec_lo
	s_delay_alu instid0(VALU_DEP_1) | instskip(SKIP_1) | instid1(SALU_CYCLE_1)
	v_cmp_ge_i32_e32 vcc_lo, v12, v30
	s_and_b32 s74, vcc_lo, exec_lo
	s_or_b32 s72, s72, s74
	s_branch .LBB7_75
.LBB7_78:                               ;   in Loop: Header=BB7_10 Depth=2
	s_set_inst_prefetch_distance 0x2
	s_or_b32 exec_lo, exec_lo, s69
	s_and_saveexec_b32 s69, s70
	s_delay_alu instid0(SALU_CYCLE_1)
	s_xor_b32 s69, exec_lo, s69
	s_cbranch_execz .LBB7_80
; %bb.79:                               ;   in Loop: Header=BB7_10 Depth=2
	v_add_co_u32 v11, vcc_lo, s42, v13
	v_add_co_ci_u32_e32 v12, vcc_lo, s43, v14, vcc_lo
	global_load_b32 v5, v[11:12], off
	s_waitcnt vmcnt(0)
	v_add_f32_e32 v29, v29, v5
.LBB7_80:                               ;   in Loop: Header=BB7_10 Depth=2
	s_or_b32 exec_lo, exec_lo, s69
	s_delay_alu instid0(SALU_CYCLE_1) | instskip(NEXT) | instid1(SALU_CYCLE_1)
	s_or_b32 exec_lo, exec_lo, s68
	s_mov_b32 s68, exec_lo
	v_cmpx_eq_u32_e64 v3, v10
	s_cbranch_execnz .LBB7_62
	s_branch .LBB7_63
.LBB7_81:                               ;   in Loop: Header=BB7_3 Depth=1
	s_or_b32 exec_lo, exec_lo, s67
	s_delay_alu instid0(SALU_CYCLE_1) | instskip(NEXT) | instid1(SALU_CYCLE_1)
	s_or_b32 exec_lo, exec_lo, s66
	s_and_not1_b32 vcc_lo, exec_lo, s56
	s_cbranch_vccnz .LBB7_5
.LBB7_82:                               ;   in Loop: Header=BB7_3 Depth=1
	ds_store_b32 v20, v2
	s_waitcnt lgkmcnt(0)
	s_waitcnt_vscnt null, 0x0
	s_barrier
	buffer_gl0_inv
	s_and_saveexec_b32 s15, s2
	s_cbranch_execz .LBB7_84
; %bb.83:                               ;   in Loop: Header=BB7_3 Depth=1
	ds_load_2addr_stride64_b32 v[7:8], v20 offset1:8
	s_waitcnt lgkmcnt(0)
	v_cmp_lt_f32_e32 vcc_lo, v7, v8
	v_cndmask_b32_e32 v2, v7, v8, vcc_lo
	ds_store_b32 v20, v2
.LBB7_84:                               ;   in Loop: Header=BB7_3 Depth=1
	s_or_b32 exec_lo, exec_lo, s15
	s_waitcnt lgkmcnt(0)
	s_barrier
	buffer_gl0_inv
	s_and_saveexec_b32 s15, s3
	s_cbranch_execz .LBB7_86
; %bb.85:                               ;   in Loop: Header=BB7_3 Depth=1
	ds_load_2addr_stride64_b32 v[7:8], v20 offset1:4
	s_waitcnt lgkmcnt(0)
	v_cmp_lt_f32_e32 vcc_lo, v7, v8
	v_cndmask_b32_e32 v2, v7, v8, vcc_lo
	ds_store_b32 v20, v2
.LBB7_86:                               ;   in Loop: Header=BB7_3 Depth=1
	s_or_b32 exec_lo, exec_lo, s15
	s_waitcnt lgkmcnt(0)
	;; [unrolled: 13-line block ×4, first 2 shown]
	s_barrier
	buffer_gl0_inv
	s_and_saveexec_b32 s15, s6
	s_cbranch_execz .LBB7_92
; %bb.91:                               ;   in Loop: Header=BB7_3 Depth=1
	ds_load_2addr_b32 v[7:8], v20 offset1:32
	s_waitcnt lgkmcnt(0)
	v_cmp_lt_f32_e32 vcc_lo, v7, v8
	v_cndmask_b32_e32 v2, v7, v8, vcc_lo
	ds_store_b32 v20, v2
.LBB7_92:                               ;   in Loop: Header=BB7_3 Depth=1
	s_or_b32 exec_lo, exec_lo, s15
	s_waitcnt lgkmcnt(0)
	s_barrier
	buffer_gl0_inv
	s_and_saveexec_b32 s15, s7
	s_cbranch_execz .LBB7_94
; %bb.93:                               ;   in Loop: Header=BB7_3 Depth=1
	ds_load_2addr_b32 v[7:8], v20 offset1:16
	s_waitcnt lgkmcnt(0)
	v_cmp_lt_f32_e32 vcc_lo, v7, v8
	v_cndmask_b32_e32 v2, v7, v8, vcc_lo
	ds_store_b32 v20, v2
.LBB7_94:                               ;   in Loop: Header=BB7_3 Depth=1
	s_or_b32 exec_lo, exec_lo, s15
	s_waitcnt lgkmcnt(0)
	s_barrier
	buffer_gl0_inv
	s_and_saveexec_b32 s15, s8
	s_cbranch_execz .LBB7_96
; %bb.95:                               ;   in Loop: Header=BB7_3 Depth=1
	ds_load_2addr_b32 v[7:8], v20 offset1:8
	s_waitcnt lgkmcnt(0)
	v_cmp_lt_f32_e32 vcc_lo, v7, v8
	v_cndmask_b32_e32 v2, v7, v8, vcc_lo
	ds_store_b32 v20, v2
.LBB7_96:                               ;   in Loop: Header=BB7_3 Depth=1
	s_or_b32 exec_lo, exec_lo, s15
	s_waitcnt lgkmcnt(0)
	s_barrier
	buffer_gl0_inv
	s_and_saveexec_b32 s15, s9
	s_cbranch_execz .LBB7_98
; %bb.97:                               ;   in Loop: Header=BB7_3 Depth=1
	ds_load_2addr_b32 v[7:8], v20 offset1:4
	s_waitcnt lgkmcnt(0)
	v_cmp_lt_f32_e32 vcc_lo, v7, v8
	v_cndmask_b32_e32 v2, v7, v8, vcc_lo
	ds_store_b32 v20, v2
.LBB7_98:                               ;   in Loop: Header=BB7_3 Depth=1
	s_or_b32 exec_lo, exec_lo, s15
	s_waitcnt lgkmcnt(0)
	s_barrier
	buffer_gl0_inv
	s_and_saveexec_b32 s15, s10
	s_cbranch_execz .LBB7_100
; %bb.99:                               ;   in Loop: Header=BB7_3 Depth=1
	ds_load_2addr_b32 v[7:8], v20 offset1:2
	s_waitcnt lgkmcnt(0)
	v_cmp_lt_f32_e32 vcc_lo, v7, v8
	v_cndmask_b32_e32 v2, v7, v8, vcc_lo
	ds_store_b32 v20, v2
.LBB7_100:                              ;   in Loop: Header=BB7_3 Depth=1
	s_or_b32 exec_lo, exec_lo, s15
	s_waitcnt lgkmcnt(0)
	s_barrier
	buffer_gl0_inv
	s_and_saveexec_b32 s15, s11
	s_cbranch_execz .LBB7_102
; %bb.101:                              ;   in Loop: Header=BB7_3 Depth=1
	ds_load_b64 v[7:8], v21
	s_waitcnt lgkmcnt(0)
	v_cmp_lt_f32_e32 vcc_lo, v7, v8
	v_cndmask_b32_e32 v2, v7, v8, vcc_lo
	ds_store_b32 v21, v2
.LBB7_102:                              ;   in Loop: Header=BB7_3 Depth=1
	s_or_b32 exec_lo, exec_lo, s15
	s_waitcnt lgkmcnt(0)
	s_barrier
	buffer_gl0_inv
	ds_load_b32 v2, v21
	s_load_b32 s15, s[52:53], 0x0
	s_waitcnt lgkmcnt(0)
	v_div_scale_f32 v5, null, s15, s15, v2
	s_delay_alu instid0(VALU_DEP_1) | instskip(SKIP_2) | instid1(VALU_DEP_1)
	v_rcp_f32_e32 v7, v5
	s_waitcnt_depctr 0xfff
	v_fma_f32 v8, -v5, v7, 1.0
	v_fmac_f32_e32 v7, v8, v7
	v_div_scale_f32 v8, vcc_lo, v2, s15, v2
	s_delay_alu instid0(VALU_DEP_1) | instskip(NEXT) | instid1(VALU_DEP_1)
	v_mul_f32_e32 v9, v8, v7
	v_fma_f32 v10, -v5, v9, v8
	s_delay_alu instid0(VALU_DEP_1) | instskip(NEXT) | instid1(VALU_DEP_1)
	v_fmac_f32_e32 v9, v10, v7
	v_fma_f32 v5, -v5, v9, v8
	s_delay_alu instid0(VALU_DEP_1) | instskip(NEXT) | instid1(VALU_DEP_1)
	v_div_fmas_f32 v5, v5, v7, v9
	v_div_fixup_f32 v2, v5, s15, v2
	s_and_not1_b32 vcc_lo, exec_lo, s33
	s_cbranch_vccnz .LBB7_6
.LBB7_103:                              ;   in Loop: Header=BB7_3 Depth=1
	ds_store_b32 v20, v1
	s_waitcnt lgkmcnt(0)
	s_waitcnt_vscnt null, 0x0
	s_barrier
	buffer_gl0_inv
	s_and_saveexec_b32 s15, s2
	s_cbranch_execz .LBB7_105
; %bb.104:                              ;   in Loop: Header=BB7_3 Depth=1
	ds_load_2addr_stride64_b32 v[7:8], v20 offset1:8
	s_waitcnt lgkmcnt(0)
	v_cmp_lt_f32_e32 vcc_lo, v7, v8
	v_cndmask_b32_e32 v1, v7, v8, vcc_lo
	ds_store_b32 v20, v1
.LBB7_105:                              ;   in Loop: Header=BB7_3 Depth=1
	s_or_b32 exec_lo, exec_lo, s15
	s_waitcnt lgkmcnt(0)
	s_barrier
	buffer_gl0_inv
	s_and_saveexec_b32 s15, s3
	s_cbranch_execz .LBB7_107
; %bb.106:                              ;   in Loop: Header=BB7_3 Depth=1
	ds_load_2addr_stride64_b32 v[7:8], v20 offset1:4
	s_waitcnt lgkmcnt(0)
	v_cmp_lt_f32_e32 vcc_lo, v7, v8
	v_cndmask_b32_e32 v1, v7, v8, vcc_lo
	ds_store_b32 v20, v1
.LBB7_107:                              ;   in Loop: Header=BB7_3 Depth=1
	s_or_b32 exec_lo, exec_lo, s15
	s_waitcnt lgkmcnt(0)
	;; [unrolled: 13-line block ×4, first 2 shown]
	s_barrier
	buffer_gl0_inv
	s_and_saveexec_b32 s15, s6
	s_cbranch_execz .LBB7_113
; %bb.112:                              ;   in Loop: Header=BB7_3 Depth=1
	ds_load_2addr_b32 v[7:8], v20 offset1:32
	s_waitcnt lgkmcnt(0)
	v_cmp_lt_f32_e32 vcc_lo, v7, v8
	v_cndmask_b32_e32 v1, v7, v8, vcc_lo
	ds_store_b32 v20, v1
.LBB7_113:                              ;   in Loop: Header=BB7_3 Depth=1
	s_or_b32 exec_lo, exec_lo, s15
	s_waitcnt lgkmcnt(0)
	s_barrier
	buffer_gl0_inv
	s_and_saveexec_b32 s15, s7
	s_cbranch_execz .LBB7_115
; %bb.114:                              ;   in Loop: Header=BB7_3 Depth=1
	ds_load_2addr_b32 v[7:8], v20 offset1:16
	s_waitcnt lgkmcnt(0)
	v_cmp_lt_f32_e32 vcc_lo, v7, v8
	v_cndmask_b32_e32 v1, v7, v8, vcc_lo
	ds_store_b32 v20, v1
.LBB7_115:                              ;   in Loop: Header=BB7_3 Depth=1
	s_or_b32 exec_lo, exec_lo, s15
	s_waitcnt lgkmcnt(0)
	;; [unrolled: 13-line block ×5, first 2 shown]
	s_barrier
	buffer_gl0_inv
	s_and_saveexec_b32 s15, s11
	s_cbranch_execz .LBB7_123
; %bb.122:                              ;   in Loop: Header=BB7_3 Depth=1
	ds_load_b64 v[7:8], v21
	s_waitcnt lgkmcnt(0)
	v_cmp_lt_f32_e32 vcc_lo, v7, v8
	v_cndmask_b32_e32 v1, v7, v8, vcc_lo
	ds_store_b32 v21, v1
.LBB7_123:                              ;   in Loop: Header=BB7_3 Depth=1
	s_or_b32 exec_lo, exec_lo, s15
	s_waitcnt lgkmcnt(0)
	s_barrier
	buffer_gl0_inv
	ds_load_b32 v1, v21
	s_load_b32 s15, s[52:53], 0x0
	s_waitcnt lgkmcnt(0)
	v_div_scale_f32 v5, null, s15, s15, v1
	s_delay_alu instid0(VALU_DEP_1) | instskip(SKIP_2) | instid1(VALU_DEP_1)
	v_rcp_f32_e32 v7, v5
	s_waitcnt_depctr 0xfff
	v_fma_f32 v8, -v5, v7, 1.0
	v_fmac_f32_e32 v7, v8, v7
	v_div_scale_f32 v8, vcc_lo, v1, s15, v1
	s_delay_alu instid0(VALU_DEP_1) | instskip(NEXT) | instid1(VALU_DEP_1)
	v_mul_f32_e32 v9, v8, v7
	v_fma_f32 v10, -v5, v9, v8
	s_delay_alu instid0(VALU_DEP_1) | instskip(NEXT) | instid1(VALU_DEP_1)
	v_fmac_f32_e32 v9, v10, v7
	v_fma_f32 v5, -v5, v9, v8
	s_delay_alu instid0(VALU_DEP_1) | instskip(NEXT) | instid1(VALU_DEP_1)
	v_div_fmas_f32 v5, v5, v7, v9
	v_div_fixup_f32 v1, v5, s15, v1
	s_and_saveexec_b32 s66, s12
	s_cbranch_execz .LBB7_134
.LBB7_124:                              ;   in Loop: Header=BB7_3 Depth=1
	v_mov_b32_e32 v7, v3
	s_mov_b32 s67, 0
	s_branch .LBB7_127
.LBB7_125:                              ;   in Loop: Header=BB7_127 Depth=2
	s_or_b32 exec_lo, exec_lo, s69
	v_add_co_u32 v10, vcc_lo, s26, v8
	v_add_co_ci_u32_e32 v11, vcc_lo, s27, v9, vcc_lo
	v_add_co_u32 v8, vcc_lo, s24, v8
	v_add_co_ci_u32_e32 v9, vcc_lo, s25, v9, vcc_lo
	global_load_b32 v5, v[10:11], off
	s_waitcnt vmcnt(0)
	global_store_b32 v[8:9], v5, off
.LBB7_126:                              ;   in Loop: Header=BB7_127 Depth=2
	s_or_b32 exec_lo, exec_lo, s68
	v_add_nc_u32_e32 v7, 0x400, v7
	s_delay_alu instid0(VALU_DEP_1) | instskip(SKIP_1) | instid1(SALU_CYCLE_1)
	v_cmp_le_u32_e32 vcc_lo, s62, v7
	s_or_b32 s67, vcc_lo, s67
	s_and_not1_b32 exec_lo, exec_lo, s67
	s_cbranch_execz .LBB7_134
.LBB7_127:                              ;   Parent Loop BB7_3 Depth=1
                                        ; =>  This Loop Header: Depth=2
                                        ;       Child Loop BB7_130 Depth 3
                                        ;       Child Loop BB7_133 Depth 3
	s_mov_b32 s68, exec_lo
	s_delay_alu instid0(VALU_DEP_1)
	v_cmpx_gt_i32_e64 s49, v7
	s_cbranch_execz .LBB7_126
; %bb.128:                              ;   in Loop: Header=BB7_127 Depth=2
	v_ashrrev_i32_e32 v8, 31, v7
	s_mov_b32 s69, exec_lo
	s_delay_alu instid0(VALU_DEP_1) | instskip(NEXT) | instid1(VALU_DEP_1)
	v_lshlrev_b64 v[8:9], 2, v[7:8]
	v_add_co_u32 v10, vcc_lo, s16, v8
	s_delay_alu instid0(VALU_DEP_2)
	v_add_co_ci_u32_e32 v11, vcc_lo, s17, v9, vcc_lo
	v_add_co_u32 v12, vcc_lo, s18, v8
	v_add_co_ci_u32_e32 v13, vcc_lo, s19, v9, vcc_lo
	global_load_b32 v10, v[10:11], off
	global_load_b32 v5, v[12:13], off
	s_waitcnt vmcnt(0)
	v_cmpx_lt_i32_e64 v10, v5
	s_cbranch_execz .LBB7_131
; %bb.129:                              ;   in Loop: Header=BB7_127 Depth=2
	v_subrev_nc_u32_e32 v10, s59, v10
	v_subrev_nc_u32_e32 v5, s59, v5
	s_mov_b32 s70, 0
	s_delay_alu instid0(VALU_DEP_2) | instskip(NEXT) | instid1(VALU_DEP_1)
	v_ashrrev_i32_e32 v11, 31, v10
	v_lshlrev_b64 v[13:14], 2, v[10:11]
	s_delay_alu instid0(VALU_DEP_1) | instskip(NEXT) | instid1(VALU_DEP_2)
	v_add_co_u32 v11, vcc_lo, s50, v13
	v_add_co_ci_u32_e32 v12, vcc_lo, s51, v14, vcc_lo
	v_add_co_u32 v13, vcc_lo, s22, v13
	v_add_co_ci_u32_e32 v14, vcc_lo, s23, v14, vcc_lo
.LBB7_130:                              ;   Parent Loop BB7_3 Depth=1
                                        ;     Parent Loop BB7_127 Depth=2
                                        ; =>    This Inner Loop Header: Depth=3
	global_load_b32 v15, v[11:12], off
	v_add_nc_u32_e32 v10, 1, v10
	v_add_co_u32 v11, vcc_lo, v11, 4
	v_add_co_ci_u32_e32 v12, vcc_lo, 0, v12, vcc_lo
	s_delay_alu instid0(VALU_DEP_3) | instskip(SKIP_4) | instid1(VALU_DEP_1)
	v_cmp_ge_i32_e32 vcc_lo, v10, v5
	s_or_b32 s70, vcc_lo, s70
	s_waitcnt vmcnt(0)
	global_store_b32 v[13:14], v15, off
	v_add_co_u32 v13, s15, v13, 4
	v_add_co_ci_u32_e64 v14, s15, 0, v14, s15
	s_and_not1_b32 exec_lo, exec_lo, s70
	s_cbranch_execnz .LBB7_130
.LBB7_131:                              ;   in Loop: Header=BB7_127 Depth=2
	s_or_b32 exec_lo, exec_lo, s69
	v_add_co_u32 v10, vcc_lo, s36, v8
	v_add_co_ci_u32_e32 v11, vcc_lo, s37, v9, vcc_lo
	v_add_co_u32 v12, vcc_lo, s38, v8
	v_add_co_ci_u32_e32 v13, vcc_lo, s39, v9, vcc_lo
	s_mov_b32 s69, exec_lo
	global_load_b32 v10, v[10:11], off
	global_load_b32 v5, v[12:13], off
	s_waitcnt vmcnt(0)
	v_cmpx_lt_i32_e64 v10, v5
	s_cbranch_execz .LBB7_125
; %bb.132:                              ;   in Loop: Header=BB7_127 Depth=2
	v_subrev_nc_u32_e32 v10, s61, v10
	v_subrev_nc_u32_e32 v5, s61, v5
	s_mov_b32 s70, 0
	s_delay_alu instid0(VALU_DEP_2) | instskip(NEXT) | instid1(VALU_DEP_1)
	v_ashrrev_i32_e32 v11, 31, v10
	v_lshlrev_b64 v[13:14], 2, v[10:11]
	s_delay_alu instid0(VALU_DEP_1) | instskip(NEXT) | instid1(VALU_DEP_2)
	v_add_co_u32 v11, vcc_lo, s54, v13
	v_add_co_ci_u32_e32 v12, vcc_lo, s55, v14, vcc_lo
	v_add_co_u32 v13, vcc_lo, s42, v13
	v_add_co_ci_u32_e32 v14, vcc_lo, s43, v14, vcc_lo
	.p2align	6
.LBB7_133:                              ;   Parent Loop BB7_3 Depth=1
                                        ;     Parent Loop BB7_127 Depth=2
                                        ; =>    This Inner Loop Header: Depth=3
	global_load_b32 v15, v[11:12], off
	v_add_nc_u32_e32 v10, 1, v10
	v_add_co_u32 v11, vcc_lo, v11, 4
	v_add_co_ci_u32_e32 v12, vcc_lo, 0, v12, vcc_lo
	s_delay_alu instid0(VALU_DEP_3) | instskip(SKIP_4) | instid1(VALU_DEP_1)
	v_cmp_ge_i32_e32 vcc_lo, v10, v5
	s_or_b32 s70, vcc_lo, s70
	s_waitcnt vmcnt(0)
	global_store_b32 v[13:14], v15, off
	v_add_co_u32 v13, s15, v13, 4
	v_add_co_ci_u32_e64 v14, s15, 0, v14, s15
	s_and_not1_b32 exec_lo, exec_lo, s70
	s_cbranch_execnz .LBB7_133
	s_branch .LBB7_125
.LBB7_134:                              ;   in Loop: Header=BB7_3 Depth=1
	s_or_b32 exec_lo, exec_lo, s66
	s_delay_alu instid0(SALU_CYCLE_1)
	s_and_b32 vcc_lo, exec_lo, s57
	s_mov_b32 s66, -1
	s_cbranch_vccz .LBB7_144
; %bb.135:                              ;   in Loop: Header=BB7_3 Depth=1
	s_and_b32 vcc_lo, exec_lo, s64
	s_mov_b32 s15, -1
                                        ; implicit-def: $sgpr67
	s_cbranch_vccz .LBB7_141
; %bb.136:                              ;   in Loop: Header=BB7_3 Depth=1
	s_and_b32 vcc_lo, exec_lo, s63
                                        ; implicit-def: $sgpr67
	s_cbranch_vccz .LBB7_138
; %bb.137:                              ;   in Loop: Header=BB7_3 Depth=1
	v_cmp_ge_f32_e32 vcc_lo, s48, v1
	s_mov_b32 s15, 0
	s_and_b32 s67, vcc_lo, exec_lo
.LBB7_138:                              ;   in Loop: Header=BB7_3 Depth=1
	s_and_not1_b32 vcc_lo, exec_lo, s15
	s_cbranch_vccnz .LBB7_140
; %bb.139:                              ;   in Loop: Header=BB7_3 Depth=1
	v_cmp_ge_f32_e32 vcc_lo, s48, v2
	s_and_not1_b32 s15, s67, exec_lo
	s_and_b32 s67, vcc_lo, exec_lo
	s_delay_alu instid0(SALU_CYCLE_1)
	s_or_b32 s67, s15, s67
.LBB7_140:                              ;   in Loop: Header=BB7_3 Depth=1
	s_mov_b32 s15, 0
.LBB7_141:                              ;   in Loop: Header=BB7_3 Depth=1
	s_delay_alu instid0(SALU_CYCLE_1)
	s_and_not1_b32 vcc_lo, exec_lo, s15
	s_cbranch_vccnz .LBB7_143
; %bb.142:                              ;   in Loop: Header=BB7_3 Depth=1
	v_cmp_ge_f32_e32 vcc_lo, s48, v2
	v_cmp_ge_f32_e64 s15, s48, v1
	s_and_not1_b32 s67, s67, exec_lo
	s_delay_alu instid0(VALU_DEP_1) | instskip(NEXT) | instid1(SALU_CYCLE_1)
	s_and_b32 s15, vcc_lo, s15
	s_and_b32 s15, s15, exec_lo
	s_delay_alu instid0(SALU_CYCLE_1)
	s_or_b32 s67, s67, s15
.LBB7_143:                              ;   in Loop: Header=BB7_3 Depth=1
	s_delay_alu instid0(SALU_CYCLE_1)
	s_xor_b32 s15, s67, -1
	v_mov_b32_e32 v5, s65
	s_and_saveexec_b32 s67, s15
	s_cbranch_execz .LBB7_2
	s_branch .LBB7_145
.LBB7_144:                              ;   in Loop: Header=BB7_3 Depth=1
	s_mov_b32 s15, -1
	v_mov_b32_e32 v5, s65
	s_and_saveexec_b32 s67, s15
	s_cbranch_execz .LBB7_2
.LBB7_145:                              ;   in Loop: Header=BB7_3 Depth=1
	s_add_i32 s65, s65, 1
	v_mov_b32_e32 v5, s35
	s_cmp_eq_u32 s65, s35
	s_cselect_b32 s15, -1, 0
	s_delay_alu instid0(SALU_CYCLE_1)
	s_or_not1_b32 s66, s15, exec_lo
	s_branch .LBB7_2
.LBB7_146:
	s_or_b32 exec_lo, exec_lo, s58
.LBB7_147:
	s_delay_alu instid0(SALU_CYCLE_1) | instskip(NEXT) | instid1(SALU_CYCLE_1)
	s_or_b32 exec_lo, exec_lo, s34
	s_and_not1_b32 vcc_lo, exec_lo, s57
	s_cbranch_vccnz .LBB7_172
; %bb.148:
	v_or_b32_e32 v3, 0x1000, v20
	s_mov_b32 s2, exec_lo
	ds_store_b32 v20, v5 offset:4096
	s_waitcnt lgkmcnt(0)
	s_waitcnt_vscnt null, 0x0
	s_barrier
	buffer_gl0_inv
	v_cmpx_gt_u32_e32 0x200, v0
	s_cbranch_execz .LBB7_150
; %bb.149:
	ds_load_2addr_stride64_b32 v[4:5], v3 offset1:8
	s_waitcnt lgkmcnt(0)
	v_max_i32_e32 v4, v4, v5
	ds_store_b32 v3, v4
.LBB7_150:
	s_or_b32 exec_lo, exec_lo, s2
	s_delay_alu instid0(SALU_CYCLE_1)
	s_mov_b32 s2, exec_lo
	s_waitcnt lgkmcnt(0)
	s_barrier
	buffer_gl0_inv
	v_cmpx_gt_u32_e32 0x100, v0
	s_cbranch_execz .LBB7_152
; %bb.151:
	ds_load_2addr_stride64_b32 v[4:5], v3 offset1:4
	s_waitcnt lgkmcnt(0)
	v_max_i32_e32 v4, v4, v5
	ds_store_b32 v3, v4
.LBB7_152:
	s_or_b32 exec_lo, exec_lo, s2
	s_delay_alu instid0(SALU_CYCLE_1)
	s_mov_b32 s2, exec_lo
	s_waitcnt lgkmcnt(0)
	;; [unrolled: 14-line block ×4, first 2 shown]
	s_barrier
	buffer_gl0_inv
	v_cmpx_gt_u32_e32 32, v0
	s_cbranch_execz .LBB7_158
; %bb.157:
	ds_load_2addr_b32 v[4:5], v3 offset1:32
	s_waitcnt lgkmcnt(0)
	v_max_i32_e32 v4, v4, v5
	ds_store_b32 v3, v4
.LBB7_158:
	s_or_b32 exec_lo, exec_lo, s2
	s_delay_alu instid0(SALU_CYCLE_1)
	s_mov_b32 s2, exec_lo
	s_waitcnt lgkmcnt(0)
	s_barrier
	buffer_gl0_inv
	v_cmpx_gt_u32_e32 16, v0
	s_cbranch_execz .LBB7_160
; %bb.159:
	ds_load_2addr_b32 v[4:5], v3 offset1:16
	s_waitcnt lgkmcnt(0)
	v_max_i32_e32 v4, v4, v5
	ds_store_b32 v3, v4
.LBB7_160:
	s_or_b32 exec_lo, exec_lo, s2
	s_delay_alu instid0(SALU_CYCLE_1)
	s_mov_b32 s2, exec_lo
	s_waitcnt lgkmcnt(0)
	;; [unrolled: 14-line block ×4, first 2 shown]
	s_barrier
	buffer_gl0_inv
	v_cmpx_gt_u32_e32 2, v0
	s_cbranch_execz .LBB7_166
; %bb.165:
	ds_load_2addr_b32 v[4:5], v3 offset1:2
	s_waitcnt lgkmcnt(0)
	v_max_i32_e32 v4, v4, v5
	ds_store_b32 v3, v4
.LBB7_166:
	s_or_b32 exec_lo, exec_lo, s2
	v_cmp_eq_u32_e32 vcc_lo, 0, v0
	s_waitcnt lgkmcnt(0)
	s_barrier
	buffer_gl0_inv
	s_and_saveexec_b32 s2, vcc_lo
	s_cbranch_execz .LBB7_168
; %bb.167:
	v_mov_b32_e32 v5, 0
	ds_load_b64 v[3:4], v5 offset:4096
	s_waitcnt lgkmcnt(0)
	v_max_i32_e32 v3, v3, v4
	ds_store_b32 v5, v3 offset:4096
.LBB7_168:
	s_or_b32 exec_lo, exec_lo, s2
	s_waitcnt lgkmcnt(0)
	s_barrier
	buffer_gl0_inv
	s_and_saveexec_b32 s2, vcc_lo
	s_cbranch_execz .LBB7_171
; %bb.169:
	v_mbcnt_lo_u32_b32 v3, exec_lo, 0
	s_delay_alu instid0(VALU_DEP_1)
	v_cmp_eq_u32_e32 vcc_lo, 0, v3
	s_and_b32 exec_lo, exec_lo, vcc_lo
	s_cbranch_execz .LBB7_171
; %bb.170:
	v_mov_b32_e32 v3, 0
	s_load_b64 s[0:1], s[0:1], 0x8
	ds_load_b32 v4, v3 offset:4096
	s_waitcnt lgkmcnt(0)
	v_add_nc_u32_e32 v4, 1, v4
	global_atomic_max_i32 v3, v4, s[0:1]
.LBB7_171:
	s_or_b32 exec_lo, exec_lo, s2
.LBB7_172:
	v_cmp_eq_u32_e32 vcc_lo, 0, v0
	s_mov_b32 s2, 0
	s_and_b32 s0, vcc_lo, s56
	s_delay_alu instid0(SALU_CYCLE_1)
	s_and_saveexec_b32 s3, s0
	s_cbranch_execz .LBB7_177
; %bb.173:
	v_mov_b32_e32 v0, 0
	v_cmp_eq_f32_e64 s0, 0, v2
                                        ; implicit-def: $sgpr4
                                        ; implicit-def: $sgpr5
	global_load_b32 v3, v0, s[44:45] glc
	s_waitcnt vmcnt(0)
	v_cmp_eq_u32_e64 s6, 0x80000000, v3
	s_set_inst_prefetch_distance 0x1
	s_branch .LBB7_175
	.p2align	6
.LBB7_174:                              ;   in Loop: Header=BB7_175 Depth=1
	s_or_b32 exec_lo, exec_lo, s7
	s_delay_alu instid0(SALU_CYCLE_1) | instskip(NEXT) | instid1(SALU_CYCLE_1)
	s_and_b32 s1, exec_lo, s4
	s_or_b32 s2, s1, s2
	s_and_not1_b32 s1, s6, exec_lo
	s_and_b32 s6, s5, exec_lo
	s_delay_alu instid0(SALU_CYCLE_1)
	s_or_b32 s6, s1, s6
	s_and_not1_b32 exec_lo, exec_lo, s2
	s_cbranch_execz .LBB7_177
.LBB7_175:                              ; =>This Inner Loop Header: Depth=1
	v_cmp_lt_f32_e64 s1, v3, v2
	s_delay_alu instid0(VALU_DEP_2) | instskip(SKIP_2) | instid1(VALU_DEP_1)
	s_and_b32 s7, s0, s6
	s_and_not1_b32 s5, s5, exec_lo
	s_or_b32 s4, s4, exec_lo
	s_or_b32 s1, s1, s7
	s_delay_alu instid0(SALU_CYCLE_1)
	s_and_saveexec_b32 s7, s1
	s_cbranch_execz .LBB7_174
; %bb.176:                              ;   in Loop: Header=BB7_175 Depth=1
	global_atomic_cmpswap_b32 v4, v0, v[2:3], s[44:45] glc
	s_and_not1_b32 s5, s5, exec_lo
	s_and_not1_b32 s4, s4, exec_lo
	s_waitcnt vmcnt(0)
	v_cmp_eq_u32_e64 s1, v4, v3
	s_delay_alu instid0(VALU_DEP_1) | instskip(SKIP_1) | instid1(SALU_CYCLE_1)
	v_cndmask_b32_e64 v3, v4, v3, s1
	s_and_b32 s1, s1, exec_lo
	s_or_b32 s4, s4, s1
	s_delay_alu instid0(VALU_DEP_1) | instskip(SKIP_1) | instid1(VALU_DEP_2)
	v_cmp_class_f32_e64 s6, v3, 32
	v_mov_b32_e32 v3, v4
	s_and_b32 s6, s6, exec_lo
	s_delay_alu instid0(SALU_CYCLE_1)
	s_or_b32 s5, s5, s6
                                        ; implicit-def: $sgpr6
	s_branch .LBB7_174
.LBB7_177:
	s_set_inst_prefetch_distance 0x2
	s_or_b32 exec_lo, exec_lo, s3
	s_and_b32 s0, vcc_lo, s33
	s_delay_alu instid0(SALU_CYCLE_1)
	s_and_saveexec_b32 s1, s0
	s_cbranch_execz .LBB7_182
; %bb.178:
	v_mov_b32_e32 v0, 0
	v_cmp_eq_f32_e32 vcc_lo, 0, v1
	s_mov_b32 s1, 0
                                        ; implicit-def: $sgpr2
                                        ; implicit-def: $sgpr3
	global_load_b32 v2, v0, s[46:47] glc
	s_waitcnt vmcnt(0)
	v_cmp_eq_u32_e64 s4, 0x80000000, v2
	s_set_inst_prefetch_distance 0x1
	s_branch .LBB7_180
	.p2align	6
.LBB7_179:                              ;   in Loop: Header=BB7_180 Depth=1
	s_or_b32 exec_lo, exec_lo, s5
	s_delay_alu instid0(SALU_CYCLE_1) | instskip(NEXT) | instid1(SALU_CYCLE_1)
	s_and_b32 s0, exec_lo, s2
	s_or_b32 s1, s0, s1
	s_and_not1_b32 s0, s4, exec_lo
	s_and_b32 s4, s3, exec_lo
	s_delay_alu instid0(SALU_CYCLE_1)
	s_or_b32 s4, s0, s4
	s_and_not1_b32 exec_lo, exec_lo, s1
	s_cbranch_execz .LBB7_182
.LBB7_180:                              ; =>This Inner Loop Header: Depth=1
	v_cmp_lt_f32_e64 s0, v2, v1
	s_delay_alu instid0(VALU_DEP_2) | instskip(SKIP_2) | instid1(VALU_DEP_1)
	s_and_b32 s5, vcc_lo, s4
	s_and_not1_b32 s3, s3, exec_lo
	s_or_b32 s2, s2, exec_lo
	s_or_b32 s0, s0, s5
	s_delay_alu instid0(SALU_CYCLE_1)
	s_and_saveexec_b32 s5, s0
	s_cbranch_execz .LBB7_179
; %bb.181:                              ;   in Loop: Header=BB7_180 Depth=1
	global_atomic_cmpswap_b32 v3, v0, v[1:2], s[46:47] glc
	s_and_not1_b32 s3, s3, exec_lo
	s_and_not1_b32 s2, s2, exec_lo
	s_waitcnt vmcnt(0)
	v_cmp_eq_u32_e64 s0, v3, v2
	s_delay_alu instid0(VALU_DEP_1) | instskip(SKIP_1) | instid1(SALU_CYCLE_1)
	v_cndmask_b32_e64 v2, v3, v2, s0
	s_and_b32 s0, s0, exec_lo
	s_or_b32 s2, s2, s0
	s_delay_alu instid0(VALU_DEP_1) | instskip(SKIP_1) | instid1(VALU_DEP_2)
	v_cmp_class_f32_e64 s4, v2, 32
	v_mov_b32_e32 v2, v3
	s_and_b32 s4, s4, exec_lo
	s_delay_alu instid0(SALU_CYCLE_1)
	s_or_b32 s3, s3, s4
                                        ; implicit-def: $sgpr4
	s_branch .LBB7_179
.LBB7_182:
	s_set_inst_prefetch_distance 0x2
	s_nop 0
	s_sendmsg sendmsg(MSG_DEALLOC_VGPRS)
	s_endpgm
	.section	.rodata,"a",@progbits
	.p2align	6, 0x0
	.amdhsa_kernel _ZN9rocsparseL6kernelILi1024ELi1EfiiEEvbbbT3_PS1_NS_15floating_traitsIT1_E6data_tES1_T2_PKS7_S9_PKS1_PKS4_21rocsparse_index_base_S9_S9_SB_PS4_SF_SE_S9_S9_SB_SF_SF_SE_SF_SF_PS6_SG_PKS6_
		.amdhsa_group_segment_fixed_size 8192
		.amdhsa_private_segment_fixed_size 0
		.amdhsa_kernarg_size 208
		.amdhsa_user_sgpr_count 15
		.amdhsa_user_sgpr_dispatch_ptr 0
		.amdhsa_user_sgpr_queue_ptr 0
		.amdhsa_user_sgpr_kernarg_segment_ptr 1
		.amdhsa_user_sgpr_dispatch_id 0
		.amdhsa_user_sgpr_private_segment_size 0
		.amdhsa_wavefront_size32 1
		.amdhsa_uses_dynamic_stack 0
		.amdhsa_enable_private_segment 0
		.amdhsa_system_sgpr_workgroup_id_x 1
		.amdhsa_system_sgpr_workgroup_id_y 0
		.amdhsa_system_sgpr_workgroup_id_z 0
		.amdhsa_system_sgpr_workgroup_info 0
		.amdhsa_system_vgpr_workitem_id 0
		.amdhsa_next_free_vgpr 39
		.amdhsa_next_free_sgpr 78
		.amdhsa_reserve_vcc 1
		.amdhsa_float_round_mode_32 0
		.amdhsa_float_round_mode_16_64 0
		.amdhsa_float_denorm_mode_32 3
		.amdhsa_float_denorm_mode_16_64 3
		.amdhsa_dx10_clamp 1
		.amdhsa_ieee_mode 1
		.amdhsa_fp16_overflow 0
		.amdhsa_workgroup_processor_mode 1
		.amdhsa_memory_ordered 1
		.amdhsa_forward_progress 0
		.amdhsa_shared_vgpr_count 0
		.amdhsa_exception_fp_ieee_invalid_op 0
		.amdhsa_exception_fp_denorm_src 0
		.amdhsa_exception_fp_ieee_div_zero 0
		.amdhsa_exception_fp_ieee_overflow 0
		.amdhsa_exception_fp_ieee_underflow 0
		.amdhsa_exception_fp_ieee_inexact 0
		.amdhsa_exception_int_div_zero 0
	.end_amdhsa_kernel
	.section	.text._ZN9rocsparseL6kernelILi1024ELi1EfiiEEvbbbT3_PS1_NS_15floating_traitsIT1_E6data_tES1_T2_PKS7_S9_PKS1_PKS4_21rocsparse_index_base_S9_S9_SB_PS4_SF_SE_S9_S9_SB_SF_SF_SE_SF_SF_PS6_SG_PKS6_,"axG",@progbits,_ZN9rocsparseL6kernelILi1024ELi1EfiiEEvbbbT3_PS1_NS_15floating_traitsIT1_E6data_tES1_T2_PKS7_S9_PKS1_PKS4_21rocsparse_index_base_S9_S9_SB_PS4_SF_SE_S9_S9_SB_SF_SF_SE_SF_SF_PS6_SG_PKS6_,comdat
.Lfunc_end7:
	.size	_ZN9rocsparseL6kernelILi1024ELi1EfiiEEvbbbT3_PS1_NS_15floating_traitsIT1_E6data_tES1_T2_PKS7_S9_PKS1_PKS4_21rocsparse_index_base_S9_S9_SB_PS4_SF_SE_S9_S9_SB_SF_SF_SE_SF_SF_PS6_SG_PKS6_, .Lfunc_end7-_ZN9rocsparseL6kernelILi1024ELi1EfiiEEvbbbT3_PS1_NS_15floating_traitsIT1_E6data_tES1_T2_PKS7_S9_PKS1_PKS4_21rocsparse_index_base_S9_S9_SB_PS4_SF_SE_S9_S9_SB_SF_SF_SE_SF_SF_PS6_SG_PKS6_
                                        ; -- End function
	.section	.AMDGPU.csdata,"",@progbits
; Kernel info:
; codeLenInByte = 6296
; NumSgprs: 80
; NumVgprs: 39
; ScratchSize: 0
; MemoryBound: 0
; FloatMode: 240
; IeeeMode: 1
; LDSByteSize: 8192 bytes/workgroup (compile time only)
; SGPRBlocks: 9
; VGPRBlocks: 4
; NumSGPRsForWavesPerEU: 80
; NumVGPRsForWavesPerEU: 39
; Occupancy: 16
; WaveLimiterHint : 1
; COMPUTE_PGM_RSRC2:SCRATCH_EN: 0
; COMPUTE_PGM_RSRC2:USER_SGPR: 15
; COMPUTE_PGM_RSRC2:TRAP_HANDLER: 0
; COMPUTE_PGM_RSRC2:TGID_X_EN: 1
; COMPUTE_PGM_RSRC2:TGID_Y_EN: 0
; COMPUTE_PGM_RSRC2:TGID_Z_EN: 0
; COMPUTE_PGM_RSRC2:TIDIG_COMP_CNT: 0
	.section	.text._ZN9rocsparseL6kernelILi1024ELi2EfiiEEvbbbT3_PS1_NS_15floating_traitsIT1_E6data_tES1_T2_PKS7_S9_PKS1_PKS4_21rocsparse_index_base_S9_S9_SB_PS4_SF_SE_S9_S9_SB_SF_SF_SE_SF_SF_PS6_SG_PKS6_,"axG",@progbits,_ZN9rocsparseL6kernelILi1024ELi2EfiiEEvbbbT3_PS1_NS_15floating_traitsIT1_E6data_tES1_T2_PKS7_S9_PKS1_PKS4_21rocsparse_index_base_S9_S9_SB_PS4_SF_SE_S9_S9_SB_SF_SF_SE_SF_SF_PS6_SG_PKS6_,comdat
	.globl	_ZN9rocsparseL6kernelILi1024ELi2EfiiEEvbbbT3_PS1_NS_15floating_traitsIT1_E6data_tES1_T2_PKS7_S9_PKS1_PKS4_21rocsparse_index_base_S9_S9_SB_PS4_SF_SE_S9_S9_SB_SF_SF_SE_SF_SF_PS6_SG_PKS6_ ; -- Begin function _ZN9rocsparseL6kernelILi1024ELi2EfiiEEvbbbT3_PS1_NS_15floating_traitsIT1_E6data_tES1_T2_PKS7_S9_PKS1_PKS4_21rocsparse_index_base_S9_S9_SB_PS4_SF_SE_S9_S9_SB_SF_SF_SE_SF_SF_PS6_SG_PKS6_
	.p2align	8
	.type	_ZN9rocsparseL6kernelILi1024ELi2EfiiEEvbbbT3_PS1_NS_15floating_traitsIT1_E6data_tES1_T2_PKS7_S9_PKS1_PKS4_21rocsparse_index_base_S9_S9_SB_PS4_SF_SE_S9_S9_SB_SF_SF_SE_SF_SF_PS6_SG_PKS6_,@function
_ZN9rocsparseL6kernelILi1024ELi2EfiiEEvbbbT3_PS1_NS_15floating_traitsIT1_E6data_tES1_T2_PKS7_S9_PKS1_PKS4_21rocsparse_index_base_S9_S9_SB_PS4_SF_SE_S9_S9_SB_SF_SF_SE_SF_SF_PS6_SG_PKS6_: ; @_ZN9rocsparseL6kernelILi1024ELi2EfiiEEvbbbT3_PS1_NS_15floating_traitsIT1_E6data_tES1_T2_PKS7_S9_PKS1_PKS4_21rocsparse_index_base_S9_S9_SB_PS4_SF_SE_S9_S9_SB_SF_SF_SE_SF_SF_PS6_SG_PKS6_
; %bb.0:
	s_clause 0x3
	s_load_b32 s2, s[0:1], 0x0
	s_load_b64 s[34:35], s[0:1], 0x0
	s_load_b64 s[52:53], s[0:1], 0x10
	s_load_b128 s[44:47], s[0:1], 0xb8
	v_lshrrev_b32_e32 v22, 1, v0
	v_dual_mov_b32 v1, 0 :: v_dual_mov_b32 v2, 0
	v_mbcnt_lo_u32_b32 v23, -1, 0
	v_lshlrev_b32_e32 v21, 2, v0
	v_dual_mov_b32 v3, 0 :: v_dual_and_b32 v24, 1, v0
	s_mov_b32 s62, 0
	ds_store_b32 v21, v1
	s_waitcnt lgkmcnt(0)
	s_barrier
	buffer_gl0_inv
	s_bitcmp1_b32 s2, 0
	s_cselect_b32 s61, -1, 0
	s_bitcmp1_b32 s2, 8
	s_cselect_b32 s60, -1, 0
	;; [unrolled: 2-line block ×3, first 2 shown]
	s_lshl_b32 s66, s15, 10
	s_cmp_gt_i32 s35, 0
	v_or_b32_e32 v25, s66, v22
	s_cselect_b32 s2, -1, 0
	s_delay_alu instid0(VALU_DEP_1) | instskip(SKIP_1) | instid1(SALU_CYCLE_1)
	v_cmp_gt_i32_e32 vcc_lo, s53, v25
	s_and_b32 s2, s2, vcc_lo
	s_and_saveexec_b32 s34, s2
	s_cbranch_execz .LBB8_152
; %bb.1:
	s_clause 0x9
	s_load_b32 s63, s[0:1], 0x40
	s_load_b64 s[54:55], s[0:1], 0xc8
	s_load_b128 s[48:51], s[0:1], 0xa8
	s_load_b64 s[56:57], s[0:1], 0x68
	s_load_b32 s64, s[0:1], 0x70
	s_load_b64 s[58:59], s[0:1], 0x98
	s_load_b32 s65, s[0:1], 0xa0
	s_load_b256 s[16:23], s[0:1], 0x78
	s_load_b256 s[24:31], s[0:1], 0x48
	;; [unrolled: 1-line block ×3, first 2 shown]
	s_addk_i32 s66, 0x400
	v_cmp_eq_u32_e64 s2, 0, v24
	v_cmp_ne_u32_e64 s3, 0, v24
	v_dual_mov_b32 v1, 0 :: v_dual_lshlrev_b32 v26, 2, v22
	v_cmp_gt_u32_e64 s4, 0x100, v0
	v_cmp_gt_u32_e64 s5, 0x80, v0
	;; [unrolled: 1-line block ×6, first 2 shown]
	s_waitcnt lgkmcnt(0)
	v_subrev_nc_u32_e32 v27, s63, v24
	v_cmp_gt_u32_e64 s10, 8, v0
	v_cmp_gt_u32_e64 s11, 4, v0
	;; [unrolled: 1-line block ×3, first 2 shown]
	v_cmp_eq_u32_e64 s13, 0, v0
	v_subrev_nc_u32_e32 v28, s64, v24
	v_subrev_nc_u32_e32 v29, s65, v24
	v_mov_b32_e32 v4, 0
	v_mov_b32_e32 v30, 0
	;; [unrolled: 1-line block ×3, first 2 shown]
	s_and_b32 s14, s60, s33
	s_xor_b32 s67, s60, -1
	s_xor_b32 s68, s14, -1
	s_mov_b32 s69, 0
	s_branch .LBB8_3
.LBB8_2:                                ;   in Loop: Header=BB8_3 Depth=1
	s_or_b32 exec_lo, exec_lo, s70
	s_delay_alu instid0(SALU_CYCLE_1) | instskip(NEXT) | instid1(SALU_CYCLE_1)
	s_and_b32 s14, exec_lo, s15
	s_or_b32 s62, s14, s62
	s_delay_alu instid0(SALU_CYCLE_1)
	s_and_not1_b32 exec_lo, exec_lo, s62
	s_cbranch_execz .LBB8_151
.LBB8_3:                                ; =>This Loop Header: Depth=1
                                        ;     Child Loop BB8_7 Depth 2
                                        ;       Child Loop BB8_12 Depth 3
                                        ;         Child Loop BB8_16 Depth 4
                                        ;         Child Loop BB8_37 Depth 4
	;; [unrolled: 1-line block ×5, first 2 shown]
                                        ;     Child Loop BB8_130 Depth 2
                                        ;       Child Loop BB8_133 Depth 3
                                        ;       Child Loop BB8_136 Depth 3
	v_cndmask_b32_e64 v2, v2, 0, s60
	v_cndmask_b32_e64 v1, v1, 0, s33
	s_mov_b32 s70, -1
	s_mov_b32 s14, 0
	s_branch .LBB8_7
.LBB8_4:                                ;   in Loop: Header=BB8_7 Depth=2
	s_or_b32 exec_lo, exec_lo, s73
.LBB8_5:                                ;   in Loop: Header=BB8_7 Depth=2
	s_delay_alu instid0(SALU_CYCLE_1)
	s_or_b32 exec_lo, exec_lo, s72
.LBB8_6:                                ;   in Loop: Header=BB8_7 Depth=2
	s_delay_alu instid0(SALU_CYCLE_1)
	s_or_b32 exec_lo, exec_lo, s71
	s_xor_b32 s15, s70, -1
	s_movk_i32 s14, 0x200
	s_and_b32 vcc_lo, exec_lo, s15
	s_mov_b32 s70, 0
	s_cbranch_vccnz .LBB8_83
.LBB8_7:                                ;   Parent Loop BB8_3 Depth=1
                                        ; =>  This Loop Header: Depth=2
                                        ;       Child Loop BB8_12 Depth 3
                                        ;         Child Loop BB8_16 Depth 4
                                        ;         Child Loop BB8_37 Depth 4
	;; [unrolled: 1-line block ×5, first 2 shown]
	v_or_b32_e32 v5, s14, v25
	s_mov_b32 s71, exec_lo
	s_delay_alu instid0(VALU_DEP_1)
	v_cmpx_gt_i32_e64 s53, v5
	s_cbranch_execz .LBB8_6
; %bb.8:                                ;   in Loop: Header=BB8_7 Depth=2
	v_ashrrev_i32_e32 v6, 31, v5
	s_mov_b32 s72, exec_lo
	s_delay_alu instid0(VALU_DEP_1) | instskip(NEXT) | instid1(VALU_DEP_1)
	v_lshlrev_b64 v[7:8], 2, v[5:6]
	v_add_co_u32 v9, vcc_lo, s36, v7
	s_delay_alu instid0(VALU_DEP_2)
	v_add_co_ci_u32_e32 v10, vcc_lo, s37, v8, vcc_lo
	v_add_co_u32 v11, vcc_lo, s38, v7
	v_add_co_ci_u32_e32 v12, vcc_lo, s39, v8, vcc_lo
	global_load_b32 v3, v[9:10], off
	global_load_b32 v9, v[11:12], off
	s_waitcnt vmcnt(1)
	v_add_nc_u32_e32 v6, v27, v3
	s_waitcnt vmcnt(0)
	v_subrev_nc_u32_e32 v31, s63, v9
	s_delay_alu instid0(VALU_DEP_1)
	v_cmpx_lt_i32_e64 v6, v31
	s_cbranch_execz .LBB8_5
; %bb.9:                                ;   in Loop: Header=BB8_7 Depth=2
	v_add_co_u32 v9, vcc_lo, s24, v7
	v_add_co_ci_u32_e32 v10, vcc_lo, s25, v8, vcc_lo
	v_add_co_u32 v7, vcc_lo, s26, v7
	v_add_co_ci_u32_e32 v8, vcc_lo, s27, v8, vcc_lo
	global_load_b32 v3, v[9:10], off
	s_mov_b32 s73, 0
	global_load_b32 v7, v[7:8], off
	s_waitcnt vmcnt(1)
	v_subrev_nc_u32_e32 v8, s64, v3
	s_waitcnt vmcnt(0)
	v_sub_nc_u32_e32 v32, v7, v3
	s_delay_alu instid0(VALU_DEP_2) | instskip(NEXT) | instid1(VALU_DEP_2)
	v_ashrrev_i32_e32 v9, 31, v8
	v_cmp_lt_i32_e64 s14, 0, v32
	s_delay_alu instid0(VALU_DEP_2) | instskip(NEXT) | instid1(VALU_DEP_1)
	v_lshlrev_b64 v[9:10], 2, v[8:9]
	v_add_co_u32 v33, vcc_lo, s28, v9
	s_delay_alu instid0(VALU_DEP_2)
	v_add_co_ci_u32_e32 v34, vcc_lo, s29, v10, vcc_lo
	v_add_co_u32 v35, vcc_lo, s30, v9
	v_add_co_ci_u32_e32 v36, vcc_lo, s31, v10, vcc_lo
	s_branch .LBB8_12
.LBB8_10:                               ;   in Loop: Header=BB8_12 Depth=3
	s_or_b32 exec_lo, exec_lo, s74
.LBB8_11:                               ;   in Loop: Header=BB8_12 Depth=3
	s_delay_alu instid0(SALU_CYCLE_1) | instskip(SKIP_1) | instid1(VALU_DEP_1)
	s_or_b32 exec_lo, exec_lo, s15
	v_add_nc_u32_e32 v6, 2, v6
	v_cmp_ge_i32_e32 vcc_lo, v6, v31
	s_or_b32 s73, vcc_lo, s73
	s_delay_alu instid0(SALU_CYCLE_1)
	s_and_not1_b32 exec_lo, exec_lo, s73
	s_cbranch_execz .LBB8_4
.LBB8_12:                               ;   Parent Loop BB8_3 Depth=1
                                        ;     Parent Loop BB8_7 Depth=2
                                        ; =>    This Loop Header: Depth=3
                                        ;         Child Loop BB8_16 Depth 4
                                        ;         Child Loop BB8_37 Depth 4
	;; [unrolled: 1-line block ×5, first 2 shown]
	v_ashrrev_i32_e32 v7, 31, v6
	s_delay_alu instid0(VALU_DEP_1) | instskip(SKIP_1) | instid1(VALU_DEP_2)
	v_lshlrev_b64 v[15:16], 2, v[6:7]
	v_mov_b32_e32 v7, 0
	v_add_co_u32 v9, vcc_lo, s40, v15
	s_delay_alu instid0(VALU_DEP_3) | instskip(SKIP_3) | instid1(VALU_DEP_1)
	v_add_co_ci_u32_e32 v10, vcc_lo, s41, v16, vcc_lo
	global_load_b32 v3, v[9:10], off
	s_waitcnt vmcnt(0)
	v_subrev_nc_u32_e32 v11, s63, v3
	v_ashrrev_i32_e32 v12, 31, v11
	s_delay_alu instid0(VALU_DEP_1) | instskip(NEXT) | instid1(VALU_DEP_1)
	v_lshlrev_b64 v[9:10], 2, v[11:12]
	v_add_co_u32 v12, vcc_lo, s16, v9
	s_delay_alu instid0(VALU_DEP_2)
	v_add_co_ci_u32_e32 v13, vcc_lo, s17, v10, vcc_lo
	v_add_co_u32 v17, vcc_lo, s18, v9
	v_add_co_ci_u32_e32 v18, vcc_lo, s19, v10, vcc_lo
	global_load_b32 v3, v[12:13], off
	global_load_b32 v14, v[17:18], off
	v_mov_b32_e32 v13, 0
	s_waitcnt vmcnt(1)
	v_subrev_nc_u32_e32 v12, s65, v3
	s_waitcnt vmcnt(0)
	v_sub_nc_u32_e32 v37, v14, v3
	v_mov_b32_e32 v3, 0
	s_and_saveexec_b32 s74, s14
	s_cbranch_execz .LBB8_20
; %bb.13:                               ;   in Loop: Header=BB8_12 Depth=3
	v_ashrrev_i32_e32 v13, 31, v12
	v_mov_b32_e32 v3, 0
	v_mov_b32_e32 v7, 0
	s_mov_b32 s75, 0
                                        ; implicit-def: $sgpr76
	s_delay_alu instid0(VALU_DEP_3) | instskip(NEXT) | instid1(VALU_DEP_1)
	v_lshlrev_b64 v[13:14], 2, v[12:13]
	v_add_co_u32 v38, vcc_lo, s20, v13
	s_delay_alu instid0(VALU_DEP_2)
	v_add_co_ci_u32_e32 v39, vcc_lo, s21, v14, vcc_lo
	v_add_co_u32 v40, vcc_lo, s22, v13
	v_add_co_ci_u32_e32 v41, vcc_lo, s23, v14, vcc_lo
	v_mov_b32_e32 v13, v3
	s_branch .LBB8_16
.LBB8_14:                               ;   in Loop: Header=BB8_16 Depth=4
	s_or_b32 exec_lo, exec_lo, s15
	v_cmp_le_i32_e32 vcc_lo, v14, v42
	v_cmp_ge_i32_e64 s15, v14, v42
	v_add_co_ci_u32_e32 v3, vcc_lo, 0, v3, vcc_lo
	s_delay_alu instid0(VALU_DEP_2) | instskip(SKIP_1) | instid1(VALU_DEP_2)
	v_add_co_ci_u32_e64 v13, s15, 0, v13, s15
	s_and_not1_b32 s15, s76, exec_lo
	v_cmp_ge_i32_e32 vcc_lo, v3, v32
	s_and_b32 s76, vcc_lo, exec_lo
	s_delay_alu instid0(SALU_CYCLE_1)
	s_or_b32 s76, s15, s76
.LBB8_15:                               ;   in Loop: Header=BB8_16 Depth=4
	s_or_b32 exec_lo, exec_lo, s77
	s_delay_alu instid0(SALU_CYCLE_1) | instskip(NEXT) | instid1(SALU_CYCLE_1)
	s_and_b32 s15, exec_lo, s76
	s_or_b32 s75, s15, s75
	s_delay_alu instid0(SALU_CYCLE_1)
	s_and_not1_b32 exec_lo, exec_lo, s75
	s_cbranch_execz .LBB8_19
.LBB8_16:                               ;   Parent Loop BB8_3 Depth=1
                                        ;     Parent Loop BB8_7 Depth=2
                                        ;       Parent Loop BB8_12 Depth=3
                                        ; =>      This Inner Loop Header: Depth=4
	s_or_b32 s76, s76, exec_lo
	s_mov_b32 s77, exec_lo
	s_delay_alu instid0(VALU_DEP_1)
	v_cmpx_lt_i32_e64 v13, v37
	s_cbranch_execz .LBB8_15
; %bb.17:                               ;   in Loop: Header=BB8_16 Depth=4
	v_mov_b32_e32 v14, v4
	v_lshlrev_b64 v[19:20], 2, v[3:4]
	s_mov_b32 s15, exec_lo
	s_delay_alu instid0(VALU_DEP_2) | instskip(NEXT) | instid1(VALU_DEP_2)
	v_lshlrev_b64 v[17:18], 2, v[13:14]
	v_add_co_u32 v42, vcc_lo, v33, v19
	s_delay_alu instid0(VALU_DEP_3) | instskip(NEXT) | instid1(VALU_DEP_3)
	v_add_co_ci_u32_e32 v43, vcc_lo, v34, v20, vcc_lo
	v_add_co_u32 v44, vcc_lo, v38, v17
	s_delay_alu instid0(VALU_DEP_4)
	v_add_co_ci_u32_e32 v45, vcc_lo, v39, v18, vcc_lo
	global_load_b32 v14, v[42:43], off
	global_load_b32 v42, v[44:45], off
	s_waitcnt vmcnt(1)
	v_subrev_nc_u32_e32 v14, s64, v14
	s_waitcnt vmcnt(0)
	v_subrev_nc_u32_e32 v42, s65, v42
	s_delay_alu instid0(VALU_DEP_1)
	v_cmpx_eq_u32_e64 v14, v42
	s_cbranch_execz .LBB8_14
; %bb.18:                               ;   in Loop: Header=BB8_16 Depth=4
	v_add_co_u32 v19, vcc_lo, v35, v19
	v_add_co_ci_u32_e32 v20, vcc_lo, v36, v20, vcc_lo
	v_add_co_u32 v17, vcc_lo, v40, v17
	v_add_co_ci_u32_e32 v18, vcc_lo, v41, v18, vcc_lo
	global_load_b32 v19, v[19:20], off
	global_load_b32 v17, v[17:18], off
	s_waitcnt vmcnt(0)
	v_fmac_f32_e32 v7, v19, v17
	s_branch .LBB8_14
.LBB8_19:                               ;   in Loop: Header=BB8_12 Depth=3
	s_or_b32 exec_lo, exec_lo, s75
.LBB8_20:                               ;   in Loop: Header=BB8_12 Depth=3
	s_delay_alu instid0(SALU_CYCLE_1)
	s_or_b32 exec_lo, exec_lo, s74
	v_add_co_u32 v14, vcc_lo, s42, v15
	v_add_co_ci_u32_e32 v15, vcc_lo, s43, v16, vcc_lo
	v_cmp_le_i32_e64 s15, v5, v11
	s_mov_b32 s74, exec_lo
	global_load_b32 v16, v[14:15], off
	s_waitcnt vmcnt(0)
	v_sub_f32_e32 v17, v16, v7
	v_cmpx_gt_i32_e64 v5, v11
	s_cbranch_execnz .LBB8_23
; %bb.21:                               ;   in Loop: Header=BB8_12 Depth=3
	s_or_b32 exec_lo, exec_lo, s74
	s_delay_alu instid0(VALU_DEP_2) | instskip(NEXT) | instid1(VALU_DEP_1)
	v_cmp_class_f32_e64 s74, v17, 0x1f8
	s_and_saveexec_b32 s75, s74
	s_cbranch_execnz .LBB8_26
.LBB8_22:                               ;   in Loop: Header=BB8_12 Depth=3
	s_or_b32 exec_lo, exec_lo, s75
	s_and_b32 s74, s74, s33
	s_delay_alu instid0(SALU_CYCLE_1)
	s_and_saveexec_b32 s15, s74
	s_cbranch_execz .LBB8_11
	s_branch .LBB8_61
.LBB8_23:                               ;   in Loop: Header=BB8_12 Depth=3
	v_add_co_u32 v14, vcc_lo, s48, v9
	v_add_co_ci_u32_e32 v15, vcc_lo, s49, v10, vcc_lo
	s_mov_b32 s75, exec_lo
	global_load_b32 v14, v[14:15], off
	v_mov_b32_e32 v15, 0
	s_waitcnt vmcnt(0)
	v_cmpx_lg_f32_e32 0, v14
; %bb.24:                               ;   in Loop: Header=BB8_12 Depth=3
	v_div_scale_f32 v15, null, v14, v14, v17
	s_delay_alu instid0(VALU_DEP_1) | instskip(SKIP_2) | instid1(VALU_DEP_1)
	v_rcp_f32_e32 v18, v15
	s_waitcnt_depctr 0xfff
	v_fma_f32 v19, -v15, v18, 1.0
	v_fmac_f32_e32 v18, v19, v18
	v_div_scale_f32 v19, vcc_lo, v17, v14, v17
	s_delay_alu instid0(VALU_DEP_1) | instskip(NEXT) | instid1(VALU_DEP_1)
	v_mul_f32_e32 v20, v19, v18
	v_fma_f32 v38, -v15, v20, v19
	s_delay_alu instid0(VALU_DEP_1) | instskip(NEXT) | instid1(VALU_DEP_1)
	v_fmac_f32_e32 v20, v38, v18
	v_fma_f32 v15, -v15, v20, v19
	s_delay_alu instid0(VALU_DEP_1) | instskip(NEXT) | instid1(VALU_DEP_1)
	v_div_fmas_f32 v15, v15, v18, v20
	v_div_fixup_f32 v15, v15, v14, v17
; %bb.25:                               ;   in Loop: Header=BB8_12 Depth=3
	s_or_b32 exec_lo, exec_lo, s75
	s_delay_alu instid0(VALU_DEP_1) | instskip(SKIP_1) | instid1(VALU_DEP_1)
	v_mov_b32_e32 v17, v15
	s_or_b32 exec_lo, exec_lo, s74
	v_cmp_class_f32_e64 s74, v17, 0x1f8
	s_delay_alu instid0(VALU_DEP_1)
	s_and_saveexec_b32 s75, s74
	s_cbranch_execz .LBB8_22
.LBB8_26:                               ;   in Loop: Header=BB8_12 Depth=3
	s_and_saveexec_b32 s76, s15
	s_delay_alu instid0(SALU_CYCLE_1)
	s_xor_b32 s15, exec_lo, s76
	s_cbranch_execz .LBB8_47
; %bb.27:                               ;   in Loop: Header=BB8_12 Depth=3
	s_mov_b32 s76, exec_lo
	v_cmpx_ge_i32_e64 v5, v11
	s_xor_b32 s76, exec_lo, s76
	s_cbranch_execz .LBB8_33
; %bb.28:                               ;   in Loop: Header=BB8_12 Depth=3
	v_add_co_u32 v14, vcc_lo, s50, v9
	v_add_co_ci_u32_e32 v15, vcc_lo, s51, v10, vcc_lo
	s_and_not1_b32 vcc_lo, exec_lo, s60
	global_store_b32 v[14:15], v17, off
	s_cbranch_vccnz .LBB8_32
; %bb.29:                               ;   in Loop: Header=BB8_12 Depth=3
	v_add_co_u32 v14, vcc_lo, s48, v9
	v_add_co_ci_u32_e32 v15, vcc_lo, s49, v10, vcc_lo
	global_load_b32 v14, v[14:15], off
	s_waitcnt vmcnt(0)
	v_sub_f32_e32 v14, v14, v17
	s_delay_alu instid0(VALU_DEP_1) | instskip(NEXT) | instid1(VALU_DEP_1)
	v_cmp_class_f32_e64 s78, v14, 0x1f8
	s_and_saveexec_b32 s77, s78
; %bb.30:                               ;   in Loop: Header=BB8_12 Depth=3
	v_cmp_lt_f32_e64 s78, v2, |v14|
	s_delay_alu instid0(VALU_DEP_1)
	v_cndmask_b32_e64 v2, v2, |v14|, s78
; %bb.31:                               ;   in Loop: Header=BB8_12 Depth=3
	s_or_b32 exec_lo, exec_lo, s77
.LBB8_32:                               ;   in Loop: Header=BB8_12 Depth=3
                                        ; implicit-def: $vgpr17
.LBB8_33:                               ;   in Loop: Header=BB8_12 Depth=3
	s_and_not1_saveexec_b32 s76, s76
	s_cbranch_execz .LBB8_46
; %bb.34:                               ;   in Loop: Header=BB8_12 Depth=3
	s_mov_b32 s77, exec_lo
	v_cmpx_lt_i32_e64 v13, v37
	s_cbranch_execz .LBB8_45
; %bb.35:                               ;   in Loop: Header=BB8_12 Depth=3
	v_mov_b32_e32 v18, v13
	s_mov_b32 s78, 0
                                        ; implicit-def: $sgpr79
                                        ; implicit-def: $sgpr81
                                        ; implicit-def: $sgpr80
	s_set_inst_prefetch_distance 0x1
	s_branch .LBB8_37
	.p2align	6
.LBB8_36:                               ;   in Loop: Header=BB8_37 Depth=4
	s_or_b32 exec_lo, exec_lo, s82
	s_delay_alu instid0(SALU_CYCLE_1) | instskip(NEXT) | instid1(SALU_CYCLE_1)
	s_and_b32 s82, exec_lo, s81
	s_or_b32 s78, s82, s78
	s_and_not1_b32 s79, s79, exec_lo
	s_and_b32 s82, s80, exec_lo
	s_delay_alu instid0(SALU_CYCLE_1)
	s_or_b32 s79, s79, s82
	s_and_not1_b32 exec_lo, exec_lo, s78
	s_cbranch_execz .LBB8_39
.LBB8_37:                               ;   Parent Loop BB8_3 Depth=1
                                        ;     Parent Loop BB8_7 Depth=2
                                        ;       Parent Loop BB8_12 Depth=3
                                        ; =>      This Inner Loop Header: Depth=4
	s_delay_alu instid0(VALU_DEP_1) | instskip(SKIP_3) | instid1(VALU_DEP_1)
	v_add_nc_u32_e32 v14, v12, v18
	s_or_b32 s80, s80, exec_lo
	s_or_b32 s81, s81, exec_lo
	s_mov_b32 s82, exec_lo
	v_ashrrev_i32_e32 v15, 31, v14
	s_delay_alu instid0(VALU_DEP_1) | instskip(NEXT) | instid1(VALU_DEP_1)
	v_lshlrev_b64 v[14:15], 2, v[14:15]
	v_add_co_u32 v19, vcc_lo, s20, v14
	s_delay_alu instid0(VALU_DEP_2) | instskip(SKIP_3) | instid1(VALU_DEP_1)
	v_add_co_ci_u32_e32 v20, vcc_lo, s21, v15, vcc_lo
	global_load_b32 v19, v[19:20], off
	s_waitcnt vmcnt(0)
	v_subrev_nc_u32_e32 v19, s65, v19
	v_cmpx_ne_u32_e64 v19, v5
	s_cbranch_execz .LBB8_36
; %bb.38:                               ;   in Loop: Header=BB8_37 Depth=4
	v_add_nc_u32_e32 v18, 1, v18
	s_and_not1_b32 s81, s81, exec_lo
	s_and_not1_b32 s80, s80, exec_lo
	s_delay_alu instid0(VALU_DEP_1) | instskip(SKIP_1) | instid1(SALU_CYCLE_1)
	v_cmp_ge_i32_e32 vcc_lo, v18, v37
	s_and_b32 s83, vcc_lo, exec_lo
	s_or_b32 s81, s81, s83
	s_branch .LBB8_36
.LBB8_39:                               ;   in Loop: Header=BB8_12 Depth=3
	s_set_inst_prefetch_distance 0x2
	s_or_b32 exec_lo, exec_lo, s78
	s_and_saveexec_b32 s78, s79
	s_delay_alu instid0(SALU_CYCLE_1)
	s_xor_b32 s78, exec_lo, s78
	s_cbranch_execz .LBB8_44
; %bb.40:                               ;   in Loop: Header=BB8_12 Depth=3
	v_add_co_u32 v18, vcc_lo, s58, v14
	v_add_co_ci_u32_e32 v19, vcc_lo, s59, v15, vcc_lo
	s_and_not1_b32 vcc_lo, exec_lo, s60
	global_store_b32 v[18:19], v17, off
	s_cbranch_vccnz .LBB8_44
; %bb.41:                               ;   in Loop: Header=BB8_12 Depth=3
	v_add_co_u32 v14, vcc_lo, s22, v14
	v_add_co_ci_u32_e32 v15, vcc_lo, s23, v15, vcc_lo
	global_load_b32 v14, v[14:15], off
	s_waitcnt vmcnt(0)
	v_sub_f32_e32 v14, v14, v17
	s_delay_alu instid0(VALU_DEP_1) | instskip(NEXT) | instid1(VALU_DEP_1)
	v_cmp_class_f32_e64 s80, v14, 0x1f8
	s_and_saveexec_b32 s79, s80
; %bb.42:                               ;   in Loop: Header=BB8_12 Depth=3
	v_cmp_lt_f32_e64 s80, v2, |v14|
	s_delay_alu instid0(VALU_DEP_1)
	v_cndmask_b32_e64 v2, v2, |v14|, s80
; %bb.43:                               ;   in Loop: Header=BB8_12 Depth=3
	s_or_b32 exec_lo, exec_lo, s79
.LBB8_44:                               ;   in Loop: Header=BB8_12 Depth=3
	s_delay_alu instid0(SALU_CYCLE_1)
	s_or_b32 exec_lo, exec_lo, s78
.LBB8_45:                               ;   in Loop: Header=BB8_12 Depth=3
	s_delay_alu instid0(SALU_CYCLE_1)
	s_or_b32 exec_lo, exec_lo, s77
.LBB8_46:                               ;   in Loop: Header=BB8_12 Depth=3
	s_delay_alu instid0(SALU_CYCLE_1)
	s_or_b32 exec_lo, exec_lo, s76
                                        ; implicit-def: $vgpr17
.LBB8_47:                               ;   in Loop: Header=BB8_12 Depth=3
	s_and_not1_saveexec_b32 s15, s15
	s_cbranch_execz .LBB8_60
; %bb.48:                               ;   in Loop: Header=BB8_12 Depth=3
	s_mov_b32 s76, exec_lo
	v_cmpx_lt_i32_e64 v3, v32
	s_cbranch_execz .LBB8_59
; %bb.49:                               ;   in Loop: Header=BB8_12 Depth=3
	v_mov_b32_e32 v18, v3
	s_mov_b32 s77, 0
                                        ; implicit-def: $sgpr78
                                        ; implicit-def: $sgpr80
                                        ; implicit-def: $sgpr79
	s_set_inst_prefetch_distance 0x1
	s_branch .LBB8_51
	.p2align	6
.LBB8_50:                               ;   in Loop: Header=BB8_51 Depth=4
	s_or_b32 exec_lo, exec_lo, s81
	s_delay_alu instid0(SALU_CYCLE_1) | instskip(NEXT) | instid1(SALU_CYCLE_1)
	s_and_b32 s81, exec_lo, s80
	s_or_b32 s77, s81, s77
	s_and_not1_b32 s78, s78, exec_lo
	s_and_b32 s81, s79, exec_lo
	s_delay_alu instid0(SALU_CYCLE_1)
	s_or_b32 s78, s78, s81
	s_and_not1_b32 exec_lo, exec_lo, s77
	s_cbranch_execz .LBB8_53
.LBB8_51:                               ;   Parent Loop BB8_3 Depth=1
                                        ;     Parent Loop BB8_7 Depth=2
                                        ;       Parent Loop BB8_12 Depth=3
                                        ; =>      This Inner Loop Header: Depth=4
	s_delay_alu instid0(VALU_DEP_1) | instskip(SKIP_3) | instid1(VALU_DEP_1)
	v_add_nc_u32_e32 v14, v8, v18
	s_or_b32 s79, s79, exec_lo
	s_or_b32 s80, s80, exec_lo
	s_mov_b32 s81, exec_lo
	v_ashrrev_i32_e32 v15, 31, v14
	s_delay_alu instid0(VALU_DEP_1) | instskip(NEXT) | instid1(VALU_DEP_1)
	v_lshlrev_b64 v[14:15], 2, v[14:15]
	v_add_co_u32 v19, vcc_lo, s28, v14
	s_delay_alu instid0(VALU_DEP_2) | instskip(SKIP_3) | instid1(VALU_DEP_1)
	v_add_co_ci_u32_e32 v20, vcc_lo, s29, v15, vcc_lo
	global_load_b32 v19, v[19:20], off
	s_waitcnt vmcnt(0)
	v_subrev_nc_u32_e32 v19, s64, v19
	v_cmpx_ne_u32_e64 v19, v11
	s_cbranch_execz .LBB8_50
; %bb.52:                               ;   in Loop: Header=BB8_51 Depth=4
	v_add_nc_u32_e32 v18, 1, v18
	s_and_not1_b32 s80, s80, exec_lo
	s_and_not1_b32 s79, s79, exec_lo
	s_delay_alu instid0(VALU_DEP_1) | instskip(SKIP_1) | instid1(SALU_CYCLE_1)
	v_cmp_ge_i32_e32 vcc_lo, v18, v32
	s_and_b32 s82, vcc_lo, exec_lo
	s_or_b32 s80, s80, s82
	s_branch .LBB8_50
.LBB8_53:                               ;   in Loop: Header=BB8_12 Depth=3
	s_set_inst_prefetch_distance 0x2
	s_or_b32 exec_lo, exec_lo, s77
	s_and_saveexec_b32 s77, s78
	s_delay_alu instid0(SALU_CYCLE_1)
	s_xor_b32 s77, exec_lo, s77
	s_cbranch_execz .LBB8_58
; %bb.54:                               ;   in Loop: Header=BB8_12 Depth=3
	v_add_co_u32 v18, vcc_lo, s56, v14
	v_add_co_ci_u32_e32 v19, vcc_lo, s57, v15, vcc_lo
	s_and_not1_b32 vcc_lo, exec_lo, s60
	global_store_b32 v[18:19], v17, off
	s_cbranch_vccnz .LBB8_58
; %bb.55:                               ;   in Loop: Header=BB8_12 Depth=3
	v_add_co_u32 v14, vcc_lo, s30, v14
	v_add_co_ci_u32_e32 v15, vcc_lo, s31, v15, vcc_lo
	global_load_b32 v14, v[14:15], off
	s_waitcnt vmcnt(0)
	v_sub_f32_e32 v14, v14, v17
	s_delay_alu instid0(VALU_DEP_1) | instskip(NEXT) | instid1(VALU_DEP_1)
	v_cmp_class_f32_e64 s79, v14, 0x1f8
	s_and_saveexec_b32 s78, s79
; %bb.56:                               ;   in Loop: Header=BB8_12 Depth=3
	v_cmp_lt_f32_e64 s79, v2, |v14|
	s_delay_alu instid0(VALU_DEP_1)
	v_cndmask_b32_e64 v2, v2, |v14|, s79
; %bb.57:                               ;   in Loop: Header=BB8_12 Depth=3
	s_or_b32 exec_lo, exec_lo, s78
.LBB8_58:                               ;   in Loop: Header=BB8_12 Depth=3
	s_delay_alu instid0(SALU_CYCLE_1)
	s_or_b32 exec_lo, exec_lo, s77
.LBB8_59:                               ;   in Loop: Header=BB8_12 Depth=3
	s_delay_alu instid0(SALU_CYCLE_1)
	s_or_b32 exec_lo, exec_lo, s76
.LBB8_60:                               ;   in Loop: Header=BB8_12 Depth=3
	s_delay_alu instid0(SALU_CYCLE_1) | instskip(NEXT) | instid1(SALU_CYCLE_1)
	s_or_b32 exec_lo, exec_lo, s15
	s_or_b32 exec_lo, exec_lo, s75
	s_and_b32 s74, s74, s33
	s_delay_alu instid0(SALU_CYCLE_1)
	s_and_saveexec_b32 s15, s74
	s_cbranch_execz .LBB8_11
.LBB8_61:                               ;   in Loop: Header=BB8_12 Depth=3
	s_mov_b32 s74, exec_lo
	v_cmpx_ge_i32_e64 v13, v37
	s_xor_b32 s74, exec_lo, s74
	s_cbranch_execnz .LBB8_67
; %bb.62:                               ;   in Loop: Header=BB8_12 Depth=3
	s_and_not1_saveexec_b32 s74, s74
	s_cbranch_execnz .LBB8_76
.LBB8_63:                               ;   in Loop: Header=BB8_12 Depth=3
	s_or_b32 exec_lo, exec_lo, s74
	s_delay_alu instid0(SALU_CYCLE_1)
	s_mov_b32 s74, exec_lo
	v_cmpx_eq_u32_e64 v5, v11
	s_cbranch_execz .LBB8_65
.LBB8_64:                               ;   in Loop: Header=BB8_12 Depth=3
	v_add_co_u32 v9, vcc_lo, s48, v9
	v_add_co_ci_u32_e32 v10, vcc_lo, s49, v10, vcc_lo
	global_load_b32 v3, v[9:10], off
	s_waitcnt vmcnt(0)
	v_add_f32_e32 v7, v7, v3
.LBB8_65:                               ;   in Loop: Header=BB8_12 Depth=3
	s_or_b32 exec_lo, exec_lo, s74
	s_delay_alu instid0(VALU_DEP_1) | instskip(NEXT) | instid1(VALU_DEP_1)
	v_sub_f32_e32 v3, v16, v7
	v_cmp_class_f32_e64 s75, v3, 0x1f8
	s_delay_alu instid0(VALU_DEP_1)
	s_and_saveexec_b32 s74, s75
	s_cbranch_execz .LBB8_10
; %bb.66:                               ;   in Loop: Header=BB8_12 Depth=3
	v_cmp_lt_f32_e64 s75, v1, |v3|
	s_delay_alu instid0(VALU_DEP_1)
	v_cndmask_b32_e64 v1, v1, |v3|, s75
	s_branch .LBB8_10
.LBB8_67:                               ;   in Loop: Header=BB8_12 Depth=3
	s_mov_b32 s75, exec_lo
	v_cmpx_lt_i32_e64 v3, v32
	s_cbranch_execz .LBB8_75
; %bb.68:                               ;   in Loop: Header=BB8_12 Depth=3
	s_mov_b32 s76, 0
                                        ; implicit-def: $sgpr77
                                        ; implicit-def: $sgpr79
                                        ; implicit-def: $sgpr78
	s_set_inst_prefetch_distance 0x1
	s_branch .LBB8_70
	.p2align	6
.LBB8_69:                               ;   in Loop: Header=BB8_70 Depth=4
	s_or_b32 exec_lo, exec_lo, s80
	s_delay_alu instid0(SALU_CYCLE_1) | instskip(NEXT) | instid1(SALU_CYCLE_1)
	s_and_b32 s80, exec_lo, s79
	s_or_b32 s76, s80, s76
	s_and_not1_b32 s77, s77, exec_lo
	s_and_b32 s80, s78, exec_lo
	s_delay_alu instid0(SALU_CYCLE_1)
	s_or_b32 s77, s77, s80
	s_and_not1_b32 exec_lo, exec_lo, s76
	s_cbranch_execz .LBB8_72
.LBB8_70:                               ;   Parent Loop BB8_3 Depth=1
                                        ;     Parent Loop BB8_7 Depth=2
                                        ;       Parent Loop BB8_12 Depth=3
                                        ; =>      This Inner Loop Header: Depth=4
	v_add_nc_u32_e32 v12, v8, v3
	s_or_b32 s78, s78, exec_lo
	s_or_b32 s79, s79, exec_lo
	s_mov_b32 s80, exec_lo
	s_delay_alu instid0(VALU_DEP_1) | instskip(NEXT) | instid1(VALU_DEP_1)
	v_ashrrev_i32_e32 v13, 31, v12
	v_lshlrev_b64 v[12:13], 2, v[12:13]
	s_delay_alu instid0(VALU_DEP_1) | instskip(NEXT) | instid1(VALU_DEP_2)
	v_add_co_u32 v14, vcc_lo, s28, v12
	v_add_co_ci_u32_e32 v15, vcc_lo, s29, v13, vcc_lo
	global_load_b32 v14, v[14:15], off
	s_waitcnt vmcnt(0)
	v_subrev_nc_u32_e32 v14, s64, v14
	s_delay_alu instid0(VALU_DEP_1)
	v_cmpx_ne_u32_e64 v14, v11
	s_cbranch_execz .LBB8_69
; %bb.71:                               ;   in Loop: Header=BB8_70 Depth=4
	v_add_nc_u32_e32 v3, 1, v3
	s_and_not1_b32 s79, s79, exec_lo
	s_and_not1_b32 s78, s78, exec_lo
	s_delay_alu instid0(VALU_DEP_1) | instskip(SKIP_1) | instid1(SALU_CYCLE_1)
	v_cmp_ge_i32_e32 vcc_lo, v3, v32
	s_and_b32 s81, vcc_lo, exec_lo
	s_or_b32 s79, s79, s81
	s_branch .LBB8_69
.LBB8_72:                               ;   in Loop: Header=BB8_12 Depth=3
	s_set_inst_prefetch_distance 0x2
	s_or_b32 exec_lo, exec_lo, s76
	s_and_saveexec_b32 s76, s77
	s_delay_alu instid0(SALU_CYCLE_1)
	s_xor_b32 s76, exec_lo, s76
	s_cbranch_execz .LBB8_74
; %bb.73:                               ;   in Loop: Header=BB8_12 Depth=3
	v_add_co_u32 v12, vcc_lo, s30, v12
	v_add_co_ci_u32_e32 v13, vcc_lo, s31, v13, vcc_lo
	v_add_co_u32 v14, vcc_lo, s48, v9
	v_add_co_ci_u32_e32 v15, vcc_lo, s49, v10, vcc_lo
	global_load_b32 v3, v[12:13], off
	global_load_b32 v12, v[14:15], off
	s_waitcnt vmcnt(0)
	v_fmac_f32_e32 v7, v3, v12
.LBB8_74:                               ;   in Loop: Header=BB8_12 Depth=3
	s_or_b32 exec_lo, exec_lo, s76
.LBB8_75:                               ;   in Loop: Header=BB8_12 Depth=3
	s_delay_alu instid0(SALU_CYCLE_1)
	s_or_b32 exec_lo, exec_lo, s75
                                        ; implicit-def: $vgpr13
                                        ; implicit-def: $vgpr12
                                        ; implicit-def: $vgpr37
	s_and_not1_saveexec_b32 s74, s74
	s_cbranch_execz .LBB8_63
.LBB8_76:                               ;   in Loop: Header=BB8_12 Depth=3
	s_mov_b32 s75, 0
                                        ; implicit-def: $sgpr76
                                        ; implicit-def: $sgpr78
                                        ; implicit-def: $sgpr77
	s_set_inst_prefetch_distance 0x1
	s_branch .LBB8_78
	.p2align	6
.LBB8_77:                               ;   in Loop: Header=BB8_78 Depth=4
	s_or_b32 exec_lo, exec_lo, s79
	s_delay_alu instid0(SALU_CYCLE_1) | instskip(NEXT) | instid1(SALU_CYCLE_1)
	s_and_b32 s79, exec_lo, s78
	s_or_b32 s75, s79, s75
	s_and_not1_b32 s76, s76, exec_lo
	s_and_b32 s79, s77, exec_lo
	s_delay_alu instid0(SALU_CYCLE_1)
	s_or_b32 s76, s76, s79
	s_and_not1_b32 exec_lo, exec_lo, s75
	s_cbranch_execz .LBB8_80
.LBB8_78:                               ;   Parent Loop BB8_3 Depth=1
                                        ;     Parent Loop BB8_7 Depth=2
                                        ;       Parent Loop BB8_12 Depth=3
                                        ; =>      This Inner Loop Header: Depth=4
	v_add_nc_u32_e32 v14, v12, v13
	s_or_b32 s77, s77, exec_lo
	s_or_b32 s78, s78, exec_lo
	s_mov_b32 s79, exec_lo
	s_delay_alu instid0(VALU_DEP_1) | instskip(NEXT) | instid1(VALU_DEP_1)
	v_ashrrev_i32_e32 v15, 31, v14
	v_lshlrev_b64 v[14:15], 2, v[14:15]
	s_delay_alu instid0(VALU_DEP_1) | instskip(NEXT) | instid1(VALU_DEP_2)
	v_add_co_u32 v17, vcc_lo, s20, v14
	v_add_co_ci_u32_e32 v18, vcc_lo, s21, v15, vcc_lo
	global_load_b32 v3, v[17:18], off
	s_waitcnt vmcnt(0)
	v_subrev_nc_u32_e32 v3, s65, v3
	s_delay_alu instid0(VALU_DEP_1)
	v_cmpx_ne_u32_e64 v3, v5
	s_cbranch_execz .LBB8_77
; %bb.79:                               ;   in Loop: Header=BB8_78 Depth=4
	v_add_nc_u32_e32 v13, 1, v13
	s_and_not1_b32 s78, s78, exec_lo
	s_and_not1_b32 s77, s77, exec_lo
	s_delay_alu instid0(VALU_DEP_1) | instskip(SKIP_1) | instid1(SALU_CYCLE_1)
	v_cmp_ge_i32_e32 vcc_lo, v13, v37
	s_and_b32 s80, vcc_lo, exec_lo
	s_or_b32 s78, s78, s80
	s_branch .LBB8_77
.LBB8_80:                               ;   in Loop: Header=BB8_12 Depth=3
	s_set_inst_prefetch_distance 0x2
	s_or_b32 exec_lo, exec_lo, s75
	s_and_saveexec_b32 s75, s76
	s_delay_alu instid0(SALU_CYCLE_1)
	s_xor_b32 s75, exec_lo, s75
	s_cbranch_execz .LBB8_82
; %bb.81:                               ;   in Loop: Header=BB8_12 Depth=3
	v_add_co_u32 v12, vcc_lo, s22, v14
	v_add_co_ci_u32_e32 v13, vcc_lo, s23, v15, vcc_lo
	global_load_b32 v3, v[12:13], off
	s_waitcnt vmcnt(0)
	v_add_f32_e32 v7, v7, v3
.LBB8_82:                               ;   in Loop: Header=BB8_12 Depth=3
	s_or_b32 exec_lo, exec_lo, s75
	s_delay_alu instid0(SALU_CYCLE_1) | instskip(NEXT) | instid1(SALU_CYCLE_1)
	s_or_b32 exec_lo, exec_lo, s74
	s_mov_b32 s74, exec_lo
	v_cmpx_eq_u32_e64 v5, v11
	s_cbranch_execnz .LBB8_64
	s_branch .LBB8_65
.LBB8_83:                               ;   in Loop: Header=BB8_3 Depth=1
	v_xor_b32_e32 v3, 1, v23
	s_and_b32 vcc_lo, exec_lo, s60
	s_cbranch_vccnz .LBB8_86
; %bb.84:                               ;   in Loop: Header=BB8_3 Depth=1
	s_and_not1_b32 vcc_lo, exec_lo, s33
	s_cbranch_vccz .LBB8_107
.LBB8_85:                               ;   in Loop: Header=BB8_3 Depth=1
	s_and_saveexec_b32 s15, s9
	s_cbranch_execnz .LBB8_128
	s_branch .LBB8_139
.LBB8_86:                               ;   in Loop: Header=BB8_3 Depth=1
	s_delay_alu instid0(VALU_DEP_1) | instskip(SKIP_1) | instid1(VALU_DEP_1)
	v_cmp_gt_i32_e32 vcc_lo, 32, v3
	v_cndmask_b32_e32 v5, v23, v3, vcc_lo
	v_lshlrev_b32_e32 v5, 2, v5
	ds_bpermute_b32 v5, v5, v2
	s_and_saveexec_b32 s14, s3
	s_cbranch_execz .LBB8_88
; %bb.87:                               ;   in Loop: Header=BB8_3 Depth=1
	s_waitcnt lgkmcnt(0)
	v_cmp_lt_f32_e32 vcc_lo, v2, v5
	v_cndmask_b32_e32 v2, v2, v5, vcc_lo
	ds_store_b32 v26, v2
.LBB8_88:                               ;   in Loop: Header=BB8_3 Depth=1
	s_or_b32 exec_lo, exec_lo, s14
	s_waitcnt lgkmcnt(0)
	s_waitcnt_vscnt null, 0x0
	s_barrier
	buffer_gl0_inv
	s_and_saveexec_b32 s14, s4
	s_cbranch_execz .LBB8_90
; %bb.89:                               ;   in Loop: Header=BB8_3 Depth=1
	ds_load_2addr_stride64_b32 v[5:6], v21 offset1:4
	s_waitcnt lgkmcnt(0)
	v_cmp_lt_f32_e32 vcc_lo, v5, v6
	v_cndmask_b32_e32 v2, v5, v6, vcc_lo
	ds_store_b32 v21, v2
.LBB8_90:                               ;   in Loop: Header=BB8_3 Depth=1
	s_or_b32 exec_lo, exec_lo, s14
	s_waitcnt lgkmcnt(0)
	s_barrier
	buffer_gl0_inv
	s_and_saveexec_b32 s14, s5
	s_cbranch_execz .LBB8_92
; %bb.91:                               ;   in Loop: Header=BB8_3 Depth=1
	ds_load_2addr_stride64_b32 v[5:6], v21 offset1:2
	s_waitcnt lgkmcnt(0)
	v_cmp_lt_f32_e32 vcc_lo, v5, v6
	v_cndmask_b32_e32 v2, v5, v6, vcc_lo
	ds_store_b32 v21, v2
.LBB8_92:                               ;   in Loop: Header=BB8_3 Depth=1
	s_or_b32 exec_lo, exec_lo, s14
	s_waitcnt lgkmcnt(0)
	;; [unrolled: 13-line block ×3, first 2 shown]
	s_barrier
	buffer_gl0_inv
	s_and_saveexec_b32 s14, s7
	s_cbranch_execz .LBB8_96
; %bb.95:                               ;   in Loop: Header=BB8_3 Depth=1
	ds_load_2addr_b32 v[5:6], v21 offset1:32
	s_waitcnt lgkmcnt(0)
	v_cmp_lt_f32_e32 vcc_lo, v5, v6
	v_cndmask_b32_e32 v2, v5, v6, vcc_lo
	ds_store_b32 v21, v2
.LBB8_96:                               ;   in Loop: Header=BB8_3 Depth=1
	s_or_b32 exec_lo, exec_lo, s14
	s_waitcnt lgkmcnt(0)
	s_barrier
	buffer_gl0_inv
	s_and_saveexec_b32 s14, s8
	s_cbranch_execz .LBB8_98
; %bb.97:                               ;   in Loop: Header=BB8_3 Depth=1
	ds_load_2addr_b32 v[5:6], v21 offset1:16
	s_waitcnt lgkmcnt(0)
	v_cmp_lt_f32_e32 vcc_lo, v5, v6
	v_cndmask_b32_e32 v2, v5, v6, vcc_lo
	ds_store_b32 v21, v2
.LBB8_98:                               ;   in Loop: Header=BB8_3 Depth=1
	s_or_b32 exec_lo, exec_lo, s14
	s_waitcnt lgkmcnt(0)
	s_barrier
	buffer_gl0_inv
	s_and_saveexec_b32 s14, s10
	s_cbranch_execz .LBB8_100
; %bb.99:                               ;   in Loop: Header=BB8_3 Depth=1
	ds_load_2addr_b32 v[5:6], v21 offset1:8
	s_waitcnt lgkmcnt(0)
	v_cmp_lt_f32_e32 vcc_lo, v5, v6
	v_cndmask_b32_e32 v2, v5, v6, vcc_lo
	ds_store_b32 v21, v2
.LBB8_100:                              ;   in Loop: Header=BB8_3 Depth=1
	s_or_b32 exec_lo, exec_lo, s14
	s_waitcnt lgkmcnt(0)
	s_barrier
	buffer_gl0_inv
	s_and_saveexec_b32 s14, s11
	s_cbranch_execz .LBB8_102
; %bb.101:                              ;   in Loop: Header=BB8_3 Depth=1
	ds_load_2addr_b32 v[5:6], v21 offset1:4
	s_waitcnt lgkmcnt(0)
	v_cmp_lt_f32_e32 vcc_lo, v5, v6
	v_cndmask_b32_e32 v2, v5, v6, vcc_lo
	ds_store_b32 v21, v2
.LBB8_102:                              ;   in Loop: Header=BB8_3 Depth=1
	s_or_b32 exec_lo, exec_lo, s14
	s_waitcnt lgkmcnt(0)
	s_barrier
	buffer_gl0_inv
	s_and_saveexec_b32 s14, s12
	s_cbranch_execz .LBB8_104
; %bb.103:                              ;   in Loop: Header=BB8_3 Depth=1
	ds_load_2addr_b32 v[5:6], v21 offset1:2
	s_waitcnt lgkmcnt(0)
	v_cmp_lt_f32_e32 vcc_lo, v5, v6
	v_cndmask_b32_e32 v2, v5, v6, vcc_lo
	ds_store_b32 v21, v2
.LBB8_104:                              ;   in Loop: Header=BB8_3 Depth=1
	s_or_b32 exec_lo, exec_lo, s14
	s_waitcnt lgkmcnt(0)
	s_barrier
	buffer_gl0_inv
	s_and_saveexec_b32 s14, s13
	s_cbranch_execz .LBB8_106
; %bb.105:                              ;   in Loop: Header=BB8_3 Depth=1
	ds_load_b64 v[5:6], v30
	s_waitcnt lgkmcnt(0)
	v_cmp_lt_f32_e32 vcc_lo, v5, v6
	v_cndmask_b32_e32 v2, v5, v6, vcc_lo
	ds_store_b32 v30, v2
.LBB8_106:                              ;   in Loop: Header=BB8_3 Depth=1
	s_or_b32 exec_lo, exec_lo, s14
	s_waitcnt lgkmcnt(0)
	s_barrier
	buffer_gl0_inv
	ds_load_b32 v2, v30
	s_load_b32 s14, s[54:55], 0x0
	s_waitcnt lgkmcnt(0)
	v_div_scale_f32 v5, null, s14, s14, v2
	s_delay_alu instid0(VALU_DEP_1) | instskip(SKIP_2) | instid1(VALU_DEP_1)
	v_rcp_f32_e32 v6, v5
	s_waitcnt_depctr 0xfff
	v_fma_f32 v7, -v5, v6, 1.0
	v_fmac_f32_e32 v6, v7, v6
	v_div_scale_f32 v7, vcc_lo, v2, s14, v2
	s_delay_alu instid0(VALU_DEP_1) | instskip(NEXT) | instid1(VALU_DEP_1)
	v_mul_f32_e32 v8, v7, v6
	v_fma_f32 v9, -v5, v8, v7
	s_delay_alu instid0(VALU_DEP_1) | instskip(NEXT) | instid1(VALU_DEP_1)
	v_fmac_f32_e32 v8, v9, v6
	v_fma_f32 v5, -v5, v8, v7
	s_delay_alu instid0(VALU_DEP_1) | instskip(NEXT) | instid1(VALU_DEP_1)
	v_div_fmas_f32 v5, v5, v6, v8
	v_div_fixup_f32 v2, v5, s14, v2
	s_and_not1_b32 vcc_lo, exec_lo, s33
	s_cbranch_vccnz .LBB8_85
.LBB8_107:                              ;   in Loop: Header=BB8_3 Depth=1
	v_cmp_gt_i32_e32 vcc_lo, 32, v3
	v_cndmask_b32_e32 v3, v23, v3, vcc_lo
	s_delay_alu instid0(VALU_DEP_1)
	v_lshlrev_b32_e32 v3, 2, v3
	ds_bpermute_b32 v3, v3, v1
	s_and_saveexec_b32 s14, s3
	s_cbranch_execz .LBB8_109
; %bb.108:                              ;   in Loop: Header=BB8_3 Depth=1
	s_waitcnt lgkmcnt(0)
	v_cmp_lt_f32_e32 vcc_lo, v1, v3
	v_cndmask_b32_e32 v1, v1, v3, vcc_lo
	ds_store_b32 v26, v1
.LBB8_109:                              ;   in Loop: Header=BB8_3 Depth=1
	s_or_b32 exec_lo, exec_lo, s14
	s_waitcnt lgkmcnt(0)
	s_waitcnt_vscnt null, 0x0
	s_barrier
	buffer_gl0_inv
	s_and_saveexec_b32 s14, s4
	s_cbranch_execz .LBB8_111
; %bb.110:                              ;   in Loop: Header=BB8_3 Depth=1
	ds_load_2addr_stride64_b32 v[5:6], v21 offset1:4
	s_waitcnt lgkmcnt(0)
	v_cmp_lt_f32_e32 vcc_lo, v5, v6
	v_cndmask_b32_e32 v1, v5, v6, vcc_lo
	ds_store_b32 v21, v1
.LBB8_111:                              ;   in Loop: Header=BB8_3 Depth=1
	s_or_b32 exec_lo, exec_lo, s14
	s_waitcnt lgkmcnt(0)
	s_barrier
	buffer_gl0_inv
	s_and_saveexec_b32 s14, s5
	s_cbranch_execz .LBB8_113
; %bb.112:                              ;   in Loop: Header=BB8_3 Depth=1
	ds_load_2addr_stride64_b32 v[5:6], v21 offset1:2
	s_waitcnt lgkmcnt(0)
	v_cmp_lt_f32_e32 vcc_lo, v5, v6
	v_cndmask_b32_e32 v1, v5, v6, vcc_lo
	ds_store_b32 v21, v1
.LBB8_113:                              ;   in Loop: Header=BB8_3 Depth=1
	s_or_b32 exec_lo, exec_lo, s14
	s_waitcnt lgkmcnt(0)
	;; [unrolled: 13-line block ×3, first 2 shown]
	s_barrier
	buffer_gl0_inv
	s_and_saveexec_b32 s14, s7
	s_cbranch_execz .LBB8_117
; %bb.116:                              ;   in Loop: Header=BB8_3 Depth=1
	ds_load_2addr_b32 v[5:6], v21 offset1:32
	s_waitcnt lgkmcnt(0)
	v_cmp_lt_f32_e32 vcc_lo, v5, v6
	v_cndmask_b32_e32 v1, v5, v6, vcc_lo
	ds_store_b32 v21, v1
.LBB8_117:                              ;   in Loop: Header=BB8_3 Depth=1
	s_or_b32 exec_lo, exec_lo, s14
	s_waitcnt lgkmcnt(0)
	s_barrier
	buffer_gl0_inv
	s_and_saveexec_b32 s14, s8
	s_cbranch_execz .LBB8_119
; %bb.118:                              ;   in Loop: Header=BB8_3 Depth=1
	ds_load_2addr_b32 v[5:6], v21 offset1:16
	s_waitcnt lgkmcnt(0)
	v_cmp_lt_f32_e32 vcc_lo, v5, v6
	v_cndmask_b32_e32 v1, v5, v6, vcc_lo
	ds_store_b32 v21, v1
.LBB8_119:                              ;   in Loop: Header=BB8_3 Depth=1
	s_or_b32 exec_lo, exec_lo, s14
	s_waitcnt lgkmcnt(0)
	;; [unrolled: 13-line block ×5, first 2 shown]
	s_barrier
	buffer_gl0_inv
	s_and_saveexec_b32 s14, s13
	s_cbranch_execz .LBB8_127
; %bb.126:                              ;   in Loop: Header=BB8_3 Depth=1
	ds_load_b64 v[5:6], v30
	s_waitcnt lgkmcnt(0)
	v_cmp_lt_f32_e32 vcc_lo, v5, v6
	v_cndmask_b32_e32 v1, v5, v6, vcc_lo
	ds_store_b32 v30, v1
.LBB8_127:                              ;   in Loop: Header=BB8_3 Depth=1
	s_or_b32 exec_lo, exec_lo, s14
	s_waitcnt lgkmcnt(0)
	s_barrier
	buffer_gl0_inv
	ds_load_b32 v1, v30
	s_load_b32 s14, s[54:55], 0x0
	s_waitcnt lgkmcnt(0)
	v_div_scale_f32 v3, null, s14, s14, v1
	s_delay_alu instid0(VALU_DEP_1) | instskip(SKIP_2) | instid1(VALU_DEP_1)
	v_rcp_f32_e32 v5, v3
	s_waitcnt_depctr 0xfff
	v_fma_f32 v6, -v3, v5, 1.0
	v_fmac_f32_e32 v5, v6, v5
	v_div_scale_f32 v6, vcc_lo, v1, s14, v1
	s_delay_alu instid0(VALU_DEP_1) | instskip(NEXT) | instid1(VALU_DEP_1)
	v_mul_f32_e32 v7, v6, v5
	v_fma_f32 v8, -v3, v7, v6
	s_delay_alu instid0(VALU_DEP_1) | instskip(NEXT) | instid1(VALU_DEP_1)
	v_fmac_f32_e32 v7, v8, v5
	v_fma_f32 v3, -v3, v7, v6
	s_delay_alu instid0(VALU_DEP_1) | instskip(NEXT) | instid1(VALU_DEP_1)
	v_div_fmas_f32 v3, v3, v5, v7
	v_div_fixup_f32 v1, v3, s14, v1
	s_and_saveexec_b32 s15, s9
	s_cbranch_execz .LBB8_139
.LBB8_128:                              ;   in Loop: Header=BB8_3 Depth=1
	v_mov_b32_e32 v5, v25
	s_branch .LBB8_130
.LBB8_129:                              ;   in Loop: Header=BB8_130 Depth=2
	s_or_b32 exec_lo, exec_lo, s71
	v_add_nc_u32_e32 v5, 0x200, v5
	s_delay_alu instid0(VALU_DEP_1) | instskip(SKIP_1) | instid1(SALU_CYCLE_1)
	v_cmp_le_u32_e32 vcc_lo, s66, v5
	s_or_b32 s70, vcc_lo, s70
	s_and_not1_b32 exec_lo, exec_lo, s70
	s_cbranch_execz .LBB8_139
.LBB8_130:                              ;   Parent Loop BB8_3 Depth=1
                                        ; =>  This Loop Header: Depth=2
                                        ;       Child Loop BB8_133 Depth 3
                                        ;       Child Loop BB8_136 Depth 3
	s_mov_b32 s71, exec_lo
	s_delay_alu instid0(VALU_DEP_1)
	v_cmpx_gt_i32_e64 s53, v5
	s_cbranch_execz .LBB8_129
; %bb.131:                              ;   in Loop: Header=BB8_130 Depth=2
	v_ashrrev_i32_e32 v6, 31, v5
	s_mov_b32 s72, exec_lo
	s_delay_alu instid0(VALU_DEP_1) | instskip(NEXT) | instid1(VALU_DEP_1)
	v_lshlrev_b64 v[6:7], 2, v[5:6]
	v_add_co_u32 v8, vcc_lo, s24, v6
	s_delay_alu instid0(VALU_DEP_2)
	v_add_co_ci_u32_e32 v9, vcc_lo, s25, v7, vcc_lo
	v_add_co_u32 v10, vcc_lo, s26, v6
	v_add_co_ci_u32_e32 v11, vcc_lo, s27, v7, vcc_lo
	global_load_b32 v3, v[8:9], off
	global_load_b32 v9, v[10:11], off
	s_waitcnt vmcnt(1)
	v_add_nc_u32_e32 v8, v28, v3
	s_waitcnt vmcnt(0)
	v_subrev_nc_u32_e32 v3, s64, v9
	s_delay_alu instid0(VALU_DEP_1)
	v_cmpx_lt_i32_e64 v8, v3
	s_cbranch_execz .LBB8_134
; %bb.132:                              ;   in Loop: Header=BB8_130 Depth=2
	v_ashrrev_i32_e32 v9, 31, v8
	s_mov_b32 s73, 0
	s_delay_alu instid0(VALU_DEP_1) | instskip(NEXT) | instid1(VALU_DEP_1)
	v_lshlrev_b64 v[11:12], 2, v[8:9]
	v_add_co_u32 v9, vcc_lo, s56, v11
	s_delay_alu instid0(VALU_DEP_2)
	v_add_co_ci_u32_e32 v10, vcc_lo, s57, v12, vcc_lo
	v_add_co_u32 v11, vcc_lo, s30, v11
	v_add_co_ci_u32_e32 v12, vcc_lo, s31, v12, vcc_lo
.LBB8_133:                              ;   Parent Loop BB8_3 Depth=1
                                        ;     Parent Loop BB8_130 Depth=2
                                        ; =>    This Inner Loop Header: Depth=3
	global_load_b32 v13, v[9:10], off
	v_add_nc_u32_e32 v8, 2, v8
	v_add_co_u32 v9, vcc_lo, v9, 8
	v_add_co_ci_u32_e32 v10, vcc_lo, 0, v10, vcc_lo
	s_delay_alu instid0(VALU_DEP_3) | instskip(SKIP_4) | instid1(VALU_DEP_1)
	v_cmp_ge_i32_e32 vcc_lo, v8, v3
	s_or_b32 s73, vcc_lo, s73
	s_waitcnt vmcnt(0)
	global_store_b32 v[11:12], v13, off
	v_add_co_u32 v11, s14, v11, 8
	v_add_co_ci_u32_e64 v12, s14, 0, v12, s14
	s_and_not1_b32 exec_lo, exec_lo, s73
	s_cbranch_execnz .LBB8_133
.LBB8_134:                              ;   in Loop: Header=BB8_130 Depth=2
	s_or_b32 exec_lo, exec_lo, s72
	v_add_co_u32 v8, vcc_lo, s16, v6
	v_add_co_ci_u32_e32 v9, vcc_lo, s17, v7, vcc_lo
	v_add_co_u32 v10, vcc_lo, s18, v6
	v_add_co_ci_u32_e32 v11, vcc_lo, s19, v7, vcc_lo
	s_mov_b32 s72, exec_lo
	global_load_b32 v3, v[8:9], off
	global_load_b32 v9, v[10:11], off
	s_waitcnt vmcnt(1)
	v_add_nc_u32_e32 v8, v29, v3
	s_waitcnt vmcnt(0)
	v_subrev_nc_u32_e32 v3, s65, v9
	s_delay_alu instid0(VALU_DEP_1)
	v_cmpx_lt_i32_e64 v8, v3
	s_cbranch_execz .LBB8_137
; %bb.135:                              ;   in Loop: Header=BB8_130 Depth=2
	v_ashrrev_i32_e32 v9, 31, v8
	s_mov_b32 s73, 0
	s_delay_alu instid0(VALU_DEP_1) | instskip(NEXT) | instid1(VALU_DEP_1)
	v_lshlrev_b64 v[11:12], 2, v[8:9]
	v_add_co_u32 v9, vcc_lo, s58, v11
	s_delay_alu instid0(VALU_DEP_2)
	v_add_co_ci_u32_e32 v10, vcc_lo, s59, v12, vcc_lo
	v_add_co_u32 v11, vcc_lo, s22, v11
	v_add_co_ci_u32_e32 v12, vcc_lo, s23, v12, vcc_lo
.LBB8_136:                              ;   Parent Loop BB8_3 Depth=1
                                        ;     Parent Loop BB8_130 Depth=2
                                        ; =>    This Inner Loop Header: Depth=3
	global_load_b32 v13, v[9:10], off
	v_add_nc_u32_e32 v8, 2, v8
	v_add_co_u32 v9, vcc_lo, v9, 8
	v_add_co_ci_u32_e32 v10, vcc_lo, 0, v10, vcc_lo
	s_delay_alu instid0(VALU_DEP_3) | instskip(SKIP_4) | instid1(VALU_DEP_1)
	v_cmp_ge_i32_e32 vcc_lo, v8, v3
	s_or_b32 s73, vcc_lo, s73
	s_waitcnt vmcnt(0)
	global_store_b32 v[11:12], v13, off
	v_add_co_u32 v11, s14, v11, 8
	v_add_co_ci_u32_e64 v12, s14, 0, v12, s14
	s_and_not1_b32 exec_lo, exec_lo, s73
	s_cbranch_execnz .LBB8_136
.LBB8_137:                              ;   in Loop: Header=BB8_130 Depth=2
	s_or_b32 exec_lo, exec_lo, s72
	s_delay_alu instid0(SALU_CYCLE_1)
	s_and_b32 exec_lo, exec_lo, s2
	s_cbranch_execz .LBB8_129
; %bb.138:                              ;   in Loop: Header=BB8_130 Depth=2
	v_add_co_u32 v8, vcc_lo, s50, v6
	v_add_co_ci_u32_e32 v9, vcc_lo, s51, v7, vcc_lo
	v_add_co_u32 v6, vcc_lo, s48, v6
	v_add_co_ci_u32_e32 v7, vcc_lo, s49, v7, vcc_lo
	global_load_b32 v3, v[8:9], off
	s_waitcnt vmcnt(0)
	global_store_b32 v[6:7], v3, off
	s_branch .LBB8_129
.LBB8_139:                              ;   in Loop: Header=BB8_3 Depth=1
	s_or_b32 exec_lo, exec_lo, s15
	s_delay_alu instid0(SALU_CYCLE_1)
	s_and_b32 vcc_lo, exec_lo, s61
	s_mov_b32 s15, -1
	s_cbranch_vccz .LBB8_149
; %bb.140:                              ;   in Loop: Header=BB8_3 Depth=1
	s_and_b32 vcc_lo, exec_lo, s68
	s_mov_b32 s14, -1
                                        ; implicit-def: $sgpr70
	s_cbranch_vccz .LBB8_146
; %bb.141:                              ;   in Loop: Header=BB8_3 Depth=1
	s_and_b32 vcc_lo, exec_lo, s67
                                        ; implicit-def: $sgpr70
	s_cbranch_vccz .LBB8_143
; %bb.142:                              ;   in Loop: Header=BB8_3 Depth=1
	v_cmp_ge_f32_e32 vcc_lo, s52, v1
	s_mov_b32 s14, 0
	s_and_b32 s70, vcc_lo, exec_lo
.LBB8_143:                              ;   in Loop: Header=BB8_3 Depth=1
	s_and_not1_b32 vcc_lo, exec_lo, s14
	s_cbranch_vccnz .LBB8_145
; %bb.144:                              ;   in Loop: Header=BB8_3 Depth=1
	v_cmp_ge_f32_e32 vcc_lo, s52, v2
	s_and_not1_b32 s14, s70, exec_lo
	s_and_b32 s70, vcc_lo, exec_lo
	s_delay_alu instid0(SALU_CYCLE_1)
	s_or_b32 s70, s14, s70
.LBB8_145:                              ;   in Loop: Header=BB8_3 Depth=1
	s_mov_b32 s14, 0
.LBB8_146:                              ;   in Loop: Header=BB8_3 Depth=1
	s_delay_alu instid0(SALU_CYCLE_1)
	s_and_not1_b32 vcc_lo, exec_lo, s14
	s_cbranch_vccnz .LBB8_148
; %bb.147:                              ;   in Loop: Header=BB8_3 Depth=1
	v_cmp_ge_f32_e32 vcc_lo, s52, v2
	v_cmp_ge_f32_e64 s14, s52, v1
	s_and_not1_b32 s70, s70, exec_lo
	s_delay_alu instid0(VALU_DEP_1) | instskip(NEXT) | instid1(SALU_CYCLE_1)
	s_and_b32 s14, vcc_lo, s14
	s_and_b32 s14, s14, exec_lo
	s_delay_alu instid0(SALU_CYCLE_1)
	s_or_b32 s70, s70, s14
.LBB8_148:                              ;   in Loop: Header=BB8_3 Depth=1
	s_delay_alu instid0(SALU_CYCLE_1)
	s_xor_b32 s14, s70, -1
	v_mov_b32_e32 v3, s69
	s_and_saveexec_b32 s70, s14
	s_cbranch_execz .LBB8_2
	s_branch .LBB8_150
.LBB8_149:                              ;   in Loop: Header=BB8_3 Depth=1
	s_mov_b32 s14, -1
	v_mov_b32_e32 v3, s69
	s_and_saveexec_b32 s70, s14
	s_cbranch_execz .LBB8_2
.LBB8_150:                              ;   in Loop: Header=BB8_3 Depth=1
	s_add_i32 s69, s69, 1
	v_mov_b32_e32 v3, s35
	s_cmp_eq_u32 s69, s35
	s_cselect_b32 s14, -1, 0
	s_delay_alu instid0(SALU_CYCLE_1)
	s_or_not1_b32 s15, s14, exec_lo
	s_branch .LBB8_2
.LBB8_151:
	s_or_b32 exec_lo, exec_lo, s62
.LBB8_152:
	s_delay_alu instid0(SALU_CYCLE_1) | instskip(NEXT) | instid1(SALU_CYCLE_1)
	s_or_b32 exec_lo, exec_lo, s34
	s_and_not1_b32 vcc_lo, exec_lo, s61
	s_cbranch_vccnz .LBB8_177
; %bb.153:
	v_xor_b32_e32 v4, 1, v23
	s_mov_b32 s2, exec_lo
	s_delay_alu instid0(VALU_DEP_1) | instskip(SKIP_1) | instid1(VALU_DEP_1)
	v_cmp_gt_i32_e32 vcc_lo, 32, v4
	v_cndmask_b32_e32 v4, v23, v4, vcc_lo
	v_lshlrev_b32_e32 v4, 2, v4
	ds_bpermute_b32 v4, v4, v3
	v_cmpx_ne_u32_e32 0, v24
	s_cbranch_execz .LBB8_155
; %bb.154:
	v_lshlrev_b32_e32 v5, 2, v22
	s_waitcnt lgkmcnt(0)
	v_max_i32_e32 v3, v3, v4
	ds_store_b32 v5, v3 offset:2048
.LBB8_155:
	s_or_b32 exec_lo, exec_lo, s2
	s_delay_alu instid0(SALU_CYCLE_1)
	s_mov_b32 s2, exec_lo
	s_waitcnt lgkmcnt(0)
	s_waitcnt_vscnt null, 0x0
	s_barrier
	buffer_gl0_inv
	v_cmpx_gt_u32_e32 0x100, v0
	s_cbranch_execz .LBB8_157
; %bb.156:
	ds_load_2addr_stride64_b32 v[3:4], v21 offset0:8 offset1:12
	s_waitcnt lgkmcnt(0)
	v_max_i32_e32 v3, v3, v4
	ds_store_b32 v21, v3 offset:2048
.LBB8_157:
	s_or_b32 exec_lo, exec_lo, s2
	s_delay_alu instid0(SALU_CYCLE_1)
	s_mov_b32 s2, exec_lo
	s_waitcnt lgkmcnt(0)
	s_barrier
	buffer_gl0_inv
	v_cmpx_gt_u32_e32 0x80, v0
	s_cbranch_execz .LBB8_159
; %bb.158:
	ds_load_2addr_stride64_b32 v[3:4], v21 offset0:8 offset1:10
	s_waitcnt lgkmcnt(0)
	v_max_i32_e32 v3, v3, v4
	ds_store_b32 v21, v3 offset:2048
.LBB8_159:
	s_or_b32 exec_lo, exec_lo, s2
	s_delay_alu instid0(SALU_CYCLE_1)
	s_mov_b32 s2, exec_lo
	s_waitcnt lgkmcnt(0)
	;; [unrolled: 14-line block ×3, first 2 shown]
	s_barrier
	buffer_gl0_inv
	v_cmpx_gt_u32_e32 32, v0
	s_cbranch_execz .LBB8_163
; %bb.162:
	v_add_nc_u32_e32 v3, 0x800, v21
	ds_load_2addr_b32 v[3:4], v3 offset1:32
	s_waitcnt lgkmcnt(0)
	v_max_i32_e32 v3, v3, v4
	ds_store_b32 v21, v3 offset:2048
.LBB8_163:
	s_or_b32 exec_lo, exec_lo, s2
	s_delay_alu instid0(SALU_CYCLE_1)
	s_mov_b32 s2, exec_lo
	s_waitcnt lgkmcnt(0)
	s_barrier
	buffer_gl0_inv
	v_cmpx_gt_u32_e32 16, v0
	s_cbranch_execz .LBB8_165
; %bb.164:
	v_add_nc_u32_e32 v3, 0x800, v21
	ds_load_2addr_b32 v[3:4], v3 offset1:16
	s_waitcnt lgkmcnt(0)
	v_max_i32_e32 v3, v3, v4
	ds_store_b32 v21, v3 offset:2048
.LBB8_165:
	s_or_b32 exec_lo, exec_lo, s2
	s_delay_alu instid0(SALU_CYCLE_1)
	s_mov_b32 s2, exec_lo
	s_waitcnt lgkmcnt(0)
	;; [unrolled: 15-line block ×4, first 2 shown]
	s_barrier
	buffer_gl0_inv
	v_cmpx_gt_u32_e32 2, v0
	s_cbranch_execz .LBB8_171
; %bb.170:
	v_add_nc_u32_e32 v3, 0x800, v21
	ds_load_2addr_b32 v[3:4], v3 offset1:2
	s_waitcnt lgkmcnt(0)
	v_max_i32_e32 v3, v3, v4
	ds_store_b32 v21, v3 offset:2048
.LBB8_171:
	s_or_b32 exec_lo, exec_lo, s2
	v_cmp_eq_u32_e32 vcc_lo, 0, v0
	s_waitcnt lgkmcnt(0)
	s_barrier
	buffer_gl0_inv
	s_and_saveexec_b32 s2, vcc_lo
	s_cbranch_execz .LBB8_173
; %bb.172:
	v_mov_b32_e32 v5, 0
	ds_load_b64 v[3:4], v5 offset:2048
	s_waitcnt lgkmcnt(0)
	v_max_i32_e32 v3, v3, v4
	ds_store_b32 v5, v3 offset:2048
.LBB8_173:
	s_or_b32 exec_lo, exec_lo, s2
	s_waitcnt lgkmcnt(0)
	s_barrier
	buffer_gl0_inv
	s_and_saveexec_b32 s2, vcc_lo
	s_cbranch_execz .LBB8_176
; %bb.174:
	v_mbcnt_lo_u32_b32 v3, exec_lo, 0
	s_delay_alu instid0(VALU_DEP_1)
	v_cmp_eq_u32_e32 vcc_lo, 0, v3
	s_and_b32 exec_lo, exec_lo, vcc_lo
	s_cbranch_execz .LBB8_176
; %bb.175:
	v_mov_b32_e32 v3, 0
	s_load_b64 s[0:1], s[0:1], 0x8
	ds_load_b32 v4, v3 offset:2048
	s_waitcnt lgkmcnt(0)
	v_add_nc_u32_e32 v4, 1, v4
	global_atomic_max_i32 v3, v4, s[0:1]
.LBB8_176:
	s_or_b32 exec_lo, exec_lo, s2
.LBB8_177:
	v_cmp_eq_u32_e32 vcc_lo, 0, v0
	s_mov_b32 s2, 0
	s_and_b32 s0, vcc_lo, s60
	s_delay_alu instid0(SALU_CYCLE_1)
	s_and_saveexec_b32 s3, s0
	s_cbranch_execz .LBB8_182
; %bb.178:
	v_mov_b32_e32 v0, 0
	v_cmp_eq_f32_e64 s0, 0, v2
                                        ; implicit-def: $sgpr4
                                        ; implicit-def: $sgpr5
	global_load_b32 v3, v0, s[44:45] glc
	s_waitcnt vmcnt(0)
	v_cmp_eq_u32_e64 s6, 0x80000000, v3
	s_set_inst_prefetch_distance 0x1
	s_branch .LBB8_180
	.p2align	6
.LBB8_179:                              ;   in Loop: Header=BB8_180 Depth=1
	s_or_b32 exec_lo, exec_lo, s7
	s_delay_alu instid0(SALU_CYCLE_1) | instskip(NEXT) | instid1(SALU_CYCLE_1)
	s_and_b32 s1, exec_lo, s4
	s_or_b32 s2, s1, s2
	s_and_not1_b32 s1, s6, exec_lo
	s_and_b32 s6, s5, exec_lo
	s_delay_alu instid0(SALU_CYCLE_1)
	s_or_b32 s6, s1, s6
	s_and_not1_b32 exec_lo, exec_lo, s2
	s_cbranch_execz .LBB8_182
.LBB8_180:                              ; =>This Inner Loop Header: Depth=1
	v_cmp_lt_f32_e64 s1, v3, v2
	s_delay_alu instid0(VALU_DEP_2) | instskip(SKIP_2) | instid1(VALU_DEP_1)
	s_and_b32 s7, s0, s6
	s_and_not1_b32 s5, s5, exec_lo
	s_or_b32 s4, s4, exec_lo
	s_or_b32 s1, s1, s7
	s_delay_alu instid0(SALU_CYCLE_1)
	s_and_saveexec_b32 s7, s1
	s_cbranch_execz .LBB8_179
; %bb.181:                              ;   in Loop: Header=BB8_180 Depth=1
	global_atomic_cmpswap_b32 v4, v0, v[2:3], s[44:45] glc
	s_and_not1_b32 s5, s5, exec_lo
	s_and_not1_b32 s4, s4, exec_lo
	s_waitcnt vmcnt(0)
	v_cmp_eq_u32_e64 s1, v4, v3
	s_delay_alu instid0(VALU_DEP_1) | instskip(SKIP_1) | instid1(SALU_CYCLE_1)
	v_cndmask_b32_e64 v3, v4, v3, s1
	s_and_b32 s1, s1, exec_lo
	s_or_b32 s4, s4, s1
	s_delay_alu instid0(VALU_DEP_1) | instskip(SKIP_1) | instid1(VALU_DEP_2)
	v_cmp_class_f32_e64 s6, v3, 32
	v_mov_b32_e32 v3, v4
	s_and_b32 s6, s6, exec_lo
	s_delay_alu instid0(SALU_CYCLE_1)
	s_or_b32 s5, s5, s6
                                        ; implicit-def: $sgpr6
	s_branch .LBB8_179
.LBB8_182:
	s_set_inst_prefetch_distance 0x2
	s_or_b32 exec_lo, exec_lo, s3
	s_and_b32 s0, vcc_lo, s33
	s_delay_alu instid0(SALU_CYCLE_1)
	s_and_saveexec_b32 s1, s0
	s_cbranch_execz .LBB8_187
; %bb.183:
	v_mov_b32_e32 v0, 0
	v_cmp_eq_f32_e32 vcc_lo, 0, v1
	s_mov_b32 s1, 0
                                        ; implicit-def: $sgpr2
                                        ; implicit-def: $sgpr3
	global_load_b32 v2, v0, s[46:47] glc
	s_waitcnt vmcnt(0)
	v_cmp_eq_u32_e64 s4, 0x80000000, v2
	s_set_inst_prefetch_distance 0x1
	s_branch .LBB8_185
	.p2align	6
.LBB8_184:                              ;   in Loop: Header=BB8_185 Depth=1
	s_or_b32 exec_lo, exec_lo, s5
	s_delay_alu instid0(SALU_CYCLE_1) | instskip(NEXT) | instid1(SALU_CYCLE_1)
	s_and_b32 s0, exec_lo, s2
	s_or_b32 s1, s0, s1
	s_and_not1_b32 s0, s4, exec_lo
	s_and_b32 s4, s3, exec_lo
	s_delay_alu instid0(SALU_CYCLE_1)
	s_or_b32 s4, s0, s4
	s_and_not1_b32 exec_lo, exec_lo, s1
	s_cbranch_execz .LBB8_187
.LBB8_185:                              ; =>This Inner Loop Header: Depth=1
	v_cmp_lt_f32_e64 s0, v2, v1
	s_delay_alu instid0(VALU_DEP_2) | instskip(SKIP_2) | instid1(VALU_DEP_1)
	s_and_b32 s5, vcc_lo, s4
	s_and_not1_b32 s3, s3, exec_lo
	s_or_b32 s2, s2, exec_lo
	s_or_b32 s0, s0, s5
	s_delay_alu instid0(SALU_CYCLE_1)
	s_and_saveexec_b32 s5, s0
	s_cbranch_execz .LBB8_184
; %bb.186:                              ;   in Loop: Header=BB8_185 Depth=1
	global_atomic_cmpswap_b32 v3, v0, v[1:2], s[46:47] glc
	s_and_not1_b32 s3, s3, exec_lo
	s_and_not1_b32 s2, s2, exec_lo
	s_waitcnt vmcnt(0)
	v_cmp_eq_u32_e64 s0, v3, v2
	s_delay_alu instid0(VALU_DEP_1) | instskip(SKIP_1) | instid1(SALU_CYCLE_1)
	v_cndmask_b32_e64 v2, v3, v2, s0
	s_and_b32 s0, s0, exec_lo
	s_or_b32 s2, s2, s0
	s_delay_alu instid0(VALU_DEP_1) | instskip(SKIP_1) | instid1(VALU_DEP_2)
	v_cmp_class_f32_e64 s4, v2, 32
	v_mov_b32_e32 v2, v3
	s_and_b32 s4, s4, exec_lo
	s_delay_alu instid0(SALU_CYCLE_1)
	s_or_b32 s3, s3, s4
                                        ; implicit-def: $sgpr4
	s_branch .LBB8_184
.LBB8_187:
	s_set_inst_prefetch_distance 0x2
	s_nop 0
	s_sendmsg sendmsg(MSG_DEALLOC_VGPRS)
	s_endpgm
	.section	.rodata,"a",@progbits
	.p2align	6, 0x0
	.amdhsa_kernel _ZN9rocsparseL6kernelILi1024ELi2EfiiEEvbbbT3_PS1_NS_15floating_traitsIT1_E6data_tES1_T2_PKS7_S9_PKS1_PKS4_21rocsparse_index_base_S9_S9_SB_PS4_SF_SE_S9_S9_SB_SF_SF_SE_SF_SF_PS6_SG_PKS6_
		.amdhsa_group_segment_fixed_size 4096
		.amdhsa_private_segment_fixed_size 0
		.amdhsa_kernarg_size 208
		.amdhsa_user_sgpr_count 15
		.amdhsa_user_sgpr_dispatch_ptr 0
		.amdhsa_user_sgpr_queue_ptr 0
		.amdhsa_user_sgpr_kernarg_segment_ptr 1
		.amdhsa_user_sgpr_dispatch_id 0
		.amdhsa_user_sgpr_private_segment_size 0
		.amdhsa_wavefront_size32 1
		.amdhsa_uses_dynamic_stack 0
		.amdhsa_enable_private_segment 0
		.amdhsa_system_sgpr_workgroup_id_x 1
		.amdhsa_system_sgpr_workgroup_id_y 0
		.amdhsa_system_sgpr_workgroup_id_z 0
		.amdhsa_system_sgpr_workgroup_info 0
		.amdhsa_system_vgpr_workitem_id 0
		.amdhsa_next_free_vgpr 46
		.amdhsa_next_free_sgpr 84
		.amdhsa_reserve_vcc 1
		.amdhsa_float_round_mode_32 0
		.amdhsa_float_round_mode_16_64 0
		.amdhsa_float_denorm_mode_32 3
		.amdhsa_float_denorm_mode_16_64 3
		.amdhsa_dx10_clamp 1
		.amdhsa_ieee_mode 1
		.amdhsa_fp16_overflow 0
		.amdhsa_workgroup_processor_mode 1
		.amdhsa_memory_ordered 1
		.amdhsa_forward_progress 0
		.amdhsa_shared_vgpr_count 0
		.amdhsa_exception_fp_ieee_invalid_op 0
		.amdhsa_exception_fp_denorm_src 0
		.amdhsa_exception_fp_ieee_div_zero 0
		.amdhsa_exception_fp_ieee_overflow 0
		.amdhsa_exception_fp_ieee_underflow 0
		.amdhsa_exception_fp_ieee_inexact 0
		.amdhsa_exception_int_div_zero 0
	.end_amdhsa_kernel
	.section	.text._ZN9rocsparseL6kernelILi1024ELi2EfiiEEvbbbT3_PS1_NS_15floating_traitsIT1_E6data_tES1_T2_PKS7_S9_PKS1_PKS4_21rocsparse_index_base_S9_S9_SB_PS4_SF_SE_S9_S9_SB_SF_SF_SE_SF_SF_PS6_SG_PKS6_,"axG",@progbits,_ZN9rocsparseL6kernelILi1024ELi2EfiiEEvbbbT3_PS1_NS_15floating_traitsIT1_E6data_tES1_T2_PKS7_S9_PKS1_PKS4_21rocsparse_index_base_S9_S9_SB_PS4_SF_SE_S9_S9_SB_SF_SF_SE_SF_SF_PS6_SG_PKS6_,comdat
.Lfunc_end8:
	.size	_ZN9rocsparseL6kernelILi1024ELi2EfiiEEvbbbT3_PS1_NS_15floating_traitsIT1_E6data_tES1_T2_PKS7_S9_PKS1_PKS4_21rocsparse_index_base_S9_S9_SB_PS4_SF_SE_S9_S9_SB_SF_SF_SE_SF_SF_PS6_SG_PKS6_, .Lfunc_end8-_ZN9rocsparseL6kernelILi1024ELi2EfiiEEvbbbT3_PS1_NS_15floating_traitsIT1_E6data_tES1_T2_PKS7_S9_PKS1_PKS4_21rocsparse_index_base_S9_S9_SB_PS4_SF_SE_S9_S9_SB_SF_SF_SE_SF_SF_PS6_SG_PKS6_
                                        ; -- End function
	.section	.AMDGPU.csdata,"",@progbits
; Kernel info:
; codeLenInByte = 6436
; NumSgprs: 86
; NumVgprs: 46
; ScratchSize: 0
; MemoryBound: 0
; FloatMode: 240
; IeeeMode: 1
; LDSByteSize: 4096 bytes/workgroup (compile time only)
; SGPRBlocks: 10
; VGPRBlocks: 5
; NumSGPRsForWavesPerEU: 86
; NumVGPRsForWavesPerEU: 46
; Occupancy: 16
; WaveLimiterHint : 1
; COMPUTE_PGM_RSRC2:SCRATCH_EN: 0
; COMPUTE_PGM_RSRC2:USER_SGPR: 15
; COMPUTE_PGM_RSRC2:TRAP_HANDLER: 0
; COMPUTE_PGM_RSRC2:TGID_X_EN: 1
; COMPUTE_PGM_RSRC2:TGID_Y_EN: 0
; COMPUTE_PGM_RSRC2:TGID_Z_EN: 0
; COMPUTE_PGM_RSRC2:TIDIG_COMP_CNT: 0
	.section	.text._ZN9rocsparseL6kernelILi1024ELi4EfiiEEvbbbT3_PS1_NS_15floating_traitsIT1_E6data_tES1_T2_PKS7_S9_PKS1_PKS4_21rocsparse_index_base_S9_S9_SB_PS4_SF_SE_S9_S9_SB_SF_SF_SE_SF_SF_PS6_SG_PKS6_,"axG",@progbits,_ZN9rocsparseL6kernelILi1024ELi4EfiiEEvbbbT3_PS1_NS_15floating_traitsIT1_E6data_tES1_T2_PKS7_S9_PKS1_PKS4_21rocsparse_index_base_S9_S9_SB_PS4_SF_SE_S9_S9_SB_SF_SF_SE_SF_SF_PS6_SG_PKS6_,comdat
	.globl	_ZN9rocsparseL6kernelILi1024ELi4EfiiEEvbbbT3_PS1_NS_15floating_traitsIT1_E6data_tES1_T2_PKS7_S9_PKS1_PKS4_21rocsparse_index_base_S9_S9_SB_PS4_SF_SE_S9_S9_SB_SF_SF_SE_SF_SF_PS6_SG_PKS6_ ; -- Begin function _ZN9rocsparseL6kernelILi1024ELi4EfiiEEvbbbT3_PS1_NS_15floating_traitsIT1_E6data_tES1_T2_PKS7_S9_PKS1_PKS4_21rocsparse_index_base_S9_S9_SB_PS4_SF_SE_S9_S9_SB_SF_SF_SE_SF_SF_PS6_SG_PKS6_
	.p2align	8
	.type	_ZN9rocsparseL6kernelILi1024ELi4EfiiEEvbbbT3_PS1_NS_15floating_traitsIT1_E6data_tES1_T2_PKS7_S9_PKS1_PKS4_21rocsparse_index_base_S9_S9_SB_PS4_SF_SE_S9_S9_SB_SF_SF_SE_SF_SF_PS6_SG_PKS6_,@function
_ZN9rocsparseL6kernelILi1024ELi4EfiiEEvbbbT3_PS1_NS_15floating_traitsIT1_E6data_tES1_T2_PKS7_S9_PKS1_PKS4_21rocsparse_index_base_S9_S9_SB_PS4_SF_SE_S9_S9_SB_SF_SF_SE_SF_SF_PS6_SG_PKS6_: ; @_ZN9rocsparseL6kernelILi1024ELi4EfiiEEvbbbT3_PS1_NS_15floating_traitsIT1_E6data_tES1_T2_PKS7_S9_PKS1_PKS4_21rocsparse_index_base_S9_S9_SB_PS4_SF_SE_S9_S9_SB_SF_SF_SE_SF_SF_PS6_SG_PKS6_
; %bb.0:
	s_clause 0x3
	s_load_b32 s2, s[0:1], 0x0
	s_load_b64 s[34:35], s[0:1], 0x0
	s_load_b64 s[52:53], s[0:1], 0x10
	s_load_b128 s[44:47], s[0:1], 0xb8
	v_lshrrev_b32_e32 v22, 2, v0
	v_dual_mov_b32 v1, 0 :: v_dual_mov_b32 v2, 0
	v_mbcnt_lo_u32_b32 v23, -1, 0
	v_lshlrev_b32_e32 v21, 2, v0
	v_dual_mov_b32 v3, 0 :: v_dual_and_b32 v24, 3, v0
	ds_store_b32 v21, v1
	s_waitcnt lgkmcnt(0)
	s_barrier
	buffer_gl0_inv
	s_bitcmp1_b32 s2, 0
	s_cselect_b32 s61, -1, 0
	s_bitcmp1_b32 s2, 8
	s_cselect_b32 s60, -1, 0
	s_bitcmp1_b32 s34, 16
	s_mov_b32 s34, 0
	s_cselect_b32 s33, -1, 0
	s_lshl_b32 s65, s15, 10
	s_cmp_gt_i32 s35, 0
	v_or_b32_e32 v25, s65, v22
	s_cselect_b32 s2, -1, 0
	s_delay_alu instid0(VALU_DEP_1) | instskip(SKIP_1) | instid1(SALU_CYCLE_1)
	v_cmp_gt_i32_e32 vcc_lo, s53, v25
	s_and_b32 s2, s2, vcc_lo
	s_and_saveexec_b32 s15, s2
	s_cbranch_execz .LBB9_148
; %bb.1:
	s_clause 0x9
	s_load_b32 s62, s[0:1], 0x40
	s_load_b64 s[54:55], s[0:1], 0x68
	s_load_b32 s63, s[0:1], 0x70
	s_load_b64 s[56:57], s[0:1], 0x98
	;; [unrolled: 2-line block ×3, first 2 shown]
	s_load_b128 s[48:51], s[0:1], 0xa8
	s_load_b256 s[16:23], s[0:1], 0x78
	s_load_b256 s[24:31], s[0:1], 0x48
	;; [unrolled: 1-line block ×3, first 2 shown]
	s_addk_i32 s65, 0x400
	v_cmp_eq_u32_e64 s2, 3, v24
	v_dual_mov_b32 v1, 0 :: v_dual_lshlrev_b32 v26, 2, v22
	v_cmp_gt_u32_e64 s3, 0x80, v0
	v_cmp_gt_u32_e64 s4, 64, v0
	;; [unrolled: 1-line block ×7, first 2 shown]
	s_waitcnt lgkmcnt(0)
	v_subrev_nc_u32_e32 v27, s62, v24
	v_cmp_gt_u32_e64 s10, 2, v0
	v_cmp_eq_u32_e64 s11, 0, v0
	v_subrev_nc_u32_e32 v28, s63, v24
	v_subrev_nc_u32_e32 v29, s64, v24
	v_cmp_eq_u32_e64 s12, 0, v24
	v_mov_b32_e32 v4, 0
	v_mov_b32_e32 v30, 0
	;; [unrolled: 1-line block ×3, first 2 shown]
	s_and_b32 s13, s60, s33
	s_xor_b32 s66, s60, -1
	s_xor_b32 s67, s13, -1
	s_mov_b32 s68, 0
	s_branch .LBB9_3
.LBB9_2:                                ;   in Loop: Header=BB9_3 Depth=1
	s_or_b32 exec_lo, exec_lo, s69
	s_delay_alu instid0(SALU_CYCLE_1) | instskip(NEXT) | instid1(SALU_CYCLE_1)
	s_and_b32 s13, exec_lo, s14
	s_or_b32 s34, s13, s34
	s_delay_alu instid0(SALU_CYCLE_1)
	s_and_not1_b32 exec_lo, exec_lo, s34
	s_cbranch_execz .LBB9_147
.LBB9_3:                                ; =>This Loop Header: Depth=1
                                        ;     Child Loop BB9_7 Depth 2
                                        ;       Child Loop BB9_12 Depth 3
                                        ;         Child Loop BB9_16 Depth 4
                                        ;         Child Loop BB9_37 Depth 4
	;; [unrolled: 1-line block ×5, first 2 shown]
                                        ;     Child Loop BB9_126 Depth 2
                                        ;       Child Loop BB9_129 Depth 3
                                        ;       Child Loop BB9_132 Depth 3
	v_cndmask_b32_e64 v2, v2, 0, s60
	v_cndmask_b32_e64 v1, v1, 0, s33
	s_mov_b32 s69, 0
	s_branch .LBB9_7
.LBB9_4:                                ;   in Loop: Header=BB9_7 Depth=2
	s_or_b32 exec_lo, exec_lo, s72
.LBB9_5:                                ;   in Loop: Header=BB9_7 Depth=2
	s_delay_alu instid0(SALU_CYCLE_1)
	s_or_b32 exec_lo, exec_lo, s71
.LBB9_6:                                ;   in Loop: Header=BB9_7 Depth=2
	s_delay_alu instid0(SALU_CYCLE_1) | instskip(SKIP_1) | instid1(SALU_CYCLE_1)
	s_or_b32 exec_lo, exec_lo, s70
	s_add_i32 s69, s69, 1
	s_cmp_eq_u32 s69, 4
	s_cbranch_scc1 .LBB9_83
.LBB9_7:                                ;   Parent Loop BB9_3 Depth=1
                                        ; =>  This Loop Header: Depth=2
                                        ;       Child Loop BB9_12 Depth 3
                                        ;         Child Loop BB9_16 Depth 4
                                        ;         Child Loop BB9_37 Depth 4
	;; [unrolled: 1-line block ×5, first 2 shown]
	v_lshl_add_u32 v5, s69, 8, v25
	s_mov_b32 s70, exec_lo
	s_delay_alu instid0(VALU_DEP_1)
	v_cmpx_gt_i32_e64 s53, v5
	s_cbranch_execz .LBB9_6
; %bb.8:                                ;   in Loop: Header=BB9_7 Depth=2
	v_ashrrev_i32_e32 v6, 31, v5
	s_mov_b32 s71, exec_lo
	s_delay_alu instid0(VALU_DEP_1) | instskip(NEXT) | instid1(VALU_DEP_1)
	v_lshlrev_b64 v[7:8], 2, v[5:6]
	v_add_co_u32 v9, vcc_lo, s36, v7
	s_delay_alu instid0(VALU_DEP_2)
	v_add_co_ci_u32_e32 v10, vcc_lo, s37, v8, vcc_lo
	v_add_co_u32 v11, vcc_lo, s38, v7
	v_add_co_ci_u32_e32 v12, vcc_lo, s39, v8, vcc_lo
	global_load_b32 v3, v[9:10], off
	global_load_b32 v9, v[11:12], off
	s_waitcnt vmcnt(1)
	v_add_nc_u32_e32 v6, v27, v3
	s_waitcnt vmcnt(0)
	v_subrev_nc_u32_e32 v31, s62, v9
	s_delay_alu instid0(VALU_DEP_1)
	v_cmpx_lt_i32_e64 v6, v31
	s_cbranch_execz .LBB9_5
; %bb.9:                                ;   in Loop: Header=BB9_7 Depth=2
	v_add_co_u32 v9, vcc_lo, s24, v7
	v_add_co_ci_u32_e32 v10, vcc_lo, s25, v8, vcc_lo
	v_add_co_u32 v7, vcc_lo, s26, v7
	v_add_co_ci_u32_e32 v8, vcc_lo, s27, v8, vcc_lo
	global_load_b32 v3, v[9:10], off
	s_mov_b32 s72, 0
	global_load_b32 v7, v[7:8], off
	s_waitcnt vmcnt(1)
	v_subrev_nc_u32_e32 v8, s63, v3
	s_waitcnt vmcnt(0)
	v_sub_nc_u32_e32 v32, v7, v3
	s_delay_alu instid0(VALU_DEP_2) | instskip(NEXT) | instid1(VALU_DEP_2)
	v_ashrrev_i32_e32 v9, 31, v8
	v_cmp_lt_i32_e64 s13, 0, v32
	s_delay_alu instid0(VALU_DEP_2) | instskip(NEXT) | instid1(VALU_DEP_1)
	v_lshlrev_b64 v[9:10], 2, v[8:9]
	v_add_co_u32 v33, vcc_lo, s28, v9
	s_delay_alu instid0(VALU_DEP_2)
	v_add_co_ci_u32_e32 v34, vcc_lo, s29, v10, vcc_lo
	v_add_co_u32 v35, vcc_lo, s30, v9
	v_add_co_ci_u32_e32 v36, vcc_lo, s31, v10, vcc_lo
	s_branch .LBB9_12
.LBB9_10:                               ;   in Loop: Header=BB9_12 Depth=3
	s_or_b32 exec_lo, exec_lo, s73
.LBB9_11:                               ;   in Loop: Header=BB9_12 Depth=3
	s_delay_alu instid0(SALU_CYCLE_1) | instskip(SKIP_1) | instid1(VALU_DEP_1)
	s_or_b32 exec_lo, exec_lo, s14
	v_add_nc_u32_e32 v6, 4, v6
	v_cmp_ge_i32_e32 vcc_lo, v6, v31
	s_or_b32 s72, vcc_lo, s72
	s_delay_alu instid0(SALU_CYCLE_1)
	s_and_not1_b32 exec_lo, exec_lo, s72
	s_cbranch_execz .LBB9_4
.LBB9_12:                               ;   Parent Loop BB9_3 Depth=1
                                        ;     Parent Loop BB9_7 Depth=2
                                        ; =>    This Loop Header: Depth=3
                                        ;         Child Loop BB9_16 Depth 4
                                        ;         Child Loop BB9_37 Depth 4
	;; [unrolled: 1-line block ×5, first 2 shown]
	v_ashrrev_i32_e32 v7, 31, v6
	s_delay_alu instid0(VALU_DEP_1) | instskip(SKIP_1) | instid1(VALU_DEP_2)
	v_lshlrev_b64 v[15:16], 2, v[6:7]
	v_mov_b32_e32 v7, 0
	v_add_co_u32 v9, vcc_lo, s40, v15
	s_delay_alu instid0(VALU_DEP_3) | instskip(SKIP_3) | instid1(VALU_DEP_1)
	v_add_co_ci_u32_e32 v10, vcc_lo, s41, v16, vcc_lo
	global_load_b32 v3, v[9:10], off
	s_waitcnt vmcnt(0)
	v_subrev_nc_u32_e32 v11, s62, v3
	v_ashrrev_i32_e32 v12, 31, v11
	s_delay_alu instid0(VALU_DEP_1) | instskip(NEXT) | instid1(VALU_DEP_1)
	v_lshlrev_b64 v[9:10], 2, v[11:12]
	v_add_co_u32 v12, vcc_lo, s16, v9
	s_delay_alu instid0(VALU_DEP_2)
	v_add_co_ci_u32_e32 v13, vcc_lo, s17, v10, vcc_lo
	v_add_co_u32 v17, vcc_lo, s18, v9
	v_add_co_ci_u32_e32 v18, vcc_lo, s19, v10, vcc_lo
	global_load_b32 v3, v[12:13], off
	global_load_b32 v14, v[17:18], off
	v_mov_b32_e32 v13, 0
	s_waitcnt vmcnt(1)
	v_subrev_nc_u32_e32 v12, s64, v3
	s_waitcnt vmcnt(0)
	v_sub_nc_u32_e32 v37, v14, v3
	v_mov_b32_e32 v3, 0
	s_and_saveexec_b32 s73, s13
	s_cbranch_execz .LBB9_20
; %bb.13:                               ;   in Loop: Header=BB9_12 Depth=3
	v_ashrrev_i32_e32 v13, 31, v12
	v_mov_b32_e32 v3, 0
	v_mov_b32_e32 v7, 0
	s_mov_b32 s74, 0
                                        ; implicit-def: $sgpr75
	s_delay_alu instid0(VALU_DEP_3) | instskip(NEXT) | instid1(VALU_DEP_1)
	v_lshlrev_b64 v[13:14], 2, v[12:13]
	v_add_co_u32 v38, vcc_lo, s20, v13
	s_delay_alu instid0(VALU_DEP_2)
	v_add_co_ci_u32_e32 v39, vcc_lo, s21, v14, vcc_lo
	v_add_co_u32 v40, vcc_lo, s22, v13
	v_add_co_ci_u32_e32 v41, vcc_lo, s23, v14, vcc_lo
	v_mov_b32_e32 v13, v3
	s_branch .LBB9_16
.LBB9_14:                               ;   in Loop: Header=BB9_16 Depth=4
	s_or_b32 exec_lo, exec_lo, s14
	v_cmp_le_i32_e32 vcc_lo, v14, v42
	v_cmp_ge_i32_e64 s14, v14, v42
	v_add_co_ci_u32_e32 v3, vcc_lo, 0, v3, vcc_lo
	s_delay_alu instid0(VALU_DEP_2) | instskip(SKIP_1) | instid1(VALU_DEP_2)
	v_add_co_ci_u32_e64 v13, s14, 0, v13, s14
	s_and_not1_b32 s14, s75, exec_lo
	v_cmp_ge_i32_e32 vcc_lo, v3, v32
	s_and_b32 s75, vcc_lo, exec_lo
	s_delay_alu instid0(SALU_CYCLE_1)
	s_or_b32 s75, s14, s75
.LBB9_15:                               ;   in Loop: Header=BB9_16 Depth=4
	s_or_b32 exec_lo, exec_lo, s76
	s_delay_alu instid0(SALU_CYCLE_1) | instskip(NEXT) | instid1(SALU_CYCLE_1)
	s_and_b32 s14, exec_lo, s75
	s_or_b32 s74, s14, s74
	s_delay_alu instid0(SALU_CYCLE_1)
	s_and_not1_b32 exec_lo, exec_lo, s74
	s_cbranch_execz .LBB9_19
.LBB9_16:                               ;   Parent Loop BB9_3 Depth=1
                                        ;     Parent Loop BB9_7 Depth=2
                                        ;       Parent Loop BB9_12 Depth=3
                                        ; =>      This Inner Loop Header: Depth=4
	s_or_b32 s75, s75, exec_lo
	s_mov_b32 s76, exec_lo
	s_delay_alu instid0(VALU_DEP_1)
	v_cmpx_lt_i32_e64 v13, v37
	s_cbranch_execz .LBB9_15
; %bb.17:                               ;   in Loop: Header=BB9_16 Depth=4
	v_mov_b32_e32 v14, v4
	v_lshlrev_b64 v[19:20], 2, v[3:4]
	s_mov_b32 s14, exec_lo
	s_delay_alu instid0(VALU_DEP_2) | instskip(NEXT) | instid1(VALU_DEP_2)
	v_lshlrev_b64 v[17:18], 2, v[13:14]
	v_add_co_u32 v42, vcc_lo, v33, v19
	s_delay_alu instid0(VALU_DEP_3) | instskip(NEXT) | instid1(VALU_DEP_3)
	v_add_co_ci_u32_e32 v43, vcc_lo, v34, v20, vcc_lo
	v_add_co_u32 v44, vcc_lo, v38, v17
	s_delay_alu instid0(VALU_DEP_4)
	v_add_co_ci_u32_e32 v45, vcc_lo, v39, v18, vcc_lo
	global_load_b32 v14, v[42:43], off
	global_load_b32 v42, v[44:45], off
	s_waitcnt vmcnt(1)
	v_subrev_nc_u32_e32 v14, s63, v14
	s_waitcnt vmcnt(0)
	v_subrev_nc_u32_e32 v42, s64, v42
	s_delay_alu instid0(VALU_DEP_1)
	v_cmpx_eq_u32_e64 v14, v42
	s_cbranch_execz .LBB9_14
; %bb.18:                               ;   in Loop: Header=BB9_16 Depth=4
	v_add_co_u32 v19, vcc_lo, v35, v19
	v_add_co_ci_u32_e32 v20, vcc_lo, v36, v20, vcc_lo
	v_add_co_u32 v17, vcc_lo, v40, v17
	v_add_co_ci_u32_e32 v18, vcc_lo, v41, v18, vcc_lo
	global_load_b32 v19, v[19:20], off
	global_load_b32 v17, v[17:18], off
	s_waitcnt vmcnt(0)
	v_fmac_f32_e32 v7, v19, v17
	s_branch .LBB9_14
.LBB9_19:                               ;   in Loop: Header=BB9_12 Depth=3
	s_or_b32 exec_lo, exec_lo, s74
.LBB9_20:                               ;   in Loop: Header=BB9_12 Depth=3
	s_delay_alu instid0(SALU_CYCLE_1)
	s_or_b32 exec_lo, exec_lo, s73
	v_add_co_u32 v14, vcc_lo, s42, v15
	v_add_co_ci_u32_e32 v15, vcc_lo, s43, v16, vcc_lo
	v_cmp_le_i32_e64 s14, v5, v11
	s_mov_b32 s73, exec_lo
	global_load_b32 v16, v[14:15], off
	s_waitcnt vmcnt(0)
	v_sub_f32_e32 v17, v16, v7
	v_cmpx_gt_i32_e64 v5, v11
	s_cbranch_execnz .LBB9_23
; %bb.21:                               ;   in Loop: Header=BB9_12 Depth=3
	s_or_b32 exec_lo, exec_lo, s73
	s_delay_alu instid0(VALU_DEP_2) | instskip(NEXT) | instid1(VALU_DEP_1)
	v_cmp_class_f32_e64 s73, v17, 0x1f8
	s_and_saveexec_b32 s74, s73
	s_cbranch_execnz .LBB9_26
.LBB9_22:                               ;   in Loop: Header=BB9_12 Depth=3
	s_or_b32 exec_lo, exec_lo, s74
	s_and_b32 s73, s73, s33
	s_delay_alu instid0(SALU_CYCLE_1)
	s_and_saveexec_b32 s14, s73
	s_cbranch_execz .LBB9_11
	s_branch .LBB9_61
.LBB9_23:                               ;   in Loop: Header=BB9_12 Depth=3
	v_add_co_u32 v14, vcc_lo, s48, v9
	v_add_co_ci_u32_e32 v15, vcc_lo, s49, v10, vcc_lo
	s_mov_b32 s74, exec_lo
	global_load_b32 v14, v[14:15], off
	v_mov_b32_e32 v15, 0
	s_waitcnt vmcnt(0)
	v_cmpx_lg_f32_e32 0, v14
; %bb.24:                               ;   in Loop: Header=BB9_12 Depth=3
	v_div_scale_f32 v15, null, v14, v14, v17
	s_delay_alu instid0(VALU_DEP_1) | instskip(SKIP_2) | instid1(VALU_DEP_1)
	v_rcp_f32_e32 v18, v15
	s_waitcnt_depctr 0xfff
	v_fma_f32 v19, -v15, v18, 1.0
	v_fmac_f32_e32 v18, v19, v18
	v_div_scale_f32 v19, vcc_lo, v17, v14, v17
	s_delay_alu instid0(VALU_DEP_1) | instskip(NEXT) | instid1(VALU_DEP_1)
	v_mul_f32_e32 v20, v19, v18
	v_fma_f32 v38, -v15, v20, v19
	s_delay_alu instid0(VALU_DEP_1) | instskip(NEXT) | instid1(VALU_DEP_1)
	v_fmac_f32_e32 v20, v38, v18
	v_fma_f32 v15, -v15, v20, v19
	s_delay_alu instid0(VALU_DEP_1) | instskip(NEXT) | instid1(VALU_DEP_1)
	v_div_fmas_f32 v15, v15, v18, v20
	v_div_fixup_f32 v15, v15, v14, v17
; %bb.25:                               ;   in Loop: Header=BB9_12 Depth=3
	s_or_b32 exec_lo, exec_lo, s74
	s_delay_alu instid0(VALU_DEP_1) | instskip(SKIP_1) | instid1(VALU_DEP_1)
	v_mov_b32_e32 v17, v15
	s_or_b32 exec_lo, exec_lo, s73
	v_cmp_class_f32_e64 s73, v17, 0x1f8
	s_delay_alu instid0(VALU_DEP_1)
	s_and_saveexec_b32 s74, s73
	s_cbranch_execz .LBB9_22
.LBB9_26:                               ;   in Loop: Header=BB9_12 Depth=3
	s_and_saveexec_b32 s75, s14
	s_delay_alu instid0(SALU_CYCLE_1)
	s_xor_b32 s14, exec_lo, s75
	s_cbranch_execz .LBB9_47
; %bb.27:                               ;   in Loop: Header=BB9_12 Depth=3
	s_mov_b32 s75, exec_lo
	v_cmpx_ge_i32_e64 v5, v11
	s_xor_b32 s75, exec_lo, s75
	s_cbranch_execz .LBB9_33
; %bb.28:                               ;   in Loop: Header=BB9_12 Depth=3
	v_add_co_u32 v14, vcc_lo, s50, v9
	v_add_co_ci_u32_e32 v15, vcc_lo, s51, v10, vcc_lo
	s_and_not1_b32 vcc_lo, exec_lo, s60
	global_store_b32 v[14:15], v17, off
	s_cbranch_vccnz .LBB9_32
; %bb.29:                               ;   in Loop: Header=BB9_12 Depth=3
	v_add_co_u32 v14, vcc_lo, s48, v9
	v_add_co_ci_u32_e32 v15, vcc_lo, s49, v10, vcc_lo
	global_load_b32 v14, v[14:15], off
	s_waitcnt vmcnt(0)
	v_sub_f32_e32 v14, v14, v17
	s_delay_alu instid0(VALU_DEP_1) | instskip(NEXT) | instid1(VALU_DEP_1)
	v_cmp_class_f32_e64 s77, v14, 0x1f8
	s_and_saveexec_b32 s76, s77
; %bb.30:                               ;   in Loop: Header=BB9_12 Depth=3
	v_cmp_lt_f32_e64 s77, v2, |v14|
	s_delay_alu instid0(VALU_DEP_1)
	v_cndmask_b32_e64 v2, v2, |v14|, s77
; %bb.31:                               ;   in Loop: Header=BB9_12 Depth=3
	s_or_b32 exec_lo, exec_lo, s76
.LBB9_32:                               ;   in Loop: Header=BB9_12 Depth=3
                                        ; implicit-def: $vgpr17
.LBB9_33:                               ;   in Loop: Header=BB9_12 Depth=3
	s_and_not1_saveexec_b32 s75, s75
	s_cbranch_execz .LBB9_46
; %bb.34:                               ;   in Loop: Header=BB9_12 Depth=3
	s_mov_b32 s76, exec_lo
	v_cmpx_lt_i32_e64 v13, v37
	s_cbranch_execz .LBB9_45
; %bb.35:                               ;   in Loop: Header=BB9_12 Depth=3
	v_mov_b32_e32 v18, v13
	s_mov_b32 s77, 0
                                        ; implicit-def: $sgpr78
                                        ; implicit-def: $sgpr80
                                        ; implicit-def: $sgpr79
	s_set_inst_prefetch_distance 0x1
	s_branch .LBB9_37
	.p2align	6
.LBB9_36:                               ;   in Loop: Header=BB9_37 Depth=4
	s_or_b32 exec_lo, exec_lo, s81
	s_delay_alu instid0(SALU_CYCLE_1) | instskip(NEXT) | instid1(SALU_CYCLE_1)
	s_and_b32 s81, exec_lo, s80
	s_or_b32 s77, s81, s77
	s_and_not1_b32 s78, s78, exec_lo
	s_and_b32 s81, s79, exec_lo
	s_delay_alu instid0(SALU_CYCLE_1)
	s_or_b32 s78, s78, s81
	s_and_not1_b32 exec_lo, exec_lo, s77
	s_cbranch_execz .LBB9_39
.LBB9_37:                               ;   Parent Loop BB9_3 Depth=1
                                        ;     Parent Loop BB9_7 Depth=2
                                        ;       Parent Loop BB9_12 Depth=3
                                        ; =>      This Inner Loop Header: Depth=4
	s_delay_alu instid0(VALU_DEP_1) | instskip(SKIP_3) | instid1(VALU_DEP_1)
	v_add_nc_u32_e32 v14, v12, v18
	s_or_b32 s79, s79, exec_lo
	s_or_b32 s80, s80, exec_lo
	s_mov_b32 s81, exec_lo
	v_ashrrev_i32_e32 v15, 31, v14
	s_delay_alu instid0(VALU_DEP_1) | instskip(NEXT) | instid1(VALU_DEP_1)
	v_lshlrev_b64 v[14:15], 2, v[14:15]
	v_add_co_u32 v19, vcc_lo, s20, v14
	s_delay_alu instid0(VALU_DEP_2) | instskip(SKIP_3) | instid1(VALU_DEP_1)
	v_add_co_ci_u32_e32 v20, vcc_lo, s21, v15, vcc_lo
	global_load_b32 v19, v[19:20], off
	s_waitcnt vmcnt(0)
	v_subrev_nc_u32_e32 v19, s64, v19
	v_cmpx_ne_u32_e64 v19, v5
	s_cbranch_execz .LBB9_36
; %bb.38:                               ;   in Loop: Header=BB9_37 Depth=4
	v_add_nc_u32_e32 v18, 1, v18
	s_and_not1_b32 s80, s80, exec_lo
	s_and_not1_b32 s79, s79, exec_lo
	s_delay_alu instid0(VALU_DEP_1) | instskip(SKIP_1) | instid1(SALU_CYCLE_1)
	v_cmp_ge_i32_e32 vcc_lo, v18, v37
	s_and_b32 s82, vcc_lo, exec_lo
	s_or_b32 s80, s80, s82
	s_branch .LBB9_36
.LBB9_39:                               ;   in Loop: Header=BB9_12 Depth=3
	s_set_inst_prefetch_distance 0x2
	s_or_b32 exec_lo, exec_lo, s77
	s_and_saveexec_b32 s77, s78
	s_delay_alu instid0(SALU_CYCLE_1)
	s_xor_b32 s77, exec_lo, s77
	s_cbranch_execz .LBB9_44
; %bb.40:                               ;   in Loop: Header=BB9_12 Depth=3
	v_add_co_u32 v18, vcc_lo, s56, v14
	v_add_co_ci_u32_e32 v19, vcc_lo, s57, v15, vcc_lo
	s_and_not1_b32 vcc_lo, exec_lo, s60
	global_store_b32 v[18:19], v17, off
	s_cbranch_vccnz .LBB9_44
; %bb.41:                               ;   in Loop: Header=BB9_12 Depth=3
	v_add_co_u32 v14, vcc_lo, s22, v14
	v_add_co_ci_u32_e32 v15, vcc_lo, s23, v15, vcc_lo
	global_load_b32 v14, v[14:15], off
	s_waitcnt vmcnt(0)
	v_sub_f32_e32 v14, v14, v17
	s_delay_alu instid0(VALU_DEP_1) | instskip(NEXT) | instid1(VALU_DEP_1)
	v_cmp_class_f32_e64 s79, v14, 0x1f8
	s_and_saveexec_b32 s78, s79
; %bb.42:                               ;   in Loop: Header=BB9_12 Depth=3
	v_cmp_lt_f32_e64 s79, v2, |v14|
	s_delay_alu instid0(VALU_DEP_1)
	v_cndmask_b32_e64 v2, v2, |v14|, s79
; %bb.43:                               ;   in Loop: Header=BB9_12 Depth=3
	s_or_b32 exec_lo, exec_lo, s78
.LBB9_44:                               ;   in Loop: Header=BB9_12 Depth=3
	s_delay_alu instid0(SALU_CYCLE_1)
	s_or_b32 exec_lo, exec_lo, s77
.LBB9_45:                               ;   in Loop: Header=BB9_12 Depth=3
	s_delay_alu instid0(SALU_CYCLE_1)
	s_or_b32 exec_lo, exec_lo, s76
.LBB9_46:                               ;   in Loop: Header=BB9_12 Depth=3
	s_delay_alu instid0(SALU_CYCLE_1)
	s_or_b32 exec_lo, exec_lo, s75
                                        ; implicit-def: $vgpr17
.LBB9_47:                               ;   in Loop: Header=BB9_12 Depth=3
	s_and_not1_saveexec_b32 s14, s14
	s_cbranch_execz .LBB9_60
; %bb.48:                               ;   in Loop: Header=BB9_12 Depth=3
	s_mov_b32 s75, exec_lo
	v_cmpx_lt_i32_e64 v3, v32
	s_cbranch_execz .LBB9_59
; %bb.49:                               ;   in Loop: Header=BB9_12 Depth=3
	v_mov_b32_e32 v18, v3
	s_mov_b32 s76, 0
                                        ; implicit-def: $sgpr77
                                        ; implicit-def: $sgpr79
                                        ; implicit-def: $sgpr78
	s_set_inst_prefetch_distance 0x1
	s_branch .LBB9_51
	.p2align	6
.LBB9_50:                               ;   in Loop: Header=BB9_51 Depth=4
	s_or_b32 exec_lo, exec_lo, s80
	s_delay_alu instid0(SALU_CYCLE_1) | instskip(NEXT) | instid1(SALU_CYCLE_1)
	s_and_b32 s80, exec_lo, s79
	s_or_b32 s76, s80, s76
	s_and_not1_b32 s77, s77, exec_lo
	s_and_b32 s80, s78, exec_lo
	s_delay_alu instid0(SALU_CYCLE_1)
	s_or_b32 s77, s77, s80
	s_and_not1_b32 exec_lo, exec_lo, s76
	s_cbranch_execz .LBB9_53
.LBB9_51:                               ;   Parent Loop BB9_3 Depth=1
                                        ;     Parent Loop BB9_7 Depth=2
                                        ;       Parent Loop BB9_12 Depth=3
                                        ; =>      This Inner Loop Header: Depth=4
	s_delay_alu instid0(VALU_DEP_1) | instskip(SKIP_3) | instid1(VALU_DEP_1)
	v_add_nc_u32_e32 v14, v8, v18
	s_or_b32 s78, s78, exec_lo
	s_or_b32 s79, s79, exec_lo
	s_mov_b32 s80, exec_lo
	v_ashrrev_i32_e32 v15, 31, v14
	s_delay_alu instid0(VALU_DEP_1) | instskip(NEXT) | instid1(VALU_DEP_1)
	v_lshlrev_b64 v[14:15], 2, v[14:15]
	v_add_co_u32 v19, vcc_lo, s28, v14
	s_delay_alu instid0(VALU_DEP_2) | instskip(SKIP_3) | instid1(VALU_DEP_1)
	v_add_co_ci_u32_e32 v20, vcc_lo, s29, v15, vcc_lo
	global_load_b32 v19, v[19:20], off
	s_waitcnt vmcnt(0)
	v_subrev_nc_u32_e32 v19, s63, v19
	v_cmpx_ne_u32_e64 v19, v11
	s_cbranch_execz .LBB9_50
; %bb.52:                               ;   in Loop: Header=BB9_51 Depth=4
	v_add_nc_u32_e32 v18, 1, v18
	s_and_not1_b32 s79, s79, exec_lo
	s_and_not1_b32 s78, s78, exec_lo
	s_delay_alu instid0(VALU_DEP_1) | instskip(SKIP_1) | instid1(SALU_CYCLE_1)
	v_cmp_ge_i32_e32 vcc_lo, v18, v32
	s_and_b32 s81, vcc_lo, exec_lo
	s_or_b32 s79, s79, s81
	s_branch .LBB9_50
.LBB9_53:                               ;   in Loop: Header=BB9_12 Depth=3
	s_set_inst_prefetch_distance 0x2
	s_or_b32 exec_lo, exec_lo, s76
	s_and_saveexec_b32 s76, s77
	s_delay_alu instid0(SALU_CYCLE_1)
	s_xor_b32 s76, exec_lo, s76
	s_cbranch_execz .LBB9_58
; %bb.54:                               ;   in Loop: Header=BB9_12 Depth=3
	v_add_co_u32 v18, vcc_lo, s54, v14
	v_add_co_ci_u32_e32 v19, vcc_lo, s55, v15, vcc_lo
	s_and_not1_b32 vcc_lo, exec_lo, s60
	global_store_b32 v[18:19], v17, off
	s_cbranch_vccnz .LBB9_58
; %bb.55:                               ;   in Loop: Header=BB9_12 Depth=3
	v_add_co_u32 v14, vcc_lo, s30, v14
	v_add_co_ci_u32_e32 v15, vcc_lo, s31, v15, vcc_lo
	global_load_b32 v14, v[14:15], off
	s_waitcnt vmcnt(0)
	v_sub_f32_e32 v14, v14, v17
	s_delay_alu instid0(VALU_DEP_1) | instskip(NEXT) | instid1(VALU_DEP_1)
	v_cmp_class_f32_e64 s78, v14, 0x1f8
	s_and_saveexec_b32 s77, s78
; %bb.56:                               ;   in Loop: Header=BB9_12 Depth=3
	v_cmp_lt_f32_e64 s78, v2, |v14|
	s_delay_alu instid0(VALU_DEP_1)
	v_cndmask_b32_e64 v2, v2, |v14|, s78
; %bb.57:                               ;   in Loop: Header=BB9_12 Depth=3
	s_or_b32 exec_lo, exec_lo, s77
.LBB9_58:                               ;   in Loop: Header=BB9_12 Depth=3
	s_delay_alu instid0(SALU_CYCLE_1)
	s_or_b32 exec_lo, exec_lo, s76
.LBB9_59:                               ;   in Loop: Header=BB9_12 Depth=3
	s_delay_alu instid0(SALU_CYCLE_1)
	s_or_b32 exec_lo, exec_lo, s75
.LBB9_60:                               ;   in Loop: Header=BB9_12 Depth=3
	s_delay_alu instid0(SALU_CYCLE_1) | instskip(NEXT) | instid1(SALU_CYCLE_1)
	s_or_b32 exec_lo, exec_lo, s14
	s_or_b32 exec_lo, exec_lo, s74
	s_and_b32 s73, s73, s33
	s_delay_alu instid0(SALU_CYCLE_1)
	s_and_saveexec_b32 s14, s73
	s_cbranch_execz .LBB9_11
.LBB9_61:                               ;   in Loop: Header=BB9_12 Depth=3
	s_mov_b32 s73, exec_lo
	v_cmpx_ge_i32_e64 v13, v37
	s_xor_b32 s73, exec_lo, s73
	s_cbranch_execnz .LBB9_67
; %bb.62:                               ;   in Loop: Header=BB9_12 Depth=3
	s_and_not1_saveexec_b32 s73, s73
	s_cbranch_execnz .LBB9_76
.LBB9_63:                               ;   in Loop: Header=BB9_12 Depth=3
	s_or_b32 exec_lo, exec_lo, s73
	s_delay_alu instid0(SALU_CYCLE_1)
	s_mov_b32 s73, exec_lo
	v_cmpx_eq_u32_e64 v5, v11
	s_cbranch_execz .LBB9_65
.LBB9_64:                               ;   in Loop: Header=BB9_12 Depth=3
	v_add_co_u32 v9, vcc_lo, s48, v9
	v_add_co_ci_u32_e32 v10, vcc_lo, s49, v10, vcc_lo
	global_load_b32 v3, v[9:10], off
	s_waitcnt vmcnt(0)
	v_add_f32_e32 v7, v7, v3
.LBB9_65:                               ;   in Loop: Header=BB9_12 Depth=3
	s_or_b32 exec_lo, exec_lo, s73
	s_delay_alu instid0(VALU_DEP_1) | instskip(NEXT) | instid1(VALU_DEP_1)
	v_sub_f32_e32 v3, v16, v7
	v_cmp_class_f32_e64 s74, v3, 0x1f8
	s_delay_alu instid0(VALU_DEP_1)
	s_and_saveexec_b32 s73, s74
	s_cbranch_execz .LBB9_10
; %bb.66:                               ;   in Loop: Header=BB9_12 Depth=3
	v_cmp_lt_f32_e64 s74, v1, |v3|
	s_delay_alu instid0(VALU_DEP_1)
	v_cndmask_b32_e64 v1, v1, |v3|, s74
	s_branch .LBB9_10
.LBB9_67:                               ;   in Loop: Header=BB9_12 Depth=3
	s_mov_b32 s74, exec_lo
	v_cmpx_lt_i32_e64 v3, v32
	s_cbranch_execz .LBB9_75
; %bb.68:                               ;   in Loop: Header=BB9_12 Depth=3
	s_mov_b32 s75, 0
                                        ; implicit-def: $sgpr76
                                        ; implicit-def: $sgpr78
                                        ; implicit-def: $sgpr77
	s_set_inst_prefetch_distance 0x1
	s_branch .LBB9_70
	.p2align	6
.LBB9_69:                               ;   in Loop: Header=BB9_70 Depth=4
	s_or_b32 exec_lo, exec_lo, s79
	s_delay_alu instid0(SALU_CYCLE_1) | instskip(NEXT) | instid1(SALU_CYCLE_1)
	s_and_b32 s79, exec_lo, s78
	s_or_b32 s75, s79, s75
	s_and_not1_b32 s76, s76, exec_lo
	s_and_b32 s79, s77, exec_lo
	s_delay_alu instid0(SALU_CYCLE_1)
	s_or_b32 s76, s76, s79
	s_and_not1_b32 exec_lo, exec_lo, s75
	s_cbranch_execz .LBB9_72
.LBB9_70:                               ;   Parent Loop BB9_3 Depth=1
                                        ;     Parent Loop BB9_7 Depth=2
                                        ;       Parent Loop BB9_12 Depth=3
                                        ; =>      This Inner Loop Header: Depth=4
	v_add_nc_u32_e32 v12, v8, v3
	s_or_b32 s77, s77, exec_lo
	s_or_b32 s78, s78, exec_lo
	s_mov_b32 s79, exec_lo
	s_delay_alu instid0(VALU_DEP_1) | instskip(NEXT) | instid1(VALU_DEP_1)
	v_ashrrev_i32_e32 v13, 31, v12
	v_lshlrev_b64 v[12:13], 2, v[12:13]
	s_delay_alu instid0(VALU_DEP_1) | instskip(NEXT) | instid1(VALU_DEP_2)
	v_add_co_u32 v14, vcc_lo, s28, v12
	v_add_co_ci_u32_e32 v15, vcc_lo, s29, v13, vcc_lo
	global_load_b32 v14, v[14:15], off
	s_waitcnt vmcnt(0)
	v_subrev_nc_u32_e32 v14, s63, v14
	s_delay_alu instid0(VALU_DEP_1)
	v_cmpx_ne_u32_e64 v14, v11
	s_cbranch_execz .LBB9_69
; %bb.71:                               ;   in Loop: Header=BB9_70 Depth=4
	v_add_nc_u32_e32 v3, 1, v3
	s_and_not1_b32 s78, s78, exec_lo
	s_and_not1_b32 s77, s77, exec_lo
	s_delay_alu instid0(VALU_DEP_1) | instskip(SKIP_1) | instid1(SALU_CYCLE_1)
	v_cmp_ge_i32_e32 vcc_lo, v3, v32
	s_and_b32 s80, vcc_lo, exec_lo
	s_or_b32 s78, s78, s80
	s_branch .LBB9_69
.LBB9_72:                               ;   in Loop: Header=BB9_12 Depth=3
	s_set_inst_prefetch_distance 0x2
	s_or_b32 exec_lo, exec_lo, s75
	s_and_saveexec_b32 s75, s76
	s_delay_alu instid0(SALU_CYCLE_1)
	s_xor_b32 s75, exec_lo, s75
	s_cbranch_execz .LBB9_74
; %bb.73:                               ;   in Loop: Header=BB9_12 Depth=3
	v_add_co_u32 v12, vcc_lo, s30, v12
	v_add_co_ci_u32_e32 v13, vcc_lo, s31, v13, vcc_lo
	v_add_co_u32 v14, vcc_lo, s48, v9
	v_add_co_ci_u32_e32 v15, vcc_lo, s49, v10, vcc_lo
	global_load_b32 v3, v[12:13], off
	global_load_b32 v12, v[14:15], off
	s_waitcnt vmcnt(0)
	v_fmac_f32_e32 v7, v3, v12
.LBB9_74:                               ;   in Loop: Header=BB9_12 Depth=3
	s_or_b32 exec_lo, exec_lo, s75
.LBB9_75:                               ;   in Loop: Header=BB9_12 Depth=3
	s_delay_alu instid0(SALU_CYCLE_1)
	s_or_b32 exec_lo, exec_lo, s74
                                        ; implicit-def: $vgpr13
                                        ; implicit-def: $vgpr12
                                        ; implicit-def: $vgpr37
	s_and_not1_saveexec_b32 s73, s73
	s_cbranch_execz .LBB9_63
.LBB9_76:                               ;   in Loop: Header=BB9_12 Depth=3
	s_mov_b32 s74, 0
                                        ; implicit-def: $sgpr75
                                        ; implicit-def: $sgpr77
                                        ; implicit-def: $sgpr76
	s_set_inst_prefetch_distance 0x1
	s_branch .LBB9_78
	.p2align	6
.LBB9_77:                               ;   in Loop: Header=BB9_78 Depth=4
	s_or_b32 exec_lo, exec_lo, s78
	s_delay_alu instid0(SALU_CYCLE_1) | instskip(NEXT) | instid1(SALU_CYCLE_1)
	s_and_b32 s78, exec_lo, s77
	s_or_b32 s74, s78, s74
	s_and_not1_b32 s75, s75, exec_lo
	s_and_b32 s78, s76, exec_lo
	s_delay_alu instid0(SALU_CYCLE_1)
	s_or_b32 s75, s75, s78
	s_and_not1_b32 exec_lo, exec_lo, s74
	s_cbranch_execz .LBB9_80
.LBB9_78:                               ;   Parent Loop BB9_3 Depth=1
                                        ;     Parent Loop BB9_7 Depth=2
                                        ;       Parent Loop BB9_12 Depth=3
                                        ; =>      This Inner Loop Header: Depth=4
	v_add_nc_u32_e32 v14, v12, v13
	s_or_b32 s76, s76, exec_lo
	s_or_b32 s77, s77, exec_lo
	s_mov_b32 s78, exec_lo
	s_delay_alu instid0(VALU_DEP_1) | instskip(NEXT) | instid1(VALU_DEP_1)
	v_ashrrev_i32_e32 v15, 31, v14
	v_lshlrev_b64 v[14:15], 2, v[14:15]
	s_delay_alu instid0(VALU_DEP_1) | instskip(NEXT) | instid1(VALU_DEP_2)
	v_add_co_u32 v17, vcc_lo, s20, v14
	v_add_co_ci_u32_e32 v18, vcc_lo, s21, v15, vcc_lo
	global_load_b32 v3, v[17:18], off
	s_waitcnt vmcnt(0)
	v_subrev_nc_u32_e32 v3, s64, v3
	s_delay_alu instid0(VALU_DEP_1)
	v_cmpx_ne_u32_e64 v3, v5
	s_cbranch_execz .LBB9_77
; %bb.79:                               ;   in Loop: Header=BB9_78 Depth=4
	v_add_nc_u32_e32 v13, 1, v13
	s_and_not1_b32 s77, s77, exec_lo
	s_and_not1_b32 s76, s76, exec_lo
	s_delay_alu instid0(VALU_DEP_1) | instskip(SKIP_1) | instid1(SALU_CYCLE_1)
	v_cmp_ge_i32_e32 vcc_lo, v13, v37
	s_and_b32 s79, vcc_lo, exec_lo
	s_or_b32 s77, s77, s79
	s_branch .LBB9_77
.LBB9_80:                               ;   in Loop: Header=BB9_12 Depth=3
	s_set_inst_prefetch_distance 0x2
	s_or_b32 exec_lo, exec_lo, s74
	s_and_saveexec_b32 s74, s75
	s_delay_alu instid0(SALU_CYCLE_1)
	s_xor_b32 s74, exec_lo, s74
	s_cbranch_execz .LBB9_82
; %bb.81:                               ;   in Loop: Header=BB9_12 Depth=3
	v_add_co_u32 v12, vcc_lo, s22, v14
	v_add_co_ci_u32_e32 v13, vcc_lo, s23, v15, vcc_lo
	global_load_b32 v3, v[12:13], off
	s_waitcnt vmcnt(0)
	v_add_f32_e32 v7, v7, v3
.LBB9_82:                               ;   in Loop: Header=BB9_12 Depth=3
	s_or_b32 exec_lo, exec_lo, s74
	s_delay_alu instid0(SALU_CYCLE_1) | instskip(NEXT) | instid1(SALU_CYCLE_1)
	s_or_b32 exec_lo, exec_lo, s73
	s_mov_b32 s73, exec_lo
	v_cmpx_eq_u32_e64 v5, v11
	s_cbranch_execnz .LBB9_64
	s_branch .LBB9_65
.LBB9_83:                               ;   in Loop: Header=BB9_3 Depth=1
	v_xor_b32_e32 v5, 2, v23
	v_xor_b32_e32 v3, 1, v23
	s_and_b32 vcc_lo, exec_lo, s60
	s_cbranch_vccnz .LBB9_86
; %bb.84:                               ;   in Loop: Header=BB9_3 Depth=1
	s_and_not1_b32 vcc_lo, exec_lo, s33
	s_cbranch_vccz .LBB9_105
.LBB9_85:                               ;   in Loop: Header=BB9_3 Depth=1
	s_and_saveexec_b32 s14, s9
	s_cbranch_execnz .LBB9_124
	s_branch .LBB9_135
.LBB9_86:                               ;   in Loop: Header=BB9_3 Depth=1
	s_delay_alu instid0(VALU_DEP_2) | instskip(SKIP_2) | instid1(VALU_DEP_2)
	v_cmp_gt_i32_e32 vcc_lo, 32, v5
	v_cndmask_b32_e32 v6, v23, v5, vcc_lo
	v_cmp_gt_i32_e32 vcc_lo, 32, v3
	v_dual_cndmask_b32 v7, v23, v3 :: v_dual_lshlrev_b32 v6, 2, v6
	ds_bpermute_b32 v6, v6, v2
	s_waitcnt lgkmcnt(0)
	v_cmp_lt_f32_e32 vcc_lo, v2, v6
	v_cndmask_b32_e32 v2, v2, v6, vcc_lo
	v_lshlrev_b32_e32 v6, 2, v7
	ds_bpermute_b32 v6, v6, v2
	s_and_saveexec_b32 s13, s2
	s_cbranch_execz .LBB9_88
; %bb.87:                               ;   in Loop: Header=BB9_3 Depth=1
	s_waitcnt lgkmcnt(0)
	v_cmp_lt_f32_e32 vcc_lo, v2, v6
	v_cndmask_b32_e32 v2, v2, v6, vcc_lo
	ds_store_b32 v26, v2
.LBB9_88:                               ;   in Loop: Header=BB9_3 Depth=1
	s_or_b32 exec_lo, exec_lo, s13
	s_waitcnt lgkmcnt(0)
	s_waitcnt_vscnt null, 0x0
	s_barrier
	buffer_gl0_inv
	s_and_saveexec_b32 s13, s3
	s_cbranch_execz .LBB9_90
; %bb.89:                               ;   in Loop: Header=BB9_3 Depth=1
	ds_load_2addr_stride64_b32 v[6:7], v21 offset1:2
	s_waitcnt lgkmcnt(0)
	v_cmp_lt_f32_e32 vcc_lo, v6, v7
	v_cndmask_b32_e32 v2, v6, v7, vcc_lo
	ds_store_b32 v21, v2
.LBB9_90:                               ;   in Loop: Header=BB9_3 Depth=1
	s_or_b32 exec_lo, exec_lo, s13
	s_waitcnt lgkmcnt(0)
	s_barrier
	buffer_gl0_inv
	s_and_saveexec_b32 s13, s4
	s_cbranch_execz .LBB9_92
; %bb.91:                               ;   in Loop: Header=BB9_3 Depth=1
	ds_load_2addr_stride64_b32 v[6:7], v21 offset1:1
	s_waitcnt lgkmcnt(0)
	v_cmp_lt_f32_e32 vcc_lo, v6, v7
	v_cndmask_b32_e32 v2, v6, v7, vcc_lo
	ds_store_b32 v21, v2
.LBB9_92:                               ;   in Loop: Header=BB9_3 Depth=1
	s_or_b32 exec_lo, exec_lo, s13
	s_waitcnt lgkmcnt(0)
	s_barrier
	buffer_gl0_inv
	s_and_saveexec_b32 s13, s5
	s_cbranch_execz .LBB9_94
; %bb.93:                               ;   in Loop: Header=BB9_3 Depth=1
	ds_load_2addr_b32 v[6:7], v21 offset1:32
	s_waitcnt lgkmcnt(0)
	v_cmp_lt_f32_e32 vcc_lo, v6, v7
	v_cndmask_b32_e32 v2, v6, v7, vcc_lo
	ds_store_b32 v21, v2
.LBB9_94:                               ;   in Loop: Header=BB9_3 Depth=1
	s_or_b32 exec_lo, exec_lo, s13
	s_waitcnt lgkmcnt(0)
	s_barrier
	buffer_gl0_inv
	s_and_saveexec_b32 s13, s6
	s_cbranch_execz .LBB9_96
; %bb.95:                               ;   in Loop: Header=BB9_3 Depth=1
	ds_load_2addr_b32 v[6:7], v21 offset1:16
	s_waitcnt lgkmcnt(0)
	v_cmp_lt_f32_e32 vcc_lo, v6, v7
	v_cndmask_b32_e32 v2, v6, v7, vcc_lo
	ds_store_b32 v21, v2
.LBB9_96:                               ;   in Loop: Header=BB9_3 Depth=1
	;; [unrolled: 13-line block ×3, first 2 shown]
	s_or_b32 exec_lo, exec_lo, s13
	s_waitcnt lgkmcnt(0)
	s_barrier
	buffer_gl0_inv
	s_and_saveexec_b32 s13, s8
	s_cbranch_execz .LBB9_100
; %bb.99:                               ;   in Loop: Header=BB9_3 Depth=1
	ds_load_2addr_b32 v[6:7], v21 offset1:4
	s_waitcnt lgkmcnt(0)
	v_cmp_lt_f32_e32 vcc_lo, v6, v7
	v_cndmask_b32_e32 v2, v6, v7, vcc_lo
	ds_store_b32 v21, v2
.LBB9_100:                              ;   in Loop: Header=BB9_3 Depth=1
	s_or_b32 exec_lo, exec_lo, s13
	s_waitcnt lgkmcnt(0)
	s_barrier
	buffer_gl0_inv
	s_and_saveexec_b32 s13, s10
	s_cbranch_execz .LBB9_102
; %bb.101:                              ;   in Loop: Header=BB9_3 Depth=1
	ds_load_2addr_b32 v[6:7], v21 offset1:2
	s_waitcnt lgkmcnt(0)
	v_cmp_lt_f32_e32 vcc_lo, v6, v7
	v_cndmask_b32_e32 v2, v6, v7, vcc_lo
	ds_store_b32 v21, v2
.LBB9_102:                              ;   in Loop: Header=BB9_3 Depth=1
	s_or_b32 exec_lo, exec_lo, s13
	s_waitcnt lgkmcnt(0)
	s_barrier
	buffer_gl0_inv
	s_and_saveexec_b32 s13, s11
	s_cbranch_execz .LBB9_104
; %bb.103:                              ;   in Loop: Header=BB9_3 Depth=1
	ds_load_b64 v[6:7], v30
	s_waitcnt lgkmcnt(0)
	v_cmp_lt_f32_e32 vcc_lo, v6, v7
	v_cndmask_b32_e32 v2, v6, v7, vcc_lo
	ds_store_b32 v30, v2
.LBB9_104:                              ;   in Loop: Header=BB9_3 Depth=1
	s_or_b32 exec_lo, exec_lo, s13
	s_waitcnt lgkmcnt(0)
	s_barrier
	buffer_gl0_inv
	ds_load_b32 v2, v30
	s_load_b32 s13, s[58:59], 0x0
	s_waitcnt lgkmcnt(0)
	v_div_scale_f32 v6, null, s13, s13, v2
	s_delay_alu instid0(VALU_DEP_1) | instskip(SKIP_2) | instid1(VALU_DEP_1)
	v_rcp_f32_e32 v7, v6
	s_waitcnt_depctr 0xfff
	v_fma_f32 v8, -v6, v7, 1.0
	v_fmac_f32_e32 v7, v8, v7
	v_div_scale_f32 v8, vcc_lo, v2, s13, v2
	s_delay_alu instid0(VALU_DEP_1) | instskip(NEXT) | instid1(VALU_DEP_1)
	v_mul_f32_e32 v9, v8, v7
	v_fma_f32 v10, -v6, v9, v8
	s_delay_alu instid0(VALU_DEP_1) | instskip(NEXT) | instid1(VALU_DEP_1)
	v_fmac_f32_e32 v9, v10, v7
	v_fma_f32 v6, -v6, v9, v8
	s_delay_alu instid0(VALU_DEP_1) | instskip(NEXT) | instid1(VALU_DEP_1)
	v_div_fmas_f32 v6, v6, v7, v9
	v_div_fixup_f32 v2, v6, s13, v2
	s_and_not1_b32 vcc_lo, exec_lo, s33
	s_cbranch_vccnz .LBB9_85
.LBB9_105:                              ;   in Loop: Header=BB9_3 Depth=1
	v_cmp_gt_i32_e32 vcc_lo, 32, v5
	v_cndmask_b32_e32 v5, v23, v5, vcc_lo
	v_cmp_gt_i32_e32 vcc_lo, 32, v3
	s_delay_alu instid0(VALU_DEP_2)
	v_lshlrev_b32_e32 v5, 2, v5
	v_cndmask_b32_e32 v3, v23, v3, vcc_lo
	ds_bpermute_b32 v5, v5, v1
	v_lshlrev_b32_e32 v3, 2, v3
	s_waitcnt lgkmcnt(0)
	v_cmp_lt_f32_e32 vcc_lo, v1, v5
	v_cndmask_b32_e32 v1, v1, v5, vcc_lo
	ds_bpermute_b32 v3, v3, v1
	s_and_saveexec_b32 s13, s2
	s_cbranch_execz .LBB9_107
; %bb.106:                              ;   in Loop: Header=BB9_3 Depth=1
	s_waitcnt lgkmcnt(0)
	v_cmp_lt_f32_e32 vcc_lo, v1, v3
	v_cndmask_b32_e32 v1, v1, v3, vcc_lo
	ds_store_b32 v26, v1
.LBB9_107:                              ;   in Loop: Header=BB9_3 Depth=1
	s_or_b32 exec_lo, exec_lo, s13
	s_waitcnt lgkmcnt(0)
	s_waitcnt_vscnt null, 0x0
	s_barrier
	buffer_gl0_inv
	s_and_saveexec_b32 s13, s3
	s_cbranch_execz .LBB9_109
; %bb.108:                              ;   in Loop: Header=BB9_3 Depth=1
	ds_load_2addr_stride64_b32 v[5:6], v21 offset1:2
	s_waitcnt lgkmcnt(0)
	v_cmp_lt_f32_e32 vcc_lo, v5, v6
	v_cndmask_b32_e32 v1, v5, v6, vcc_lo
	ds_store_b32 v21, v1
.LBB9_109:                              ;   in Loop: Header=BB9_3 Depth=1
	s_or_b32 exec_lo, exec_lo, s13
	s_waitcnt lgkmcnt(0)
	s_barrier
	buffer_gl0_inv
	s_and_saveexec_b32 s13, s4
	s_cbranch_execz .LBB9_111
; %bb.110:                              ;   in Loop: Header=BB9_3 Depth=1
	ds_load_2addr_stride64_b32 v[5:6], v21 offset1:1
	s_waitcnt lgkmcnt(0)
	v_cmp_lt_f32_e32 vcc_lo, v5, v6
	v_cndmask_b32_e32 v1, v5, v6, vcc_lo
	ds_store_b32 v21, v1
.LBB9_111:                              ;   in Loop: Header=BB9_3 Depth=1
	s_or_b32 exec_lo, exec_lo, s13
	s_waitcnt lgkmcnt(0)
	s_barrier
	buffer_gl0_inv
	s_and_saveexec_b32 s13, s5
	s_cbranch_execz .LBB9_113
; %bb.112:                              ;   in Loop: Header=BB9_3 Depth=1
	ds_load_2addr_b32 v[5:6], v21 offset1:32
	s_waitcnt lgkmcnt(0)
	v_cmp_lt_f32_e32 vcc_lo, v5, v6
	v_cndmask_b32_e32 v1, v5, v6, vcc_lo
	ds_store_b32 v21, v1
.LBB9_113:                              ;   in Loop: Header=BB9_3 Depth=1
	s_or_b32 exec_lo, exec_lo, s13
	s_waitcnt lgkmcnt(0)
	s_barrier
	buffer_gl0_inv
	s_and_saveexec_b32 s13, s6
	s_cbranch_execz .LBB9_115
; %bb.114:                              ;   in Loop: Header=BB9_3 Depth=1
	ds_load_2addr_b32 v[5:6], v21 offset1:16
	s_waitcnt lgkmcnt(0)
	v_cmp_lt_f32_e32 vcc_lo, v5, v6
	v_cndmask_b32_e32 v1, v5, v6, vcc_lo
	ds_store_b32 v21, v1
.LBB9_115:                              ;   in Loop: Header=BB9_3 Depth=1
	;; [unrolled: 13-line block ×5, first 2 shown]
	s_or_b32 exec_lo, exec_lo, s13
	s_waitcnt lgkmcnt(0)
	s_barrier
	buffer_gl0_inv
	s_and_saveexec_b32 s13, s11
	s_cbranch_execz .LBB9_123
; %bb.122:                              ;   in Loop: Header=BB9_3 Depth=1
	ds_load_b64 v[5:6], v30
	s_waitcnt lgkmcnt(0)
	v_cmp_lt_f32_e32 vcc_lo, v5, v6
	v_cndmask_b32_e32 v1, v5, v6, vcc_lo
	ds_store_b32 v30, v1
.LBB9_123:                              ;   in Loop: Header=BB9_3 Depth=1
	s_or_b32 exec_lo, exec_lo, s13
	s_waitcnt lgkmcnt(0)
	s_barrier
	buffer_gl0_inv
	ds_load_b32 v1, v30
	s_load_b32 s13, s[58:59], 0x0
	s_waitcnt lgkmcnt(0)
	v_div_scale_f32 v3, null, s13, s13, v1
	s_delay_alu instid0(VALU_DEP_1) | instskip(SKIP_2) | instid1(VALU_DEP_1)
	v_rcp_f32_e32 v5, v3
	s_waitcnt_depctr 0xfff
	v_fma_f32 v6, -v3, v5, 1.0
	v_fmac_f32_e32 v5, v6, v5
	v_div_scale_f32 v6, vcc_lo, v1, s13, v1
	s_delay_alu instid0(VALU_DEP_1) | instskip(NEXT) | instid1(VALU_DEP_1)
	v_mul_f32_e32 v7, v6, v5
	v_fma_f32 v8, -v3, v7, v6
	s_delay_alu instid0(VALU_DEP_1) | instskip(NEXT) | instid1(VALU_DEP_1)
	v_fmac_f32_e32 v7, v8, v5
	v_fma_f32 v3, -v3, v7, v6
	s_delay_alu instid0(VALU_DEP_1) | instskip(NEXT) | instid1(VALU_DEP_1)
	v_div_fmas_f32 v3, v3, v5, v7
	v_div_fixup_f32 v1, v3, s13, v1
	s_and_saveexec_b32 s14, s9
	s_cbranch_execz .LBB9_135
.LBB9_124:                              ;   in Loop: Header=BB9_3 Depth=1
	v_mov_b32_e32 v5, v25
	s_mov_b32 s69, 0
	s_branch .LBB9_126
.LBB9_125:                              ;   in Loop: Header=BB9_126 Depth=2
	s_or_b32 exec_lo, exec_lo, s70
	v_add_nc_u32_e32 v5, 0x100, v5
	s_delay_alu instid0(VALU_DEP_1) | instskip(SKIP_1) | instid1(SALU_CYCLE_1)
	v_cmp_le_u32_e32 vcc_lo, s65, v5
	s_or_b32 s69, vcc_lo, s69
	s_and_not1_b32 exec_lo, exec_lo, s69
	s_cbranch_execz .LBB9_135
.LBB9_126:                              ;   Parent Loop BB9_3 Depth=1
                                        ; =>  This Loop Header: Depth=2
                                        ;       Child Loop BB9_129 Depth 3
                                        ;       Child Loop BB9_132 Depth 3
	s_mov_b32 s70, exec_lo
	s_delay_alu instid0(VALU_DEP_1)
	v_cmpx_gt_i32_e64 s53, v5
	s_cbranch_execz .LBB9_125
; %bb.127:                              ;   in Loop: Header=BB9_126 Depth=2
	v_ashrrev_i32_e32 v6, 31, v5
	s_mov_b32 s71, exec_lo
	s_delay_alu instid0(VALU_DEP_1) | instskip(NEXT) | instid1(VALU_DEP_1)
	v_lshlrev_b64 v[6:7], 2, v[5:6]
	v_add_co_u32 v8, vcc_lo, s24, v6
	s_delay_alu instid0(VALU_DEP_2)
	v_add_co_ci_u32_e32 v9, vcc_lo, s25, v7, vcc_lo
	v_add_co_u32 v10, vcc_lo, s26, v6
	v_add_co_ci_u32_e32 v11, vcc_lo, s27, v7, vcc_lo
	global_load_b32 v3, v[8:9], off
	global_load_b32 v9, v[10:11], off
	s_waitcnt vmcnt(1)
	v_add_nc_u32_e32 v8, v28, v3
	s_waitcnt vmcnt(0)
	v_subrev_nc_u32_e32 v3, s63, v9
	s_delay_alu instid0(VALU_DEP_1)
	v_cmpx_lt_i32_e64 v8, v3
	s_cbranch_execz .LBB9_130
; %bb.128:                              ;   in Loop: Header=BB9_126 Depth=2
	v_ashrrev_i32_e32 v9, 31, v8
	s_mov_b32 s72, 0
	s_delay_alu instid0(VALU_DEP_1) | instskip(NEXT) | instid1(VALU_DEP_1)
	v_lshlrev_b64 v[11:12], 2, v[8:9]
	v_add_co_u32 v9, vcc_lo, s54, v11
	s_delay_alu instid0(VALU_DEP_2)
	v_add_co_ci_u32_e32 v10, vcc_lo, s55, v12, vcc_lo
	v_add_co_u32 v11, vcc_lo, s30, v11
	v_add_co_ci_u32_e32 v12, vcc_lo, s31, v12, vcc_lo
.LBB9_129:                              ;   Parent Loop BB9_3 Depth=1
                                        ;     Parent Loop BB9_126 Depth=2
                                        ; =>    This Inner Loop Header: Depth=3
	global_load_b32 v13, v[9:10], off
	v_add_nc_u32_e32 v8, 4, v8
	v_add_co_u32 v9, vcc_lo, v9, 16
	v_add_co_ci_u32_e32 v10, vcc_lo, 0, v10, vcc_lo
	s_delay_alu instid0(VALU_DEP_3) | instskip(SKIP_4) | instid1(VALU_DEP_1)
	v_cmp_ge_i32_e32 vcc_lo, v8, v3
	s_or_b32 s72, vcc_lo, s72
	s_waitcnt vmcnt(0)
	global_store_b32 v[11:12], v13, off
	v_add_co_u32 v11, s13, v11, 16
	v_add_co_ci_u32_e64 v12, s13, 0, v12, s13
	s_and_not1_b32 exec_lo, exec_lo, s72
	s_cbranch_execnz .LBB9_129
.LBB9_130:                              ;   in Loop: Header=BB9_126 Depth=2
	s_or_b32 exec_lo, exec_lo, s71
	v_add_co_u32 v8, vcc_lo, s16, v6
	v_add_co_ci_u32_e32 v9, vcc_lo, s17, v7, vcc_lo
	v_add_co_u32 v10, vcc_lo, s18, v6
	v_add_co_ci_u32_e32 v11, vcc_lo, s19, v7, vcc_lo
	s_mov_b32 s71, exec_lo
	global_load_b32 v3, v[8:9], off
	global_load_b32 v9, v[10:11], off
	s_waitcnt vmcnt(1)
	v_add_nc_u32_e32 v8, v29, v3
	s_waitcnt vmcnt(0)
	v_subrev_nc_u32_e32 v3, s64, v9
	s_delay_alu instid0(VALU_DEP_1)
	v_cmpx_lt_i32_e64 v8, v3
	s_cbranch_execz .LBB9_133
; %bb.131:                              ;   in Loop: Header=BB9_126 Depth=2
	v_ashrrev_i32_e32 v9, 31, v8
	s_mov_b32 s72, 0
	s_delay_alu instid0(VALU_DEP_1) | instskip(NEXT) | instid1(VALU_DEP_1)
	v_lshlrev_b64 v[11:12], 2, v[8:9]
	v_add_co_u32 v9, vcc_lo, s56, v11
	s_delay_alu instid0(VALU_DEP_2)
	v_add_co_ci_u32_e32 v10, vcc_lo, s57, v12, vcc_lo
	v_add_co_u32 v11, vcc_lo, s22, v11
	v_add_co_ci_u32_e32 v12, vcc_lo, s23, v12, vcc_lo
.LBB9_132:                              ;   Parent Loop BB9_3 Depth=1
                                        ;     Parent Loop BB9_126 Depth=2
                                        ; =>    This Inner Loop Header: Depth=3
	global_load_b32 v13, v[9:10], off
	v_add_nc_u32_e32 v8, 4, v8
	v_add_co_u32 v9, vcc_lo, v9, 16
	v_add_co_ci_u32_e32 v10, vcc_lo, 0, v10, vcc_lo
	s_delay_alu instid0(VALU_DEP_3) | instskip(SKIP_4) | instid1(VALU_DEP_1)
	v_cmp_ge_i32_e32 vcc_lo, v8, v3
	s_or_b32 s72, vcc_lo, s72
	s_waitcnt vmcnt(0)
	global_store_b32 v[11:12], v13, off
	v_add_co_u32 v11, s13, v11, 16
	v_add_co_ci_u32_e64 v12, s13, 0, v12, s13
	s_and_not1_b32 exec_lo, exec_lo, s72
	s_cbranch_execnz .LBB9_132
.LBB9_133:                              ;   in Loop: Header=BB9_126 Depth=2
	s_or_b32 exec_lo, exec_lo, s71
	s_delay_alu instid0(SALU_CYCLE_1)
	s_and_b32 exec_lo, exec_lo, s12
	s_cbranch_execz .LBB9_125
; %bb.134:                              ;   in Loop: Header=BB9_126 Depth=2
	v_add_co_u32 v8, vcc_lo, s50, v6
	v_add_co_ci_u32_e32 v9, vcc_lo, s51, v7, vcc_lo
	v_add_co_u32 v6, vcc_lo, s48, v6
	v_add_co_ci_u32_e32 v7, vcc_lo, s49, v7, vcc_lo
	global_load_b32 v3, v[8:9], off
	s_waitcnt vmcnt(0)
	global_store_b32 v[6:7], v3, off
	s_branch .LBB9_125
.LBB9_135:                              ;   in Loop: Header=BB9_3 Depth=1
	s_or_b32 exec_lo, exec_lo, s14
	s_mov_b32 s14, -1
	s_and_b32 vcc_lo, exec_lo, s61
	s_mov_b32 s13, -1
	s_cbranch_vccz .LBB9_145
; %bb.136:                              ;   in Loop: Header=BB9_3 Depth=1
	s_and_b32 vcc_lo, exec_lo, s67
                                        ; implicit-def: $sgpr69
	s_cbranch_vccz .LBB9_142
; %bb.137:                              ;   in Loop: Header=BB9_3 Depth=1
	s_and_b32 vcc_lo, exec_lo, s66
                                        ; implicit-def: $sgpr69
	s_cbranch_vccz .LBB9_139
; %bb.138:                              ;   in Loop: Header=BB9_3 Depth=1
	v_cmp_ge_f32_e32 vcc_lo, s52, v1
	s_mov_b32 s13, 0
	s_and_b32 s69, vcc_lo, exec_lo
.LBB9_139:                              ;   in Loop: Header=BB9_3 Depth=1
	s_and_not1_b32 vcc_lo, exec_lo, s13
	s_cbranch_vccnz .LBB9_141
; %bb.140:                              ;   in Loop: Header=BB9_3 Depth=1
	v_cmp_ge_f32_e32 vcc_lo, s52, v2
	s_and_not1_b32 s13, s69, exec_lo
	s_and_b32 s69, vcc_lo, exec_lo
	s_delay_alu instid0(SALU_CYCLE_1)
	s_or_b32 s69, s13, s69
.LBB9_141:                              ;   in Loop: Header=BB9_3 Depth=1
	s_mov_b32 s13, 0
.LBB9_142:                              ;   in Loop: Header=BB9_3 Depth=1
	s_delay_alu instid0(SALU_CYCLE_1)
	s_and_not1_b32 vcc_lo, exec_lo, s13
	s_cbranch_vccnz .LBB9_144
; %bb.143:                              ;   in Loop: Header=BB9_3 Depth=1
	v_cmp_ge_f32_e32 vcc_lo, s52, v2
	v_cmp_ge_f32_e64 s13, s52, v1
	s_and_not1_b32 s69, s69, exec_lo
	s_delay_alu instid0(VALU_DEP_1) | instskip(NEXT) | instid1(SALU_CYCLE_1)
	s_and_b32 s13, vcc_lo, s13
	s_and_b32 s13, s13, exec_lo
	s_delay_alu instid0(SALU_CYCLE_1)
	s_or_b32 s69, s69, s13
.LBB9_144:                              ;   in Loop: Header=BB9_3 Depth=1
	s_delay_alu instid0(SALU_CYCLE_1)
	s_xor_b32 s13, s69, -1
.LBB9_145:                              ;   in Loop: Header=BB9_3 Depth=1
	v_mov_b32_e32 v3, s68
	s_and_saveexec_b32 s69, s13
	s_cbranch_execz .LBB9_2
; %bb.146:                              ;   in Loop: Header=BB9_3 Depth=1
	s_add_i32 s68, s68, 1
	v_mov_b32_e32 v3, s35
	s_cmp_eq_u32 s68, s35
	s_cselect_b32 s13, -1, 0
	s_delay_alu instid0(SALU_CYCLE_1)
	s_or_not1_b32 s14, s13, exec_lo
	s_branch .LBB9_2
.LBB9_147:
	s_or_b32 exec_lo, exec_lo, s34
.LBB9_148:
	s_delay_alu instid0(SALU_CYCLE_1) | instskip(NEXT) | instid1(SALU_CYCLE_1)
	s_or_b32 exec_lo, exec_lo, s15
	s_and_not1_b32 vcc_lo, exec_lo, s61
	s_cbranch_vccnz .LBB9_171
; %bb.149:
	v_xor_b32_e32 v4, 2, v23
	v_xor_b32_e32 v5, 1, v23
	s_mov_b32 s2, exec_lo
	s_delay_alu instid0(VALU_DEP_2) | instskip(SKIP_1) | instid1(VALU_DEP_3)
	v_cmp_gt_i32_e32 vcc_lo, 32, v4
	v_cndmask_b32_e32 v4, v23, v4, vcc_lo
	v_cmp_gt_i32_e32 vcc_lo, 32, v5
	s_delay_alu instid0(VALU_DEP_2)
	v_dual_cndmask_b32 v5, v23, v5 :: v_dual_lshlrev_b32 v4, 2, v4
	ds_bpermute_b32 v4, v4, v3
	s_waitcnt lgkmcnt(0)
	v_max_i32_e32 v3, v3, v4
	v_lshlrev_b32_e32 v4, 2, v5
	ds_bpermute_b32 v4, v4, v3
	v_cmpx_eq_u32_e32 3, v24
	s_cbranch_execz .LBB9_151
; %bb.150:
	v_lshlrev_b32_e32 v5, 2, v22
	s_waitcnt lgkmcnt(0)
	v_max_i32_e32 v3, v3, v4
	ds_store_b32 v5, v3 offset:1024
.LBB9_151:
	s_or_b32 exec_lo, exec_lo, s2
	s_delay_alu instid0(SALU_CYCLE_1)
	s_mov_b32 s2, exec_lo
	s_waitcnt lgkmcnt(0)
	s_waitcnt_vscnt null, 0x0
	s_barrier
	buffer_gl0_inv
	v_cmpx_gt_u32_e32 0x80, v0
	s_cbranch_execz .LBB9_153
; %bb.152:
	ds_load_2addr_stride64_b32 v[3:4], v21 offset0:4 offset1:6
	s_waitcnt lgkmcnt(0)
	v_max_i32_e32 v3, v3, v4
	ds_store_b32 v21, v3 offset:1024
.LBB9_153:
	s_or_b32 exec_lo, exec_lo, s2
	s_delay_alu instid0(SALU_CYCLE_1)
	s_mov_b32 s2, exec_lo
	s_waitcnt lgkmcnt(0)
	s_barrier
	buffer_gl0_inv
	v_cmpx_gt_u32_e32 64, v0
	s_cbranch_execz .LBB9_155
; %bb.154:
	ds_load_2addr_stride64_b32 v[3:4], v21 offset0:4 offset1:5
	s_waitcnt lgkmcnt(0)
	v_max_i32_e32 v3, v3, v4
	ds_store_b32 v21, v3 offset:1024
.LBB9_155:
	s_or_b32 exec_lo, exec_lo, s2
	s_delay_alu instid0(SALU_CYCLE_1)
	s_mov_b32 s2, exec_lo
	s_waitcnt lgkmcnt(0)
	s_barrier
	buffer_gl0_inv
	v_cmpx_gt_u32_e32 32, v0
	s_cbranch_execz .LBB9_157
; %bb.156:
	v_add_nc_u32_e32 v3, 0x400, v21
	ds_load_2addr_b32 v[3:4], v3 offset1:32
	s_waitcnt lgkmcnt(0)
	v_max_i32_e32 v3, v3, v4
	ds_store_b32 v21, v3 offset:1024
.LBB9_157:
	s_or_b32 exec_lo, exec_lo, s2
	s_delay_alu instid0(SALU_CYCLE_1)
	s_mov_b32 s2, exec_lo
	s_waitcnt lgkmcnt(0)
	s_barrier
	buffer_gl0_inv
	v_cmpx_gt_u32_e32 16, v0
	s_cbranch_execz .LBB9_159
; %bb.158:
	v_add_nc_u32_e32 v3, 0x400, v21
	ds_load_2addr_b32 v[3:4], v3 offset1:16
	s_waitcnt lgkmcnt(0)
	v_max_i32_e32 v3, v3, v4
	ds_store_b32 v21, v3 offset:1024
.LBB9_159:
	;; [unrolled: 15-line block ×5, first 2 shown]
	s_or_b32 exec_lo, exec_lo, s2
	v_cmp_eq_u32_e32 vcc_lo, 0, v0
	s_waitcnt lgkmcnt(0)
	s_barrier
	buffer_gl0_inv
	s_and_saveexec_b32 s2, vcc_lo
	s_cbranch_execz .LBB9_167
; %bb.166:
	v_mov_b32_e32 v5, 0
	ds_load_b64 v[3:4], v5 offset:1024
	s_waitcnt lgkmcnt(0)
	v_max_i32_e32 v3, v3, v4
	ds_store_b32 v5, v3 offset:1024
.LBB9_167:
	s_or_b32 exec_lo, exec_lo, s2
	s_waitcnt lgkmcnt(0)
	s_barrier
	buffer_gl0_inv
	s_and_saveexec_b32 s2, vcc_lo
	s_cbranch_execz .LBB9_170
; %bb.168:
	v_mbcnt_lo_u32_b32 v3, exec_lo, 0
	s_delay_alu instid0(VALU_DEP_1)
	v_cmp_eq_u32_e32 vcc_lo, 0, v3
	s_and_b32 exec_lo, exec_lo, vcc_lo
	s_cbranch_execz .LBB9_170
; %bb.169:
	v_mov_b32_e32 v3, 0
	s_load_b64 s[0:1], s[0:1], 0x8
	ds_load_b32 v4, v3 offset:1024
	s_waitcnt lgkmcnt(0)
	v_add_nc_u32_e32 v4, 1, v4
	global_atomic_max_i32 v3, v4, s[0:1]
.LBB9_170:
	s_or_b32 exec_lo, exec_lo, s2
.LBB9_171:
	v_cmp_eq_u32_e32 vcc_lo, 0, v0
	s_mov_b32 s2, 0
	s_and_b32 s0, vcc_lo, s60
	s_delay_alu instid0(SALU_CYCLE_1)
	s_and_saveexec_b32 s3, s0
	s_cbranch_execz .LBB9_176
; %bb.172:
	v_mov_b32_e32 v0, 0
	v_cmp_eq_f32_e64 s0, 0, v2
                                        ; implicit-def: $sgpr4
                                        ; implicit-def: $sgpr5
	global_load_b32 v3, v0, s[44:45] glc
	s_waitcnt vmcnt(0)
	v_cmp_eq_u32_e64 s6, 0x80000000, v3
	s_set_inst_prefetch_distance 0x1
	s_branch .LBB9_174
	.p2align	6
.LBB9_173:                              ;   in Loop: Header=BB9_174 Depth=1
	s_or_b32 exec_lo, exec_lo, s7
	s_delay_alu instid0(SALU_CYCLE_1) | instskip(NEXT) | instid1(SALU_CYCLE_1)
	s_and_b32 s1, exec_lo, s4
	s_or_b32 s2, s1, s2
	s_and_not1_b32 s1, s6, exec_lo
	s_and_b32 s6, s5, exec_lo
	s_delay_alu instid0(SALU_CYCLE_1)
	s_or_b32 s6, s1, s6
	s_and_not1_b32 exec_lo, exec_lo, s2
	s_cbranch_execz .LBB9_176
.LBB9_174:                              ; =>This Inner Loop Header: Depth=1
	v_cmp_lt_f32_e64 s1, v3, v2
	s_delay_alu instid0(VALU_DEP_2) | instskip(SKIP_2) | instid1(VALU_DEP_1)
	s_and_b32 s7, s0, s6
	s_and_not1_b32 s5, s5, exec_lo
	s_or_b32 s4, s4, exec_lo
	s_or_b32 s1, s1, s7
	s_delay_alu instid0(SALU_CYCLE_1)
	s_and_saveexec_b32 s7, s1
	s_cbranch_execz .LBB9_173
; %bb.175:                              ;   in Loop: Header=BB9_174 Depth=1
	global_atomic_cmpswap_b32 v4, v0, v[2:3], s[44:45] glc
	s_and_not1_b32 s5, s5, exec_lo
	s_and_not1_b32 s4, s4, exec_lo
	s_waitcnt vmcnt(0)
	v_cmp_eq_u32_e64 s1, v4, v3
	s_delay_alu instid0(VALU_DEP_1) | instskip(SKIP_1) | instid1(SALU_CYCLE_1)
	v_cndmask_b32_e64 v3, v4, v3, s1
	s_and_b32 s1, s1, exec_lo
	s_or_b32 s4, s4, s1
	s_delay_alu instid0(VALU_DEP_1) | instskip(SKIP_1) | instid1(VALU_DEP_2)
	v_cmp_class_f32_e64 s6, v3, 32
	v_mov_b32_e32 v3, v4
	s_and_b32 s6, s6, exec_lo
	s_delay_alu instid0(SALU_CYCLE_1)
	s_or_b32 s5, s5, s6
                                        ; implicit-def: $sgpr6
	s_branch .LBB9_173
.LBB9_176:
	s_set_inst_prefetch_distance 0x2
	s_or_b32 exec_lo, exec_lo, s3
	s_and_b32 s0, vcc_lo, s33
	s_delay_alu instid0(SALU_CYCLE_1)
	s_and_saveexec_b32 s1, s0
	s_cbranch_execz .LBB9_181
; %bb.177:
	v_mov_b32_e32 v0, 0
	v_cmp_eq_f32_e32 vcc_lo, 0, v1
	s_mov_b32 s1, 0
                                        ; implicit-def: $sgpr2
                                        ; implicit-def: $sgpr3
	global_load_b32 v2, v0, s[46:47] glc
	s_waitcnt vmcnt(0)
	v_cmp_eq_u32_e64 s4, 0x80000000, v2
	s_set_inst_prefetch_distance 0x1
	s_branch .LBB9_179
	.p2align	6
.LBB9_178:                              ;   in Loop: Header=BB9_179 Depth=1
	s_or_b32 exec_lo, exec_lo, s5
	s_delay_alu instid0(SALU_CYCLE_1) | instskip(NEXT) | instid1(SALU_CYCLE_1)
	s_and_b32 s0, exec_lo, s2
	s_or_b32 s1, s0, s1
	s_and_not1_b32 s0, s4, exec_lo
	s_and_b32 s4, s3, exec_lo
	s_delay_alu instid0(SALU_CYCLE_1)
	s_or_b32 s4, s0, s4
	s_and_not1_b32 exec_lo, exec_lo, s1
	s_cbranch_execz .LBB9_181
.LBB9_179:                              ; =>This Inner Loop Header: Depth=1
	v_cmp_lt_f32_e64 s0, v2, v1
	s_delay_alu instid0(VALU_DEP_2) | instskip(SKIP_2) | instid1(VALU_DEP_1)
	s_and_b32 s5, vcc_lo, s4
	s_and_not1_b32 s3, s3, exec_lo
	s_or_b32 s2, s2, exec_lo
	s_or_b32 s0, s0, s5
	s_delay_alu instid0(SALU_CYCLE_1)
	s_and_saveexec_b32 s5, s0
	s_cbranch_execz .LBB9_178
; %bb.180:                              ;   in Loop: Header=BB9_179 Depth=1
	global_atomic_cmpswap_b32 v3, v0, v[1:2], s[46:47] glc
	s_and_not1_b32 s3, s3, exec_lo
	s_and_not1_b32 s2, s2, exec_lo
	s_waitcnt vmcnt(0)
	v_cmp_eq_u32_e64 s0, v3, v2
	s_delay_alu instid0(VALU_DEP_1) | instskip(SKIP_1) | instid1(SALU_CYCLE_1)
	v_cndmask_b32_e64 v2, v3, v2, s0
	s_and_b32 s0, s0, exec_lo
	s_or_b32 s2, s2, s0
	s_delay_alu instid0(VALU_DEP_1) | instskip(SKIP_1) | instid1(VALU_DEP_2)
	v_cmp_class_f32_e64 s4, v2, 32
	v_mov_b32_e32 v2, v3
	s_and_b32 s4, s4, exec_lo
	s_delay_alu instid0(SALU_CYCLE_1)
	s_or_b32 s3, s3, s4
                                        ; implicit-def: $sgpr4
	s_branch .LBB9_178
.LBB9_181:
	s_set_inst_prefetch_distance 0x2
	s_nop 0
	s_sendmsg sendmsg(MSG_DEALLOC_VGPRS)
	s_endpgm
	.section	.rodata,"a",@progbits
	.p2align	6, 0x0
	.amdhsa_kernel _ZN9rocsparseL6kernelILi1024ELi4EfiiEEvbbbT3_PS1_NS_15floating_traitsIT1_E6data_tES1_T2_PKS7_S9_PKS1_PKS4_21rocsparse_index_base_S9_S9_SB_PS4_SF_SE_S9_S9_SB_SF_SF_SE_SF_SF_PS6_SG_PKS6_
		.amdhsa_group_segment_fixed_size 2048
		.amdhsa_private_segment_fixed_size 0
		.amdhsa_kernarg_size 208
		.amdhsa_user_sgpr_count 15
		.amdhsa_user_sgpr_dispatch_ptr 0
		.amdhsa_user_sgpr_queue_ptr 0
		.amdhsa_user_sgpr_kernarg_segment_ptr 1
		.amdhsa_user_sgpr_dispatch_id 0
		.amdhsa_user_sgpr_private_segment_size 0
		.amdhsa_wavefront_size32 1
		.amdhsa_uses_dynamic_stack 0
		.amdhsa_enable_private_segment 0
		.amdhsa_system_sgpr_workgroup_id_x 1
		.amdhsa_system_sgpr_workgroup_id_y 0
		.amdhsa_system_sgpr_workgroup_id_z 0
		.amdhsa_system_sgpr_workgroup_info 0
		.amdhsa_system_vgpr_workitem_id 0
		.amdhsa_next_free_vgpr 46
		.amdhsa_next_free_sgpr 83
		.amdhsa_reserve_vcc 1
		.amdhsa_float_round_mode_32 0
		.amdhsa_float_round_mode_16_64 0
		.amdhsa_float_denorm_mode_32 3
		.amdhsa_float_denorm_mode_16_64 3
		.amdhsa_dx10_clamp 1
		.amdhsa_ieee_mode 1
		.amdhsa_fp16_overflow 0
		.amdhsa_workgroup_processor_mode 1
		.amdhsa_memory_ordered 1
		.amdhsa_forward_progress 0
		.amdhsa_shared_vgpr_count 0
		.amdhsa_exception_fp_ieee_invalid_op 0
		.amdhsa_exception_fp_denorm_src 0
		.amdhsa_exception_fp_ieee_div_zero 0
		.amdhsa_exception_fp_ieee_overflow 0
		.amdhsa_exception_fp_ieee_underflow 0
		.amdhsa_exception_fp_ieee_inexact 0
		.amdhsa_exception_int_div_zero 0
	.end_amdhsa_kernel
	.section	.text._ZN9rocsparseL6kernelILi1024ELi4EfiiEEvbbbT3_PS1_NS_15floating_traitsIT1_E6data_tES1_T2_PKS7_S9_PKS1_PKS4_21rocsparse_index_base_S9_S9_SB_PS4_SF_SE_S9_S9_SB_SF_SF_SE_SF_SF_PS6_SG_PKS6_,"axG",@progbits,_ZN9rocsparseL6kernelILi1024ELi4EfiiEEvbbbT3_PS1_NS_15floating_traitsIT1_E6data_tES1_T2_PKS7_S9_PKS1_PKS4_21rocsparse_index_base_S9_S9_SB_PS4_SF_SE_S9_S9_SB_SF_SF_SE_SF_SF_PS6_SG_PKS6_,comdat
.Lfunc_end9:
	.size	_ZN9rocsparseL6kernelILi1024ELi4EfiiEEvbbbT3_PS1_NS_15floating_traitsIT1_E6data_tES1_T2_PKS7_S9_PKS1_PKS4_21rocsparse_index_base_S9_S9_SB_PS4_SF_SE_S9_S9_SB_SF_SF_SE_SF_SF_PS6_SG_PKS6_, .Lfunc_end9-_ZN9rocsparseL6kernelILi1024ELi4EfiiEEvbbbT3_PS1_NS_15floating_traitsIT1_E6data_tES1_T2_PKS7_S9_PKS1_PKS4_21rocsparse_index_base_S9_S9_SB_PS4_SF_SE_S9_S9_SB_SF_SF_SE_SF_SF_PS6_SG_PKS6_
                                        ; -- End function
	.section	.AMDGPU.csdata,"",@progbits
; Kernel info:
; codeLenInByte = 6324
; NumSgprs: 85
; NumVgprs: 46
; ScratchSize: 0
; MemoryBound: 0
; FloatMode: 240
; IeeeMode: 1
; LDSByteSize: 2048 bytes/workgroup (compile time only)
; SGPRBlocks: 10
; VGPRBlocks: 5
; NumSGPRsForWavesPerEU: 85
; NumVGPRsForWavesPerEU: 46
; Occupancy: 16
; WaveLimiterHint : 1
; COMPUTE_PGM_RSRC2:SCRATCH_EN: 0
; COMPUTE_PGM_RSRC2:USER_SGPR: 15
; COMPUTE_PGM_RSRC2:TRAP_HANDLER: 0
; COMPUTE_PGM_RSRC2:TGID_X_EN: 1
; COMPUTE_PGM_RSRC2:TGID_Y_EN: 0
; COMPUTE_PGM_RSRC2:TGID_Z_EN: 0
; COMPUTE_PGM_RSRC2:TIDIG_COMP_CNT: 0
	.section	.text._ZN9rocsparseL6kernelILi1024ELi8EfiiEEvbbbT3_PS1_NS_15floating_traitsIT1_E6data_tES1_T2_PKS7_S9_PKS1_PKS4_21rocsparse_index_base_S9_S9_SB_PS4_SF_SE_S9_S9_SB_SF_SF_SE_SF_SF_PS6_SG_PKS6_,"axG",@progbits,_ZN9rocsparseL6kernelILi1024ELi8EfiiEEvbbbT3_PS1_NS_15floating_traitsIT1_E6data_tES1_T2_PKS7_S9_PKS1_PKS4_21rocsparse_index_base_S9_S9_SB_PS4_SF_SE_S9_S9_SB_SF_SF_SE_SF_SF_PS6_SG_PKS6_,comdat
	.globl	_ZN9rocsparseL6kernelILi1024ELi8EfiiEEvbbbT3_PS1_NS_15floating_traitsIT1_E6data_tES1_T2_PKS7_S9_PKS1_PKS4_21rocsparse_index_base_S9_S9_SB_PS4_SF_SE_S9_S9_SB_SF_SF_SE_SF_SF_PS6_SG_PKS6_ ; -- Begin function _ZN9rocsparseL6kernelILi1024ELi8EfiiEEvbbbT3_PS1_NS_15floating_traitsIT1_E6data_tES1_T2_PKS7_S9_PKS1_PKS4_21rocsparse_index_base_S9_S9_SB_PS4_SF_SE_S9_S9_SB_SF_SF_SE_SF_SF_PS6_SG_PKS6_
	.p2align	8
	.type	_ZN9rocsparseL6kernelILi1024ELi8EfiiEEvbbbT3_PS1_NS_15floating_traitsIT1_E6data_tES1_T2_PKS7_S9_PKS1_PKS4_21rocsparse_index_base_S9_S9_SB_PS4_SF_SE_S9_S9_SB_SF_SF_SE_SF_SF_PS6_SG_PKS6_,@function
_ZN9rocsparseL6kernelILi1024ELi8EfiiEEvbbbT3_PS1_NS_15floating_traitsIT1_E6data_tES1_T2_PKS7_S9_PKS1_PKS4_21rocsparse_index_base_S9_S9_SB_PS4_SF_SE_S9_S9_SB_SF_SF_SE_SF_SF_PS6_SG_PKS6_: ; @_ZN9rocsparseL6kernelILi1024ELi8EfiiEEvbbbT3_PS1_NS_15floating_traitsIT1_E6data_tES1_T2_PKS7_S9_PKS1_PKS4_21rocsparse_index_base_S9_S9_SB_PS4_SF_SE_S9_S9_SB_SF_SF_SE_SF_SF_PS6_SG_PKS6_
; %bb.0:
	s_clause 0x3
	s_load_b32 s2, s[0:1], 0x0
	s_load_b64 s[34:35], s[0:1], 0x0
	s_load_b64 s[52:53], s[0:1], 0x10
	s_load_b128 s[44:47], s[0:1], 0xb8
	v_lshrrev_b32_e32 v22, 3, v0
	v_dual_mov_b32 v1, 0 :: v_dual_mov_b32 v2, 0
	v_mbcnt_lo_u32_b32 v23, -1, 0
	v_lshlrev_b32_e32 v21, 2, v0
	v_dual_mov_b32 v3, 0 :: v_dual_and_b32 v24, 7, v0
	s_mov_b32 s60, 0
	ds_store_b32 v21, v1
	s_waitcnt lgkmcnt(0)
	s_barrier
	buffer_gl0_inv
	s_bitcmp1_b32 s2, 0
	s_cselect_b32 s59, -1, 0
	s_bitcmp1_b32 s2, 8
	s_cselect_b32 s58, -1, 0
	s_bitcmp1_b32 s34, 16
	s_cselect_b32 s33, -1, 0
	s_lshl_b32 s64, s15, 10
	s_cmp_gt_i32 s35, 0
	v_or_b32_e32 v25, s64, v22
	s_cselect_b32 s2, -1, 0
	s_delay_alu instid0(VALU_DEP_1) | instskip(SKIP_1) | instid1(SALU_CYCLE_1)
	v_cmp_gt_i32_e32 vcc_lo, s53, v25
	s_and_b32 s2, s2, vcc_lo
	s_and_saveexec_b32 s34, s2
	s_cbranch_execz .LBB10_144
; %bb.1:
	s_clause 0x9
	s_load_b32 s61, s[0:1], 0x40
	s_load_b32 s62, s[0:1], 0x70
	s_load_b64 s[14:15], s[0:1], 0x98
	s_load_b32 s63, s[0:1], 0xa0
	s_load_b64 s[54:55], s[0:1], 0x68
	s_load_b64 s[56:57], s[0:1], 0xc8
	s_load_b128 s[48:51], s[0:1], 0xa8
	s_load_b256 s[16:23], s[0:1], 0x78
	s_load_b256 s[24:31], s[0:1], 0x48
	;; [unrolled: 1-line block ×3, first 2 shown]
	s_addk_i32 s64, 0x400
	v_cmp_eq_u32_e64 s2, 7, v24
	v_dual_mov_b32 v1, 0 :: v_dual_lshlrev_b32 v26, 2, v22
	v_cmp_gt_u32_e64 s3, 64, v0
	v_cmp_gt_u32_e64 s4, 32, v0
	;; [unrolled: 1-line block ×7, first 2 shown]
	s_waitcnt lgkmcnt(0)
	v_subrev_nc_u32_e32 v27, s61, v24
	v_cmp_eq_u32_e64 s10, 0, v0
	v_subrev_nc_u32_e32 v28, s62, v24
	v_subrev_nc_u32_e32 v29, s63, v24
	v_cmp_eq_u32_e64 s11, 0, v24
	v_mov_b32_e32 v4, 0
	v_mov_b32_e32 v30, 0
	v_mov_b32_e32 v2, 0
	s_and_b32 s12, s58, s33
	s_xor_b32 s65, s58, -1
	s_xor_b32 s66, s12, -1
	s_mov_b32 s67, 0
	s_branch .LBB10_3
.LBB10_2:                               ;   in Loop: Header=BB10_3 Depth=1
	s_or_b32 exec_lo, exec_lo, s68
	s_delay_alu instid0(SALU_CYCLE_1) | instskip(NEXT) | instid1(SALU_CYCLE_1)
	s_and_b32 s12, exec_lo, s13
	s_or_b32 s60, s12, s60
	s_delay_alu instid0(SALU_CYCLE_1)
	s_and_not1_b32 exec_lo, exec_lo, s60
	s_cbranch_execz .LBB10_143
.LBB10_3:                               ; =>This Loop Header: Depth=1
                                        ;     Child Loop BB10_7 Depth 2
                                        ;       Child Loop BB10_12 Depth 3
                                        ;         Child Loop BB10_16 Depth 4
                                        ;         Child Loop BB10_37 Depth 4
	;; [unrolled: 1-line block ×5, first 2 shown]
                                        ;     Child Loop BB10_122 Depth 2
                                        ;       Child Loop BB10_125 Depth 3
                                        ;       Child Loop BB10_128 Depth 3
	v_cndmask_b32_e64 v2, v2, 0, s58
	v_cndmask_b32_e64 v1, v1, 0, s33
	s_mov_b32 s68, 0
	s_branch .LBB10_7
.LBB10_4:                               ;   in Loop: Header=BB10_7 Depth=2
	s_or_b32 exec_lo, exec_lo, s71
.LBB10_5:                               ;   in Loop: Header=BB10_7 Depth=2
	s_delay_alu instid0(SALU_CYCLE_1)
	s_or_b32 exec_lo, exec_lo, s70
.LBB10_6:                               ;   in Loop: Header=BB10_7 Depth=2
	s_delay_alu instid0(SALU_CYCLE_1) | instskip(SKIP_1) | instid1(SALU_CYCLE_1)
	s_or_b32 exec_lo, exec_lo, s69
	s_add_i32 s68, s68, 1
	s_cmp_eq_u32 s68, 8
	s_cbranch_scc1 .LBB10_83
.LBB10_7:                               ;   Parent Loop BB10_3 Depth=1
                                        ; =>  This Loop Header: Depth=2
                                        ;       Child Loop BB10_12 Depth 3
                                        ;         Child Loop BB10_16 Depth 4
                                        ;         Child Loop BB10_37 Depth 4
                                        ;         Child Loop BB10_51 Depth 4
                                        ;         Child Loop BB10_70 Depth 4
                                        ;         Child Loop BB10_78 Depth 4
	v_lshl_add_u32 v5, s68, 7, v25
	s_mov_b32 s69, exec_lo
	s_delay_alu instid0(VALU_DEP_1)
	v_cmpx_gt_i32_e64 s53, v5
	s_cbranch_execz .LBB10_6
; %bb.8:                                ;   in Loop: Header=BB10_7 Depth=2
	v_ashrrev_i32_e32 v6, 31, v5
	s_mov_b32 s70, exec_lo
	s_delay_alu instid0(VALU_DEP_1) | instskip(NEXT) | instid1(VALU_DEP_1)
	v_lshlrev_b64 v[7:8], 2, v[5:6]
	v_add_co_u32 v9, vcc_lo, s36, v7
	s_delay_alu instid0(VALU_DEP_2)
	v_add_co_ci_u32_e32 v10, vcc_lo, s37, v8, vcc_lo
	v_add_co_u32 v11, vcc_lo, s38, v7
	v_add_co_ci_u32_e32 v12, vcc_lo, s39, v8, vcc_lo
	global_load_b32 v3, v[9:10], off
	global_load_b32 v9, v[11:12], off
	s_waitcnt vmcnt(1)
	v_add_nc_u32_e32 v6, v27, v3
	s_waitcnt vmcnt(0)
	v_subrev_nc_u32_e32 v31, s61, v9
	s_delay_alu instid0(VALU_DEP_1)
	v_cmpx_lt_i32_e64 v6, v31
	s_cbranch_execz .LBB10_5
; %bb.9:                                ;   in Loop: Header=BB10_7 Depth=2
	v_add_co_u32 v9, vcc_lo, s24, v7
	v_add_co_ci_u32_e32 v10, vcc_lo, s25, v8, vcc_lo
	v_add_co_u32 v7, vcc_lo, s26, v7
	v_add_co_ci_u32_e32 v8, vcc_lo, s27, v8, vcc_lo
	global_load_b32 v3, v[9:10], off
	s_mov_b32 s71, 0
	global_load_b32 v7, v[7:8], off
	s_waitcnt vmcnt(1)
	v_subrev_nc_u32_e32 v8, s62, v3
	s_waitcnt vmcnt(0)
	v_sub_nc_u32_e32 v32, v7, v3
	s_delay_alu instid0(VALU_DEP_2) | instskip(NEXT) | instid1(VALU_DEP_2)
	v_ashrrev_i32_e32 v9, 31, v8
	v_cmp_lt_i32_e64 s12, 0, v32
	s_delay_alu instid0(VALU_DEP_2) | instskip(NEXT) | instid1(VALU_DEP_1)
	v_lshlrev_b64 v[9:10], 2, v[8:9]
	v_add_co_u32 v33, vcc_lo, s28, v9
	s_delay_alu instid0(VALU_DEP_2)
	v_add_co_ci_u32_e32 v34, vcc_lo, s29, v10, vcc_lo
	v_add_co_u32 v35, vcc_lo, s30, v9
	v_add_co_ci_u32_e32 v36, vcc_lo, s31, v10, vcc_lo
	s_branch .LBB10_12
.LBB10_10:                              ;   in Loop: Header=BB10_12 Depth=3
	s_or_b32 exec_lo, exec_lo, s72
.LBB10_11:                              ;   in Loop: Header=BB10_12 Depth=3
	s_delay_alu instid0(SALU_CYCLE_1) | instskip(SKIP_1) | instid1(VALU_DEP_1)
	s_or_b32 exec_lo, exec_lo, s13
	v_add_nc_u32_e32 v6, 8, v6
	v_cmp_ge_i32_e32 vcc_lo, v6, v31
	s_or_b32 s71, vcc_lo, s71
	s_delay_alu instid0(SALU_CYCLE_1)
	s_and_not1_b32 exec_lo, exec_lo, s71
	s_cbranch_execz .LBB10_4
.LBB10_12:                              ;   Parent Loop BB10_3 Depth=1
                                        ;     Parent Loop BB10_7 Depth=2
                                        ; =>    This Loop Header: Depth=3
                                        ;         Child Loop BB10_16 Depth 4
                                        ;         Child Loop BB10_37 Depth 4
	;; [unrolled: 1-line block ×5, first 2 shown]
	v_ashrrev_i32_e32 v7, 31, v6
	s_delay_alu instid0(VALU_DEP_1) | instskip(SKIP_1) | instid1(VALU_DEP_2)
	v_lshlrev_b64 v[15:16], 2, v[6:7]
	v_mov_b32_e32 v7, 0
	v_add_co_u32 v9, vcc_lo, s40, v15
	s_delay_alu instid0(VALU_DEP_3) | instskip(SKIP_3) | instid1(VALU_DEP_1)
	v_add_co_ci_u32_e32 v10, vcc_lo, s41, v16, vcc_lo
	global_load_b32 v3, v[9:10], off
	s_waitcnt vmcnt(0)
	v_subrev_nc_u32_e32 v11, s61, v3
	v_ashrrev_i32_e32 v12, 31, v11
	s_delay_alu instid0(VALU_DEP_1) | instskip(NEXT) | instid1(VALU_DEP_1)
	v_lshlrev_b64 v[9:10], 2, v[11:12]
	v_add_co_u32 v12, vcc_lo, s16, v9
	s_delay_alu instid0(VALU_DEP_2)
	v_add_co_ci_u32_e32 v13, vcc_lo, s17, v10, vcc_lo
	v_add_co_u32 v17, vcc_lo, s18, v9
	v_add_co_ci_u32_e32 v18, vcc_lo, s19, v10, vcc_lo
	global_load_b32 v3, v[12:13], off
	global_load_b32 v14, v[17:18], off
	v_mov_b32_e32 v13, 0
	s_waitcnt vmcnt(1)
	v_subrev_nc_u32_e32 v12, s63, v3
	s_waitcnt vmcnt(0)
	v_sub_nc_u32_e32 v37, v14, v3
	v_mov_b32_e32 v3, 0
	s_and_saveexec_b32 s72, s12
	s_cbranch_execz .LBB10_20
; %bb.13:                               ;   in Loop: Header=BB10_12 Depth=3
	v_ashrrev_i32_e32 v13, 31, v12
	v_mov_b32_e32 v3, 0
	v_mov_b32_e32 v7, 0
	s_mov_b32 s73, 0
                                        ; implicit-def: $sgpr74
	s_delay_alu instid0(VALU_DEP_3) | instskip(NEXT) | instid1(VALU_DEP_1)
	v_lshlrev_b64 v[13:14], 2, v[12:13]
	v_add_co_u32 v38, vcc_lo, s20, v13
	s_delay_alu instid0(VALU_DEP_2)
	v_add_co_ci_u32_e32 v39, vcc_lo, s21, v14, vcc_lo
	v_add_co_u32 v40, vcc_lo, s22, v13
	v_add_co_ci_u32_e32 v41, vcc_lo, s23, v14, vcc_lo
	v_mov_b32_e32 v13, v3
	s_branch .LBB10_16
.LBB10_14:                              ;   in Loop: Header=BB10_16 Depth=4
	s_or_b32 exec_lo, exec_lo, s13
	v_cmp_le_i32_e32 vcc_lo, v14, v42
	v_cmp_ge_i32_e64 s13, v14, v42
	v_add_co_ci_u32_e32 v3, vcc_lo, 0, v3, vcc_lo
	s_delay_alu instid0(VALU_DEP_2) | instskip(SKIP_1) | instid1(VALU_DEP_2)
	v_add_co_ci_u32_e64 v13, s13, 0, v13, s13
	s_and_not1_b32 s13, s74, exec_lo
	v_cmp_ge_i32_e32 vcc_lo, v3, v32
	s_and_b32 s74, vcc_lo, exec_lo
	s_delay_alu instid0(SALU_CYCLE_1)
	s_or_b32 s74, s13, s74
.LBB10_15:                              ;   in Loop: Header=BB10_16 Depth=4
	s_or_b32 exec_lo, exec_lo, s75
	s_delay_alu instid0(SALU_CYCLE_1) | instskip(NEXT) | instid1(SALU_CYCLE_1)
	s_and_b32 s13, exec_lo, s74
	s_or_b32 s73, s13, s73
	s_delay_alu instid0(SALU_CYCLE_1)
	s_and_not1_b32 exec_lo, exec_lo, s73
	s_cbranch_execz .LBB10_19
.LBB10_16:                              ;   Parent Loop BB10_3 Depth=1
                                        ;     Parent Loop BB10_7 Depth=2
                                        ;       Parent Loop BB10_12 Depth=3
                                        ; =>      This Inner Loop Header: Depth=4
	s_or_b32 s74, s74, exec_lo
	s_mov_b32 s75, exec_lo
	s_delay_alu instid0(VALU_DEP_1)
	v_cmpx_lt_i32_e64 v13, v37
	s_cbranch_execz .LBB10_15
; %bb.17:                               ;   in Loop: Header=BB10_16 Depth=4
	v_mov_b32_e32 v14, v4
	v_lshlrev_b64 v[19:20], 2, v[3:4]
	s_mov_b32 s13, exec_lo
	s_delay_alu instid0(VALU_DEP_2) | instskip(NEXT) | instid1(VALU_DEP_2)
	v_lshlrev_b64 v[17:18], 2, v[13:14]
	v_add_co_u32 v42, vcc_lo, v33, v19
	s_delay_alu instid0(VALU_DEP_3) | instskip(NEXT) | instid1(VALU_DEP_3)
	v_add_co_ci_u32_e32 v43, vcc_lo, v34, v20, vcc_lo
	v_add_co_u32 v44, vcc_lo, v38, v17
	s_delay_alu instid0(VALU_DEP_4)
	v_add_co_ci_u32_e32 v45, vcc_lo, v39, v18, vcc_lo
	global_load_b32 v14, v[42:43], off
	global_load_b32 v42, v[44:45], off
	s_waitcnt vmcnt(1)
	v_subrev_nc_u32_e32 v14, s62, v14
	s_waitcnt vmcnt(0)
	v_subrev_nc_u32_e32 v42, s63, v42
	s_delay_alu instid0(VALU_DEP_1)
	v_cmpx_eq_u32_e64 v14, v42
	s_cbranch_execz .LBB10_14
; %bb.18:                               ;   in Loop: Header=BB10_16 Depth=4
	v_add_co_u32 v19, vcc_lo, v35, v19
	v_add_co_ci_u32_e32 v20, vcc_lo, v36, v20, vcc_lo
	v_add_co_u32 v17, vcc_lo, v40, v17
	v_add_co_ci_u32_e32 v18, vcc_lo, v41, v18, vcc_lo
	global_load_b32 v19, v[19:20], off
	global_load_b32 v17, v[17:18], off
	s_waitcnt vmcnt(0)
	v_fmac_f32_e32 v7, v19, v17
	s_branch .LBB10_14
.LBB10_19:                              ;   in Loop: Header=BB10_12 Depth=3
	s_or_b32 exec_lo, exec_lo, s73
.LBB10_20:                              ;   in Loop: Header=BB10_12 Depth=3
	s_delay_alu instid0(SALU_CYCLE_1)
	s_or_b32 exec_lo, exec_lo, s72
	v_add_co_u32 v14, vcc_lo, s42, v15
	v_add_co_ci_u32_e32 v15, vcc_lo, s43, v16, vcc_lo
	v_cmp_le_i32_e64 s13, v5, v11
	s_mov_b32 s72, exec_lo
	global_load_b32 v16, v[14:15], off
	s_waitcnt vmcnt(0)
	v_sub_f32_e32 v17, v16, v7
	v_cmpx_gt_i32_e64 v5, v11
	s_cbranch_execnz .LBB10_23
; %bb.21:                               ;   in Loop: Header=BB10_12 Depth=3
	s_or_b32 exec_lo, exec_lo, s72
	s_delay_alu instid0(VALU_DEP_2) | instskip(NEXT) | instid1(VALU_DEP_1)
	v_cmp_class_f32_e64 s72, v17, 0x1f8
	s_and_saveexec_b32 s73, s72
	s_cbranch_execnz .LBB10_26
.LBB10_22:                              ;   in Loop: Header=BB10_12 Depth=3
	s_or_b32 exec_lo, exec_lo, s73
	s_and_b32 s72, s72, s33
	s_delay_alu instid0(SALU_CYCLE_1)
	s_and_saveexec_b32 s13, s72
	s_cbranch_execz .LBB10_11
	s_branch .LBB10_61
.LBB10_23:                              ;   in Loop: Header=BB10_12 Depth=3
	v_add_co_u32 v14, vcc_lo, s48, v9
	v_add_co_ci_u32_e32 v15, vcc_lo, s49, v10, vcc_lo
	s_mov_b32 s73, exec_lo
	global_load_b32 v14, v[14:15], off
	v_mov_b32_e32 v15, 0
	s_waitcnt vmcnt(0)
	v_cmpx_lg_f32_e32 0, v14
; %bb.24:                               ;   in Loop: Header=BB10_12 Depth=3
	v_div_scale_f32 v15, null, v14, v14, v17
	s_delay_alu instid0(VALU_DEP_1) | instskip(SKIP_2) | instid1(VALU_DEP_1)
	v_rcp_f32_e32 v18, v15
	s_waitcnt_depctr 0xfff
	v_fma_f32 v19, -v15, v18, 1.0
	v_fmac_f32_e32 v18, v19, v18
	v_div_scale_f32 v19, vcc_lo, v17, v14, v17
	s_delay_alu instid0(VALU_DEP_1) | instskip(NEXT) | instid1(VALU_DEP_1)
	v_mul_f32_e32 v20, v19, v18
	v_fma_f32 v38, -v15, v20, v19
	s_delay_alu instid0(VALU_DEP_1) | instskip(NEXT) | instid1(VALU_DEP_1)
	v_fmac_f32_e32 v20, v38, v18
	v_fma_f32 v15, -v15, v20, v19
	s_delay_alu instid0(VALU_DEP_1) | instskip(NEXT) | instid1(VALU_DEP_1)
	v_div_fmas_f32 v15, v15, v18, v20
	v_div_fixup_f32 v15, v15, v14, v17
; %bb.25:                               ;   in Loop: Header=BB10_12 Depth=3
	s_or_b32 exec_lo, exec_lo, s73
	s_delay_alu instid0(VALU_DEP_1) | instskip(SKIP_1) | instid1(VALU_DEP_1)
	v_mov_b32_e32 v17, v15
	s_or_b32 exec_lo, exec_lo, s72
	v_cmp_class_f32_e64 s72, v17, 0x1f8
	s_delay_alu instid0(VALU_DEP_1)
	s_and_saveexec_b32 s73, s72
	s_cbranch_execz .LBB10_22
.LBB10_26:                              ;   in Loop: Header=BB10_12 Depth=3
	s_and_saveexec_b32 s74, s13
	s_delay_alu instid0(SALU_CYCLE_1)
	s_xor_b32 s13, exec_lo, s74
	s_cbranch_execz .LBB10_47
; %bb.27:                               ;   in Loop: Header=BB10_12 Depth=3
	s_mov_b32 s74, exec_lo
	v_cmpx_ge_i32_e64 v5, v11
	s_xor_b32 s74, exec_lo, s74
	s_cbranch_execz .LBB10_33
; %bb.28:                               ;   in Loop: Header=BB10_12 Depth=3
	v_add_co_u32 v14, vcc_lo, s50, v9
	v_add_co_ci_u32_e32 v15, vcc_lo, s51, v10, vcc_lo
	s_and_not1_b32 vcc_lo, exec_lo, s58
	global_store_b32 v[14:15], v17, off
	s_cbranch_vccnz .LBB10_32
; %bb.29:                               ;   in Loop: Header=BB10_12 Depth=3
	v_add_co_u32 v14, vcc_lo, s48, v9
	v_add_co_ci_u32_e32 v15, vcc_lo, s49, v10, vcc_lo
	global_load_b32 v14, v[14:15], off
	s_waitcnt vmcnt(0)
	v_sub_f32_e32 v14, v14, v17
	s_delay_alu instid0(VALU_DEP_1) | instskip(NEXT) | instid1(VALU_DEP_1)
	v_cmp_class_f32_e64 s76, v14, 0x1f8
	s_and_saveexec_b32 s75, s76
; %bb.30:                               ;   in Loop: Header=BB10_12 Depth=3
	v_cmp_lt_f32_e64 s76, v2, |v14|
	s_delay_alu instid0(VALU_DEP_1)
	v_cndmask_b32_e64 v2, v2, |v14|, s76
; %bb.31:                               ;   in Loop: Header=BB10_12 Depth=3
	s_or_b32 exec_lo, exec_lo, s75
.LBB10_32:                              ;   in Loop: Header=BB10_12 Depth=3
                                        ; implicit-def: $vgpr17
.LBB10_33:                              ;   in Loop: Header=BB10_12 Depth=3
	s_and_not1_saveexec_b32 s74, s74
	s_cbranch_execz .LBB10_46
; %bb.34:                               ;   in Loop: Header=BB10_12 Depth=3
	s_mov_b32 s75, exec_lo
	v_cmpx_lt_i32_e64 v13, v37
	s_cbranch_execz .LBB10_45
; %bb.35:                               ;   in Loop: Header=BB10_12 Depth=3
	v_mov_b32_e32 v18, v13
	s_mov_b32 s76, 0
                                        ; implicit-def: $sgpr77
                                        ; implicit-def: $sgpr79
                                        ; implicit-def: $sgpr78
	s_set_inst_prefetch_distance 0x1
	s_branch .LBB10_37
	.p2align	6
.LBB10_36:                              ;   in Loop: Header=BB10_37 Depth=4
	s_or_b32 exec_lo, exec_lo, s80
	s_delay_alu instid0(SALU_CYCLE_1) | instskip(NEXT) | instid1(SALU_CYCLE_1)
	s_and_b32 s80, exec_lo, s79
	s_or_b32 s76, s80, s76
	s_and_not1_b32 s77, s77, exec_lo
	s_and_b32 s80, s78, exec_lo
	s_delay_alu instid0(SALU_CYCLE_1)
	s_or_b32 s77, s77, s80
	s_and_not1_b32 exec_lo, exec_lo, s76
	s_cbranch_execz .LBB10_39
.LBB10_37:                              ;   Parent Loop BB10_3 Depth=1
                                        ;     Parent Loop BB10_7 Depth=2
                                        ;       Parent Loop BB10_12 Depth=3
                                        ; =>      This Inner Loop Header: Depth=4
	s_delay_alu instid0(VALU_DEP_1) | instskip(SKIP_3) | instid1(VALU_DEP_1)
	v_add_nc_u32_e32 v14, v12, v18
	s_or_b32 s78, s78, exec_lo
	s_or_b32 s79, s79, exec_lo
	s_mov_b32 s80, exec_lo
	v_ashrrev_i32_e32 v15, 31, v14
	s_delay_alu instid0(VALU_DEP_1) | instskip(NEXT) | instid1(VALU_DEP_1)
	v_lshlrev_b64 v[14:15], 2, v[14:15]
	v_add_co_u32 v19, vcc_lo, s20, v14
	s_delay_alu instid0(VALU_DEP_2) | instskip(SKIP_3) | instid1(VALU_DEP_1)
	v_add_co_ci_u32_e32 v20, vcc_lo, s21, v15, vcc_lo
	global_load_b32 v19, v[19:20], off
	s_waitcnt vmcnt(0)
	v_subrev_nc_u32_e32 v19, s63, v19
	v_cmpx_ne_u32_e64 v19, v5
	s_cbranch_execz .LBB10_36
; %bb.38:                               ;   in Loop: Header=BB10_37 Depth=4
	v_add_nc_u32_e32 v18, 1, v18
	s_and_not1_b32 s79, s79, exec_lo
	s_and_not1_b32 s78, s78, exec_lo
	s_delay_alu instid0(VALU_DEP_1) | instskip(SKIP_1) | instid1(SALU_CYCLE_1)
	v_cmp_ge_i32_e32 vcc_lo, v18, v37
	s_and_b32 s81, vcc_lo, exec_lo
	s_or_b32 s79, s79, s81
	s_branch .LBB10_36
.LBB10_39:                              ;   in Loop: Header=BB10_12 Depth=3
	s_set_inst_prefetch_distance 0x2
	s_or_b32 exec_lo, exec_lo, s76
	s_and_saveexec_b32 s76, s77
	s_delay_alu instid0(SALU_CYCLE_1)
	s_xor_b32 s76, exec_lo, s76
	s_cbranch_execz .LBB10_44
; %bb.40:                               ;   in Loop: Header=BB10_12 Depth=3
	v_add_co_u32 v18, vcc_lo, s14, v14
	v_add_co_ci_u32_e32 v19, vcc_lo, s15, v15, vcc_lo
	s_and_not1_b32 vcc_lo, exec_lo, s58
	global_store_b32 v[18:19], v17, off
	s_cbranch_vccnz .LBB10_44
; %bb.41:                               ;   in Loop: Header=BB10_12 Depth=3
	v_add_co_u32 v14, vcc_lo, s22, v14
	v_add_co_ci_u32_e32 v15, vcc_lo, s23, v15, vcc_lo
	global_load_b32 v14, v[14:15], off
	s_waitcnt vmcnt(0)
	v_sub_f32_e32 v14, v14, v17
	s_delay_alu instid0(VALU_DEP_1) | instskip(NEXT) | instid1(VALU_DEP_1)
	v_cmp_class_f32_e64 s78, v14, 0x1f8
	s_and_saveexec_b32 s77, s78
; %bb.42:                               ;   in Loop: Header=BB10_12 Depth=3
	v_cmp_lt_f32_e64 s78, v2, |v14|
	s_delay_alu instid0(VALU_DEP_1)
	v_cndmask_b32_e64 v2, v2, |v14|, s78
; %bb.43:                               ;   in Loop: Header=BB10_12 Depth=3
	s_or_b32 exec_lo, exec_lo, s77
.LBB10_44:                              ;   in Loop: Header=BB10_12 Depth=3
	s_delay_alu instid0(SALU_CYCLE_1)
	s_or_b32 exec_lo, exec_lo, s76
.LBB10_45:                              ;   in Loop: Header=BB10_12 Depth=3
	s_delay_alu instid0(SALU_CYCLE_1)
	s_or_b32 exec_lo, exec_lo, s75
.LBB10_46:                              ;   in Loop: Header=BB10_12 Depth=3
	s_delay_alu instid0(SALU_CYCLE_1)
	s_or_b32 exec_lo, exec_lo, s74
                                        ; implicit-def: $vgpr17
.LBB10_47:                              ;   in Loop: Header=BB10_12 Depth=3
	s_and_not1_saveexec_b32 s13, s13
	s_cbranch_execz .LBB10_60
; %bb.48:                               ;   in Loop: Header=BB10_12 Depth=3
	s_mov_b32 s74, exec_lo
	v_cmpx_lt_i32_e64 v3, v32
	s_cbranch_execz .LBB10_59
; %bb.49:                               ;   in Loop: Header=BB10_12 Depth=3
	v_mov_b32_e32 v18, v3
	s_mov_b32 s75, 0
                                        ; implicit-def: $sgpr76
                                        ; implicit-def: $sgpr78
                                        ; implicit-def: $sgpr77
	s_set_inst_prefetch_distance 0x1
	s_branch .LBB10_51
	.p2align	6
.LBB10_50:                              ;   in Loop: Header=BB10_51 Depth=4
	s_or_b32 exec_lo, exec_lo, s79
	s_delay_alu instid0(SALU_CYCLE_1) | instskip(NEXT) | instid1(SALU_CYCLE_1)
	s_and_b32 s79, exec_lo, s78
	s_or_b32 s75, s79, s75
	s_and_not1_b32 s76, s76, exec_lo
	s_and_b32 s79, s77, exec_lo
	s_delay_alu instid0(SALU_CYCLE_1)
	s_or_b32 s76, s76, s79
	s_and_not1_b32 exec_lo, exec_lo, s75
	s_cbranch_execz .LBB10_53
.LBB10_51:                              ;   Parent Loop BB10_3 Depth=1
                                        ;     Parent Loop BB10_7 Depth=2
                                        ;       Parent Loop BB10_12 Depth=3
                                        ; =>      This Inner Loop Header: Depth=4
	s_delay_alu instid0(VALU_DEP_1) | instskip(SKIP_3) | instid1(VALU_DEP_1)
	v_add_nc_u32_e32 v14, v8, v18
	s_or_b32 s77, s77, exec_lo
	s_or_b32 s78, s78, exec_lo
	s_mov_b32 s79, exec_lo
	v_ashrrev_i32_e32 v15, 31, v14
	s_delay_alu instid0(VALU_DEP_1) | instskip(NEXT) | instid1(VALU_DEP_1)
	v_lshlrev_b64 v[14:15], 2, v[14:15]
	v_add_co_u32 v19, vcc_lo, s28, v14
	s_delay_alu instid0(VALU_DEP_2) | instskip(SKIP_3) | instid1(VALU_DEP_1)
	v_add_co_ci_u32_e32 v20, vcc_lo, s29, v15, vcc_lo
	global_load_b32 v19, v[19:20], off
	s_waitcnt vmcnt(0)
	v_subrev_nc_u32_e32 v19, s62, v19
	v_cmpx_ne_u32_e64 v19, v11
	s_cbranch_execz .LBB10_50
; %bb.52:                               ;   in Loop: Header=BB10_51 Depth=4
	v_add_nc_u32_e32 v18, 1, v18
	s_and_not1_b32 s78, s78, exec_lo
	s_and_not1_b32 s77, s77, exec_lo
	s_delay_alu instid0(VALU_DEP_1) | instskip(SKIP_1) | instid1(SALU_CYCLE_1)
	v_cmp_ge_i32_e32 vcc_lo, v18, v32
	s_and_b32 s80, vcc_lo, exec_lo
	s_or_b32 s78, s78, s80
	s_branch .LBB10_50
.LBB10_53:                              ;   in Loop: Header=BB10_12 Depth=3
	s_set_inst_prefetch_distance 0x2
	s_or_b32 exec_lo, exec_lo, s75
	s_and_saveexec_b32 s75, s76
	s_delay_alu instid0(SALU_CYCLE_1)
	s_xor_b32 s75, exec_lo, s75
	s_cbranch_execz .LBB10_58
; %bb.54:                               ;   in Loop: Header=BB10_12 Depth=3
	v_add_co_u32 v18, vcc_lo, s54, v14
	v_add_co_ci_u32_e32 v19, vcc_lo, s55, v15, vcc_lo
	s_and_not1_b32 vcc_lo, exec_lo, s58
	global_store_b32 v[18:19], v17, off
	s_cbranch_vccnz .LBB10_58
; %bb.55:                               ;   in Loop: Header=BB10_12 Depth=3
	v_add_co_u32 v14, vcc_lo, s30, v14
	v_add_co_ci_u32_e32 v15, vcc_lo, s31, v15, vcc_lo
	global_load_b32 v14, v[14:15], off
	s_waitcnt vmcnt(0)
	v_sub_f32_e32 v14, v14, v17
	s_delay_alu instid0(VALU_DEP_1) | instskip(NEXT) | instid1(VALU_DEP_1)
	v_cmp_class_f32_e64 s77, v14, 0x1f8
	s_and_saveexec_b32 s76, s77
; %bb.56:                               ;   in Loop: Header=BB10_12 Depth=3
	v_cmp_lt_f32_e64 s77, v2, |v14|
	s_delay_alu instid0(VALU_DEP_1)
	v_cndmask_b32_e64 v2, v2, |v14|, s77
; %bb.57:                               ;   in Loop: Header=BB10_12 Depth=3
	s_or_b32 exec_lo, exec_lo, s76
.LBB10_58:                              ;   in Loop: Header=BB10_12 Depth=3
	s_delay_alu instid0(SALU_CYCLE_1)
	s_or_b32 exec_lo, exec_lo, s75
.LBB10_59:                              ;   in Loop: Header=BB10_12 Depth=3
	s_delay_alu instid0(SALU_CYCLE_1)
	s_or_b32 exec_lo, exec_lo, s74
.LBB10_60:                              ;   in Loop: Header=BB10_12 Depth=3
	s_delay_alu instid0(SALU_CYCLE_1) | instskip(NEXT) | instid1(SALU_CYCLE_1)
	s_or_b32 exec_lo, exec_lo, s13
	s_or_b32 exec_lo, exec_lo, s73
	s_and_b32 s72, s72, s33
	s_delay_alu instid0(SALU_CYCLE_1)
	s_and_saveexec_b32 s13, s72
	s_cbranch_execz .LBB10_11
.LBB10_61:                              ;   in Loop: Header=BB10_12 Depth=3
	s_mov_b32 s72, exec_lo
	v_cmpx_ge_i32_e64 v13, v37
	s_xor_b32 s72, exec_lo, s72
	s_cbranch_execnz .LBB10_67
; %bb.62:                               ;   in Loop: Header=BB10_12 Depth=3
	s_and_not1_saveexec_b32 s72, s72
	s_cbranch_execnz .LBB10_76
.LBB10_63:                              ;   in Loop: Header=BB10_12 Depth=3
	s_or_b32 exec_lo, exec_lo, s72
	s_delay_alu instid0(SALU_CYCLE_1)
	s_mov_b32 s72, exec_lo
	v_cmpx_eq_u32_e64 v5, v11
	s_cbranch_execz .LBB10_65
.LBB10_64:                              ;   in Loop: Header=BB10_12 Depth=3
	v_add_co_u32 v9, vcc_lo, s48, v9
	v_add_co_ci_u32_e32 v10, vcc_lo, s49, v10, vcc_lo
	global_load_b32 v3, v[9:10], off
	s_waitcnt vmcnt(0)
	v_add_f32_e32 v7, v7, v3
.LBB10_65:                              ;   in Loop: Header=BB10_12 Depth=3
	s_or_b32 exec_lo, exec_lo, s72
	s_delay_alu instid0(VALU_DEP_1) | instskip(NEXT) | instid1(VALU_DEP_1)
	v_sub_f32_e32 v3, v16, v7
	v_cmp_class_f32_e64 s73, v3, 0x1f8
	s_delay_alu instid0(VALU_DEP_1)
	s_and_saveexec_b32 s72, s73
	s_cbranch_execz .LBB10_10
; %bb.66:                               ;   in Loop: Header=BB10_12 Depth=3
	v_cmp_lt_f32_e64 s73, v1, |v3|
	s_delay_alu instid0(VALU_DEP_1)
	v_cndmask_b32_e64 v1, v1, |v3|, s73
	s_branch .LBB10_10
.LBB10_67:                              ;   in Loop: Header=BB10_12 Depth=3
	s_mov_b32 s73, exec_lo
	v_cmpx_lt_i32_e64 v3, v32
	s_cbranch_execz .LBB10_75
; %bb.68:                               ;   in Loop: Header=BB10_12 Depth=3
	s_mov_b32 s74, 0
                                        ; implicit-def: $sgpr75
                                        ; implicit-def: $sgpr77
                                        ; implicit-def: $sgpr76
	s_set_inst_prefetch_distance 0x1
	s_branch .LBB10_70
	.p2align	6
.LBB10_69:                              ;   in Loop: Header=BB10_70 Depth=4
	s_or_b32 exec_lo, exec_lo, s78
	s_delay_alu instid0(SALU_CYCLE_1) | instskip(NEXT) | instid1(SALU_CYCLE_1)
	s_and_b32 s78, exec_lo, s77
	s_or_b32 s74, s78, s74
	s_and_not1_b32 s75, s75, exec_lo
	s_and_b32 s78, s76, exec_lo
	s_delay_alu instid0(SALU_CYCLE_1)
	s_or_b32 s75, s75, s78
	s_and_not1_b32 exec_lo, exec_lo, s74
	s_cbranch_execz .LBB10_72
.LBB10_70:                              ;   Parent Loop BB10_3 Depth=1
                                        ;     Parent Loop BB10_7 Depth=2
                                        ;       Parent Loop BB10_12 Depth=3
                                        ; =>      This Inner Loop Header: Depth=4
	v_add_nc_u32_e32 v12, v8, v3
	s_or_b32 s76, s76, exec_lo
	s_or_b32 s77, s77, exec_lo
	s_mov_b32 s78, exec_lo
	s_delay_alu instid0(VALU_DEP_1) | instskip(NEXT) | instid1(VALU_DEP_1)
	v_ashrrev_i32_e32 v13, 31, v12
	v_lshlrev_b64 v[12:13], 2, v[12:13]
	s_delay_alu instid0(VALU_DEP_1) | instskip(NEXT) | instid1(VALU_DEP_2)
	v_add_co_u32 v14, vcc_lo, s28, v12
	v_add_co_ci_u32_e32 v15, vcc_lo, s29, v13, vcc_lo
	global_load_b32 v14, v[14:15], off
	s_waitcnt vmcnt(0)
	v_subrev_nc_u32_e32 v14, s62, v14
	s_delay_alu instid0(VALU_DEP_1)
	v_cmpx_ne_u32_e64 v14, v11
	s_cbranch_execz .LBB10_69
; %bb.71:                               ;   in Loop: Header=BB10_70 Depth=4
	v_add_nc_u32_e32 v3, 1, v3
	s_and_not1_b32 s77, s77, exec_lo
	s_and_not1_b32 s76, s76, exec_lo
	s_delay_alu instid0(VALU_DEP_1) | instskip(SKIP_1) | instid1(SALU_CYCLE_1)
	v_cmp_ge_i32_e32 vcc_lo, v3, v32
	s_and_b32 s79, vcc_lo, exec_lo
	s_or_b32 s77, s77, s79
	s_branch .LBB10_69
.LBB10_72:                              ;   in Loop: Header=BB10_12 Depth=3
	s_set_inst_prefetch_distance 0x2
	s_or_b32 exec_lo, exec_lo, s74
	s_and_saveexec_b32 s74, s75
	s_delay_alu instid0(SALU_CYCLE_1)
	s_xor_b32 s74, exec_lo, s74
	s_cbranch_execz .LBB10_74
; %bb.73:                               ;   in Loop: Header=BB10_12 Depth=3
	v_add_co_u32 v12, vcc_lo, s30, v12
	v_add_co_ci_u32_e32 v13, vcc_lo, s31, v13, vcc_lo
	v_add_co_u32 v14, vcc_lo, s48, v9
	v_add_co_ci_u32_e32 v15, vcc_lo, s49, v10, vcc_lo
	global_load_b32 v3, v[12:13], off
	global_load_b32 v12, v[14:15], off
	s_waitcnt vmcnt(0)
	v_fmac_f32_e32 v7, v3, v12
.LBB10_74:                              ;   in Loop: Header=BB10_12 Depth=3
	s_or_b32 exec_lo, exec_lo, s74
.LBB10_75:                              ;   in Loop: Header=BB10_12 Depth=3
	s_delay_alu instid0(SALU_CYCLE_1)
	s_or_b32 exec_lo, exec_lo, s73
                                        ; implicit-def: $vgpr13
                                        ; implicit-def: $vgpr12
                                        ; implicit-def: $vgpr37
	s_and_not1_saveexec_b32 s72, s72
	s_cbranch_execz .LBB10_63
.LBB10_76:                              ;   in Loop: Header=BB10_12 Depth=3
	s_mov_b32 s73, 0
                                        ; implicit-def: $sgpr74
                                        ; implicit-def: $sgpr76
                                        ; implicit-def: $sgpr75
	s_set_inst_prefetch_distance 0x1
	s_branch .LBB10_78
	.p2align	6
.LBB10_77:                              ;   in Loop: Header=BB10_78 Depth=4
	s_or_b32 exec_lo, exec_lo, s77
	s_delay_alu instid0(SALU_CYCLE_1) | instskip(NEXT) | instid1(SALU_CYCLE_1)
	s_and_b32 s77, exec_lo, s76
	s_or_b32 s73, s77, s73
	s_and_not1_b32 s74, s74, exec_lo
	s_and_b32 s77, s75, exec_lo
	s_delay_alu instid0(SALU_CYCLE_1)
	s_or_b32 s74, s74, s77
	s_and_not1_b32 exec_lo, exec_lo, s73
	s_cbranch_execz .LBB10_80
.LBB10_78:                              ;   Parent Loop BB10_3 Depth=1
                                        ;     Parent Loop BB10_7 Depth=2
                                        ;       Parent Loop BB10_12 Depth=3
                                        ; =>      This Inner Loop Header: Depth=4
	v_add_nc_u32_e32 v14, v12, v13
	s_or_b32 s75, s75, exec_lo
	s_or_b32 s76, s76, exec_lo
	s_mov_b32 s77, exec_lo
	s_delay_alu instid0(VALU_DEP_1) | instskip(NEXT) | instid1(VALU_DEP_1)
	v_ashrrev_i32_e32 v15, 31, v14
	v_lshlrev_b64 v[14:15], 2, v[14:15]
	s_delay_alu instid0(VALU_DEP_1) | instskip(NEXT) | instid1(VALU_DEP_2)
	v_add_co_u32 v17, vcc_lo, s20, v14
	v_add_co_ci_u32_e32 v18, vcc_lo, s21, v15, vcc_lo
	global_load_b32 v3, v[17:18], off
	s_waitcnt vmcnt(0)
	v_subrev_nc_u32_e32 v3, s63, v3
	s_delay_alu instid0(VALU_DEP_1)
	v_cmpx_ne_u32_e64 v3, v5
	s_cbranch_execz .LBB10_77
; %bb.79:                               ;   in Loop: Header=BB10_78 Depth=4
	v_add_nc_u32_e32 v13, 1, v13
	s_and_not1_b32 s76, s76, exec_lo
	s_and_not1_b32 s75, s75, exec_lo
	s_delay_alu instid0(VALU_DEP_1) | instskip(SKIP_1) | instid1(SALU_CYCLE_1)
	v_cmp_ge_i32_e32 vcc_lo, v13, v37
	s_and_b32 s78, vcc_lo, exec_lo
	s_or_b32 s76, s76, s78
	s_branch .LBB10_77
.LBB10_80:                              ;   in Loop: Header=BB10_12 Depth=3
	s_set_inst_prefetch_distance 0x2
	s_or_b32 exec_lo, exec_lo, s73
	s_and_saveexec_b32 s73, s74
	s_delay_alu instid0(SALU_CYCLE_1)
	s_xor_b32 s73, exec_lo, s73
	s_cbranch_execz .LBB10_82
; %bb.81:                               ;   in Loop: Header=BB10_12 Depth=3
	v_add_co_u32 v12, vcc_lo, s22, v14
	v_add_co_ci_u32_e32 v13, vcc_lo, s23, v15, vcc_lo
	global_load_b32 v3, v[12:13], off
	s_waitcnt vmcnt(0)
	v_add_f32_e32 v7, v7, v3
.LBB10_82:                              ;   in Loop: Header=BB10_12 Depth=3
	s_or_b32 exec_lo, exec_lo, s73
	s_delay_alu instid0(SALU_CYCLE_1) | instskip(NEXT) | instid1(SALU_CYCLE_1)
	s_or_b32 exec_lo, exec_lo, s72
	s_mov_b32 s72, exec_lo
	v_cmpx_eq_u32_e64 v5, v11
	s_cbranch_execnz .LBB10_64
	s_branch .LBB10_65
.LBB10_83:                              ;   in Loop: Header=BB10_3 Depth=1
	v_xor_b32_e32 v6, 4, v23
	v_xor_b32_e32 v5, 2, v23
	;; [unrolled: 1-line block ×3, first 2 shown]
	s_and_b32 vcc_lo, exec_lo, s58
	s_cbranch_vccnz .LBB10_86
; %bb.84:                               ;   in Loop: Header=BB10_3 Depth=1
	s_and_not1_b32 vcc_lo, exec_lo, s33
	s_cbranch_vccz .LBB10_103
.LBB10_85:                              ;   in Loop: Header=BB10_3 Depth=1
	s_and_saveexec_b32 s13, s9
	s_cbranch_execnz .LBB10_120
	s_branch .LBB10_131
.LBB10_86:                              ;   in Loop: Header=BB10_3 Depth=1
	v_cmp_gt_i32_e32 vcc_lo, 32, v6
	v_cndmask_b32_e32 v7, v23, v6, vcc_lo
	v_cmp_gt_i32_e32 vcc_lo, 32, v5
	v_cndmask_b32_e32 v8, v23, v5, vcc_lo
	s_delay_alu instid0(VALU_DEP_1) | instskip(NEXT) | instid1(VALU_DEP_4)
	v_lshlrev_b32_e32 v8, 2, v8
	v_lshlrev_b32_e32 v7, 2, v7
	ds_bpermute_b32 v7, v7, v2
	s_waitcnt lgkmcnt(0)
	v_cmp_lt_f32_e32 vcc_lo, v2, v7
	v_cndmask_b32_e32 v2, v2, v7, vcc_lo
	v_cmp_gt_i32_e32 vcc_lo, 32, v3
	ds_bpermute_b32 v7, v8, v2
	v_cndmask_b32_e32 v8, v23, v3, vcc_lo
	s_waitcnt lgkmcnt(0)
	v_cmp_lt_f32_e32 vcc_lo, v2, v7
	s_delay_alu instid0(VALU_DEP_2)
	v_dual_cndmask_b32 v2, v2, v7 :: v_dual_lshlrev_b32 v7, 2, v8
	ds_bpermute_b32 v7, v7, v2
	s_and_saveexec_b32 s12, s2
	s_cbranch_execz .LBB10_88
; %bb.87:                               ;   in Loop: Header=BB10_3 Depth=1
	s_waitcnt lgkmcnt(0)
	v_cmp_lt_f32_e32 vcc_lo, v2, v7
	v_cndmask_b32_e32 v2, v2, v7, vcc_lo
	ds_store_b32 v26, v2
.LBB10_88:                              ;   in Loop: Header=BB10_3 Depth=1
	s_or_b32 exec_lo, exec_lo, s12
	s_waitcnt lgkmcnt(0)
	s_waitcnt_vscnt null, 0x0
	s_barrier
	buffer_gl0_inv
	s_and_saveexec_b32 s12, s3
	s_cbranch_execz .LBB10_90
; %bb.89:                               ;   in Loop: Header=BB10_3 Depth=1
	ds_load_2addr_stride64_b32 v[7:8], v21 offset1:1
	s_waitcnt lgkmcnt(0)
	v_cmp_lt_f32_e32 vcc_lo, v7, v8
	v_cndmask_b32_e32 v2, v7, v8, vcc_lo
	ds_store_b32 v21, v2
.LBB10_90:                              ;   in Loop: Header=BB10_3 Depth=1
	s_or_b32 exec_lo, exec_lo, s12
	s_waitcnt lgkmcnt(0)
	s_barrier
	buffer_gl0_inv
	s_and_saveexec_b32 s12, s4
	s_cbranch_execz .LBB10_92
; %bb.91:                               ;   in Loop: Header=BB10_3 Depth=1
	ds_load_2addr_b32 v[7:8], v21 offset1:32
	s_waitcnt lgkmcnt(0)
	v_cmp_lt_f32_e32 vcc_lo, v7, v8
	v_cndmask_b32_e32 v2, v7, v8, vcc_lo
	ds_store_b32 v21, v2
.LBB10_92:                              ;   in Loop: Header=BB10_3 Depth=1
	s_or_b32 exec_lo, exec_lo, s12
	s_waitcnt lgkmcnt(0)
	s_barrier
	buffer_gl0_inv
	s_and_saveexec_b32 s12, s5
	s_cbranch_execz .LBB10_94
; %bb.93:                               ;   in Loop: Header=BB10_3 Depth=1
	ds_load_2addr_b32 v[7:8], v21 offset1:16
	s_waitcnt lgkmcnt(0)
	v_cmp_lt_f32_e32 vcc_lo, v7, v8
	v_cndmask_b32_e32 v2, v7, v8, vcc_lo
	ds_store_b32 v21, v2
.LBB10_94:                              ;   in Loop: Header=BB10_3 Depth=1
	;; [unrolled: 13-line block ×4, first 2 shown]
	s_or_b32 exec_lo, exec_lo, s12
	s_waitcnt lgkmcnt(0)
	s_barrier
	buffer_gl0_inv
	s_and_saveexec_b32 s12, s8
	s_cbranch_execz .LBB10_100
; %bb.99:                               ;   in Loop: Header=BB10_3 Depth=1
	ds_load_2addr_b32 v[7:8], v21 offset1:2
	s_waitcnt lgkmcnt(0)
	v_cmp_lt_f32_e32 vcc_lo, v7, v8
	v_cndmask_b32_e32 v2, v7, v8, vcc_lo
	ds_store_b32 v21, v2
.LBB10_100:                             ;   in Loop: Header=BB10_3 Depth=1
	s_or_b32 exec_lo, exec_lo, s12
	s_waitcnt lgkmcnt(0)
	s_barrier
	buffer_gl0_inv
	s_and_saveexec_b32 s12, s10
	s_cbranch_execz .LBB10_102
; %bb.101:                              ;   in Loop: Header=BB10_3 Depth=1
	ds_load_b64 v[7:8], v30
	s_waitcnt lgkmcnt(0)
	v_cmp_lt_f32_e32 vcc_lo, v7, v8
	v_cndmask_b32_e32 v2, v7, v8, vcc_lo
	ds_store_b32 v30, v2
.LBB10_102:                             ;   in Loop: Header=BB10_3 Depth=1
	s_or_b32 exec_lo, exec_lo, s12
	s_waitcnt lgkmcnt(0)
	s_barrier
	buffer_gl0_inv
	ds_load_b32 v2, v30
	s_load_b32 s12, s[56:57], 0x0
	s_waitcnt lgkmcnt(0)
	v_div_scale_f32 v7, null, s12, s12, v2
	s_delay_alu instid0(VALU_DEP_1) | instskip(SKIP_2) | instid1(VALU_DEP_1)
	v_rcp_f32_e32 v8, v7
	s_waitcnt_depctr 0xfff
	v_fma_f32 v9, -v7, v8, 1.0
	v_fmac_f32_e32 v8, v9, v8
	v_div_scale_f32 v9, vcc_lo, v2, s12, v2
	s_delay_alu instid0(VALU_DEP_1) | instskip(NEXT) | instid1(VALU_DEP_1)
	v_mul_f32_e32 v10, v9, v8
	v_fma_f32 v11, -v7, v10, v9
	s_delay_alu instid0(VALU_DEP_1) | instskip(NEXT) | instid1(VALU_DEP_1)
	v_fmac_f32_e32 v10, v11, v8
	v_fma_f32 v7, -v7, v10, v9
	s_delay_alu instid0(VALU_DEP_1) | instskip(NEXT) | instid1(VALU_DEP_1)
	v_div_fmas_f32 v7, v7, v8, v10
	v_div_fixup_f32 v2, v7, s12, v2
	s_and_not1_b32 vcc_lo, exec_lo, s33
	s_cbranch_vccnz .LBB10_85
.LBB10_103:                             ;   in Loop: Header=BB10_3 Depth=1
	v_cmp_gt_i32_e32 vcc_lo, 32, v6
	v_cndmask_b32_e32 v6, v23, v6, vcc_lo
	v_cmp_gt_i32_e32 vcc_lo, 32, v5
	v_cndmask_b32_e32 v5, v23, v5, vcc_lo
	s_delay_alu instid0(VALU_DEP_1) | instskip(NEXT) | instid1(VALU_DEP_4)
	v_lshlrev_b32_e32 v5, 2, v5
	v_lshlrev_b32_e32 v6, 2, v6
	ds_bpermute_b32 v6, v6, v1
	s_waitcnt lgkmcnt(0)
	v_cmp_lt_f32_e32 vcc_lo, v1, v6
	v_cndmask_b32_e32 v1, v1, v6, vcc_lo
	v_cmp_gt_i32_e32 vcc_lo, 32, v3
	ds_bpermute_b32 v5, v5, v1
	v_cndmask_b32_e32 v3, v23, v3, vcc_lo
	s_delay_alu instid0(VALU_DEP_1)
	v_lshlrev_b32_e32 v3, 2, v3
	s_waitcnt lgkmcnt(0)
	v_cmp_lt_f32_e32 vcc_lo, v1, v5
	v_cndmask_b32_e32 v1, v1, v5, vcc_lo
	ds_bpermute_b32 v3, v3, v1
	s_and_saveexec_b32 s12, s2
	s_cbranch_execz .LBB10_105
; %bb.104:                              ;   in Loop: Header=BB10_3 Depth=1
	s_waitcnt lgkmcnt(0)
	v_cmp_lt_f32_e32 vcc_lo, v1, v3
	v_cndmask_b32_e32 v1, v1, v3, vcc_lo
	ds_store_b32 v26, v1
.LBB10_105:                             ;   in Loop: Header=BB10_3 Depth=1
	s_or_b32 exec_lo, exec_lo, s12
	s_waitcnt lgkmcnt(0)
	s_waitcnt_vscnt null, 0x0
	s_barrier
	buffer_gl0_inv
	s_and_saveexec_b32 s12, s3
	s_cbranch_execz .LBB10_107
; %bb.106:                              ;   in Loop: Header=BB10_3 Depth=1
	ds_load_2addr_stride64_b32 v[5:6], v21 offset1:1
	s_waitcnt lgkmcnt(0)
	v_cmp_lt_f32_e32 vcc_lo, v5, v6
	v_cndmask_b32_e32 v1, v5, v6, vcc_lo
	ds_store_b32 v21, v1
.LBB10_107:                             ;   in Loop: Header=BB10_3 Depth=1
	s_or_b32 exec_lo, exec_lo, s12
	s_waitcnt lgkmcnt(0)
	s_barrier
	buffer_gl0_inv
	s_and_saveexec_b32 s12, s4
	s_cbranch_execz .LBB10_109
; %bb.108:                              ;   in Loop: Header=BB10_3 Depth=1
	ds_load_2addr_b32 v[5:6], v21 offset1:32
	s_waitcnt lgkmcnt(0)
	v_cmp_lt_f32_e32 vcc_lo, v5, v6
	v_cndmask_b32_e32 v1, v5, v6, vcc_lo
	ds_store_b32 v21, v1
.LBB10_109:                             ;   in Loop: Header=BB10_3 Depth=1
	s_or_b32 exec_lo, exec_lo, s12
	s_waitcnt lgkmcnt(0)
	s_barrier
	buffer_gl0_inv
	s_and_saveexec_b32 s12, s5
	s_cbranch_execz .LBB10_111
; %bb.110:                              ;   in Loop: Header=BB10_3 Depth=1
	ds_load_2addr_b32 v[5:6], v21 offset1:16
	s_waitcnt lgkmcnt(0)
	v_cmp_lt_f32_e32 vcc_lo, v5, v6
	v_cndmask_b32_e32 v1, v5, v6, vcc_lo
	ds_store_b32 v21, v1
.LBB10_111:                             ;   in Loop: Header=BB10_3 Depth=1
	;; [unrolled: 13-line block ×5, first 2 shown]
	s_or_b32 exec_lo, exec_lo, s12
	s_waitcnt lgkmcnt(0)
	s_barrier
	buffer_gl0_inv
	s_and_saveexec_b32 s12, s10
	s_cbranch_execz .LBB10_119
; %bb.118:                              ;   in Loop: Header=BB10_3 Depth=1
	ds_load_b64 v[5:6], v30
	s_waitcnt lgkmcnt(0)
	v_cmp_lt_f32_e32 vcc_lo, v5, v6
	v_cndmask_b32_e32 v1, v5, v6, vcc_lo
	ds_store_b32 v30, v1
.LBB10_119:                             ;   in Loop: Header=BB10_3 Depth=1
	s_or_b32 exec_lo, exec_lo, s12
	s_waitcnt lgkmcnt(0)
	s_barrier
	buffer_gl0_inv
	ds_load_b32 v1, v30
	s_load_b32 s12, s[56:57], 0x0
	s_waitcnt lgkmcnt(0)
	v_div_scale_f32 v3, null, s12, s12, v1
	s_delay_alu instid0(VALU_DEP_1) | instskip(SKIP_2) | instid1(VALU_DEP_1)
	v_rcp_f32_e32 v5, v3
	s_waitcnt_depctr 0xfff
	v_fma_f32 v6, -v3, v5, 1.0
	v_fmac_f32_e32 v5, v6, v5
	v_div_scale_f32 v6, vcc_lo, v1, s12, v1
	s_delay_alu instid0(VALU_DEP_1) | instskip(NEXT) | instid1(VALU_DEP_1)
	v_mul_f32_e32 v7, v6, v5
	v_fma_f32 v8, -v3, v7, v6
	s_delay_alu instid0(VALU_DEP_1) | instskip(NEXT) | instid1(VALU_DEP_1)
	v_fmac_f32_e32 v7, v8, v5
	v_fma_f32 v3, -v3, v7, v6
	s_delay_alu instid0(VALU_DEP_1) | instskip(NEXT) | instid1(VALU_DEP_1)
	v_div_fmas_f32 v3, v3, v5, v7
	v_div_fixup_f32 v1, v3, s12, v1
	s_and_saveexec_b32 s13, s9
	s_cbranch_execz .LBB10_131
.LBB10_120:                             ;   in Loop: Header=BB10_3 Depth=1
	v_mov_b32_e32 v5, v25
	s_mov_b32 s68, 0
	s_branch .LBB10_122
.LBB10_121:                             ;   in Loop: Header=BB10_122 Depth=2
	s_or_b32 exec_lo, exec_lo, s69
	v_add_nc_u32_e32 v5, 0x80, v5
	s_delay_alu instid0(VALU_DEP_1) | instskip(SKIP_1) | instid1(SALU_CYCLE_1)
	v_cmp_le_u32_e32 vcc_lo, s64, v5
	s_or_b32 s68, vcc_lo, s68
	s_and_not1_b32 exec_lo, exec_lo, s68
	s_cbranch_execz .LBB10_131
.LBB10_122:                             ;   Parent Loop BB10_3 Depth=1
                                        ; =>  This Loop Header: Depth=2
                                        ;       Child Loop BB10_125 Depth 3
                                        ;       Child Loop BB10_128 Depth 3
	s_mov_b32 s69, exec_lo
	s_delay_alu instid0(VALU_DEP_1)
	v_cmpx_gt_i32_e64 s53, v5
	s_cbranch_execz .LBB10_121
; %bb.123:                              ;   in Loop: Header=BB10_122 Depth=2
	v_ashrrev_i32_e32 v6, 31, v5
	s_mov_b32 s70, exec_lo
	s_delay_alu instid0(VALU_DEP_1) | instskip(NEXT) | instid1(VALU_DEP_1)
	v_lshlrev_b64 v[6:7], 2, v[5:6]
	v_add_co_u32 v8, vcc_lo, s24, v6
	s_delay_alu instid0(VALU_DEP_2)
	v_add_co_ci_u32_e32 v9, vcc_lo, s25, v7, vcc_lo
	v_add_co_u32 v10, vcc_lo, s26, v6
	v_add_co_ci_u32_e32 v11, vcc_lo, s27, v7, vcc_lo
	global_load_b32 v3, v[8:9], off
	global_load_b32 v9, v[10:11], off
	s_waitcnt vmcnt(1)
	v_add_nc_u32_e32 v8, v28, v3
	s_waitcnt vmcnt(0)
	v_subrev_nc_u32_e32 v3, s62, v9
	s_delay_alu instid0(VALU_DEP_1)
	v_cmpx_lt_i32_e64 v8, v3
	s_cbranch_execz .LBB10_126
; %bb.124:                              ;   in Loop: Header=BB10_122 Depth=2
	v_ashrrev_i32_e32 v9, 31, v8
	s_mov_b32 s71, 0
	s_delay_alu instid0(VALU_DEP_1) | instskip(NEXT) | instid1(VALU_DEP_1)
	v_lshlrev_b64 v[11:12], 2, v[8:9]
	v_add_co_u32 v9, vcc_lo, s54, v11
	s_delay_alu instid0(VALU_DEP_2)
	v_add_co_ci_u32_e32 v10, vcc_lo, s55, v12, vcc_lo
	v_add_co_u32 v11, vcc_lo, s30, v11
	v_add_co_ci_u32_e32 v12, vcc_lo, s31, v12, vcc_lo
.LBB10_125:                             ;   Parent Loop BB10_3 Depth=1
                                        ;     Parent Loop BB10_122 Depth=2
                                        ; =>    This Inner Loop Header: Depth=3
	global_load_b32 v13, v[9:10], off
	v_add_nc_u32_e32 v8, 8, v8
	v_add_co_u32 v9, vcc_lo, v9, 32
	v_add_co_ci_u32_e32 v10, vcc_lo, 0, v10, vcc_lo
	s_delay_alu instid0(VALU_DEP_3) | instskip(SKIP_4) | instid1(VALU_DEP_1)
	v_cmp_ge_i32_e32 vcc_lo, v8, v3
	s_or_b32 s71, vcc_lo, s71
	s_waitcnt vmcnt(0)
	global_store_b32 v[11:12], v13, off
	v_add_co_u32 v11, s12, v11, 32
	v_add_co_ci_u32_e64 v12, s12, 0, v12, s12
	s_and_not1_b32 exec_lo, exec_lo, s71
	s_cbranch_execnz .LBB10_125
.LBB10_126:                             ;   in Loop: Header=BB10_122 Depth=2
	s_or_b32 exec_lo, exec_lo, s70
	v_add_co_u32 v8, vcc_lo, s16, v6
	v_add_co_ci_u32_e32 v9, vcc_lo, s17, v7, vcc_lo
	v_add_co_u32 v10, vcc_lo, s18, v6
	v_add_co_ci_u32_e32 v11, vcc_lo, s19, v7, vcc_lo
	s_mov_b32 s70, exec_lo
	global_load_b32 v3, v[8:9], off
	global_load_b32 v9, v[10:11], off
	s_waitcnt vmcnt(1)
	v_add_nc_u32_e32 v8, v29, v3
	s_waitcnt vmcnt(0)
	v_subrev_nc_u32_e32 v3, s63, v9
	s_delay_alu instid0(VALU_DEP_1)
	v_cmpx_lt_i32_e64 v8, v3
	s_cbranch_execz .LBB10_129
; %bb.127:                              ;   in Loop: Header=BB10_122 Depth=2
	v_ashrrev_i32_e32 v9, 31, v8
	s_mov_b32 s71, 0
	s_delay_alu instid0(VALU_DEP_1) | instskip(NEXT) | instid1(VALU_DEP_1)
	v_lshlrev_b64 v[11:12], 2, v[8:9]
	v_add_co_u32 v9, vcc_lo, s14, v11
	s_delay_alu instid0(VALU_DEP_2)
	v_add_co_ci_u32_e32 v10, vcc_lo, s15, v12, vcc_lo
	v_add_co_u32 v11, vcc_lo, s22, v11
	v_add_co_ci_u32_e32 v12, vcc_lo, s23, v12, vcc_lo
.LBB10_128:                             ;   Parent Loop BB10_3 Depth=1
                                        ;     Parent Loop BB10_122 Depth=2
                                        ; =>    This Inner Loop Header: Depth=3
	global_load_b32 v13, v[9:10], off
	v_add_nc_u32_e32 v8, 8, v8
	v_add_co_u32 v9, vcc_lo, v9, 32
	v_add_co_ci_u32_e32 v10, vcc_lo, 0, v10, vcc_lo
	s_delay_alu instid0(VALU_DEP_3) | instskip(SKIP_4) | instid1(VALU_DEP_1)
	v_cmp_ge_i32_e32 vcc_lo, v8, v3
	s_or_b32 s71, vcc_lo, s71
	s_waitcnt vmcnt(0)
	global_store_b32 v[11:12], v13, off
	v_add_co_u32 v11, s12, v11, 32
	v_add_co_ci_u32_e64 v12, s12, 0, v12, s12
	s_and_not1_b32 exec_lo, exec_lo, s71
	s_cbranch_execnz .LBB10_128
.LBB10_129:                             ;   in Loop: Header=BB10_122 Depth=2
	s_or_b32 exec_lo, exec_lo, s70
	s_delay_alu instid0(SALU_CYCLE_1)
	s_and_b32 exec_lo, exec_lo, s11
	s_cbranch_execz .LBB10_121
; %bb.130:                              ;   in Loop: Header=BB10_122 Depth=2
	v_add_co_u32 v8, vcc_lo, s50, v6
	v_add_co_ci_u32_e32 v9, vcc_lo, s51, v7, vcc_lo
	v_add_co_u32 v6, vcc_lo, s48, v6
	v_add_co_ci_u32_e32 v7, vcc_lo, s49, v7, vcc_lo
	global_load_b32 v3, v[8:9], off
	s_waitcnt vmcnt(0)
	global_store_b32 v[6:7], v3, off
	s_branch .LBB10_121
.LBB10_131:                             ;   in Loop: Header=BB10_3 Depth=1
	s_or_b32 exec_lo, exec_lo, s13
	s_mov_b32 s13, -1
	s_and_b32 vcc_lo, exec_lo, s59
	s_mov_b32 s12, -1
	s_cbranch_vccz .LBB10_141
; %bb.132:                              ;   in Loop: Header=BB10_3 Depth=1
	s_and_b32 vcc_lo, exec_lo, s66
                                        ; implicit-def: $sgpr68
	s_cbranch_vccz .LBB10_138
; %bb.133:                              ;   in Loop: Header=BB10_3 Depth=1
	s_and_b32 vcc_lo, exec_lo, s65
                                        ; implicit-def: $sgpr68
	s_cbranch_vccz .LBB10_135
; %bb.134:                              ;   in Loop: Header=BB10_3 Depth=1
	v_cmp_ge_f32_e32 vcc_lo, s52, v1
	s_mov_b32 s12, 0
	s_and_b32 s68, vcc_lo, exec_lo
.LBB10_135:                             ;   in Loop: Header=BB10_3 Depth=1
	s_and_not1_b32 vcc_lo, exec_lo, s12
	s_cbranch_vccnz .LBB10_137
; %bb.136:                              ;   in Loop: Header=BB10_3 Depth=1
	v_cmp_ge_f32_e32 vcc_lo, s52, v2
	s_and_not1_b32 s12, s68, exec_lo
	s_and_b32 s68, vcc_lo, exec_lo
	s_delay_alu instid0(SALU_CYCLE_1)
	s_or_b32 s68, s12, s68
.LBB10_137:                             ;   in Loop: Header=BB10_3 Depth=1
	s_mov_b32 s12, 0
.LBB10_138:                             ;   in Loop: Header=BB10_3 Depth=1
	s_delay_alu instid0(SALU_CYCLE_1)
	s_and_not1_b32 vcc_lo, exec_lo, s12
	s_cbranch_vccnz .LBB10_140
; %bb.139:                              ;   in Loop: Header=BB10_3 Depth=1
	v_cmp_ge_f32_e32 vcc_lo, s52, v2
	v_cmp_ge_f32_e64 s12, s52, v1
	s_and_not1_b32 s68, s68, exec_lo
	s_delay_alu instid0(VALU_DEP_1) | instskip(NEXT) | instid1(SALU_CYCLE_1)
	s_and_b32 s12, vcc_lo, s12
	s_and_b32 s12, s12, exec_lo
	s_delay_alu instid0(SALU_CYCLE_1)
	s_or_b32 s68, s68, s12
.LBB10_140:                             ;   in Loop: Header=BB10_3 Depth=1
	s_delay_alu instid0(SALU_CYCLE_1)
	s_xor_b32 s12, s68, -1
.LBB10_141:                             ;   in Loop: Header=BB10_3 Depth=1
	v_mov_b32_e32 v3, s67
	s_and_saveexec_b32 s68, s12
	s_cbranch_execz .LBB10_2
; %bb.142:                              ;   in Loop: Header=BB10_3 Depth=1
	s_add_i32 s67, s67, 1
	v_mov_b32_e32 v3, s35
	s_cmp_eq_u32 s67, s35
	s_cselect_b32 s12, -1, 0
	s_delay_alu instid0(SALU_CYCLE_1)
	s_or_not1_b32 s13, s12, exec_lo
	s_branch .LBB10_2
.LBB10_143:
	s_or_b32 exec_lo, exec_lo, s60
.LBB10_144:
	s_delay_alu instid0(SALU_CYCLE_1) | instskip(NEXT) | instid1(SALU_CYCLE_1)
	s_or_b32 exec_lo, exec_lo, s34
	s_and_not1_b32 vcc_lo, exec_lo, s59
	s_cbranch_vccnz .LBB10_165
; %bb.145:
	v_xor_b32_e32 v4, 4, v23
	v_xor_b32_e32 v5, 2, v23
	s_mov_b32 s2, exec_lo
	s_delay_alu instid0(VALU_DEP_2) | instskip(SKIP_1) | instid1(VALU_DEP_3)
	v_cmp_gt_i32_e32 vcc_lo, 32, v4
	v_cndmask_b32_e32 v4, v23, v4, vcc_lo
	v_cmp_gt_i32_e32 vcc_lo, 32, v5
	v_cndmask_b32_e32 v5, v23, v5, vcc_lo
	s_delay_alu instid0(VALU_DEP_1) | instskip(NEXT) | instid1(VALU_DEP_4)
	v_lshlrev_b32_e32 v5, 2, v5
	v_lshlrev_b32_e32 v4, 2, v4
	ds_bpermute_b32 v4, v4, v3
	s_waitcnt lgkmcnt(0)
	v_max_i32_e32 v3, v3, v4
	ds_bpermute_b32 v4, v5, v3
	v_xor_b32_e32 v5, 1, v23
	s_delay_alu instid0(VALU_DEP_1) | instskip(SKIP_3) | instid1(VALU_DEP_2)
	v_cmp_gt_i32_e32 vcc_lo, 32, v5
	v_cndmask_b32_e32 v5, v23, v5, vcc_lo
	s_waitcnt lgkmcnt(0)
	v_max_i32_e32 v3, v3, v4
	v_lshlrev_b32_e32 v4, 2, v5
	ds_bpermute_b32 v4, v4, v3
	v_cmpx_eq_u32_e32 7, v24
	s_cbranch_execz .LBB10_147
; %bb.146:
	v_lshlrev_b32_e32 v5, 2, v22
	s_waitcnt lgkmcnt(0)
	v_max_i32_e32 v3, v3, v4
	ds_store_b32 v5, v3 offset:512
.LBB10_147:
	s_or_b32 exec_lo, exec_lo, s2
	s_delay_alu instid0(SALU_CYCLE_1)
	s_mov_b32 s2, exec_lo
	s_waitcnt lgkmcnt(0)
	s_waitcnt_vscnt null, 0x0
	s_barrier
	buffer_gl0_inv
	v_cmpx_gt_u32_e32 64, v0
	s_cbranch_execz .LBB10_149
; %bb.148:
	ds_load_2addr_stride64_b32 v[3:4], v21 offset0:2 offset1:3
	s_waitcnt lgkmcnt(0)
	v_max_i32_e32 v3, v3, v4
	ds_store_b32 v21, v3 offset:512
.LBB10_149:
	s_or_b32 exec_lo, exec_lo, s2
	s_delay_alu instid0(SALU_CYCLE_1)
	s_mov_b32 s2, exec_lo
	s_waitcnt lgkmcnt(0)
	s_barrier
	buffer_gl0_inv
	v_cmpx_gt_u32_e32 32, v0
	s_cbranch_execz .LBB10_151
; %bb.150:
	ds_load_2addr_b32 v[3:4], v21 offset0:128 offset1:160
	s_waitcnt lgkmcnt(0)
	v_max_i32_e32 v3, v3, v4
	ds_store_b32 v21, v3 offset:512
.LBB10_151:
	s_or_b32 exec_lo, exec_lo, s2
	s_delay_alu instid0(SALU_CYCLE_1)
	s_mov_b32 s2, exec_lo
	s_waitcnt lgkmcnt(0)
	s_barrier
	buffer_gl0_inv
	v_cmpx_gt_u32_e32 16, v0
	s_cbranch_execz .LBB10_153
; %bb.152:
	ds_load_2addr_b32 v[3:4], v21 offset0:128 offset1:144
	s_waitcnt lgkmcnt(0)
	v_max_i32_e32 v3, v3, v4
	ds_store_b32 v21, v3 offset:512
.LBB10_153:
	;; [unrolled: 14-line block ×5, first 2 shown]
	s_or_b32 exec_lo, exec_lo, s2
	v_cmp_eq_u32_e32 vcc_lo, 0, v0
	s_waitcnt lgkmcnt(0)
	s_barrier
	buffer_gl0_inv
	s_and_saveexec_b32 s2, vcc_lo
	s_cbranch_execz .LBB10_161
; %bb.160:
	v_mov_b32_e32 v5, 0
	ds_load_b64 v[3:4], v5 offset:512
	s_waitcnt lgkmcnt(0)
	v_max_i32_e32 v3, v3, v4
	ds_store_b32 v5, v3 offset:512
.LBB10_161:
	s_or_b32 exec_lo, exec_lo, s2
	s_waitcnt lgkmcnt(0)
	s_barrier
	buffer_gl0_inv
	s_and_saveexec_b32 s2, vcc_lo
	s_cbranch_execz .LBB10_164
; %bb.162:
	v_mbcnt_lo_u32_b32 v3, exec_lo, 0
	s_delay_alu instid0(VALU_DEP_1)
	v_cmp_eq_u32_e32 vcc_lo, 0, v3
	s_and_b32 exec_lo, exec_lo, vcc_lo
	s_cbranch_execz .LBB10_164
; %bb.163:
	v_mov_b32_e32 v3, 0
	s_load_b64 s[0:1], s[0:1], 0x8
	ds_load_b32 v4, v3 offset:512
	s_waitcnt lgkmcnt(0)
	v_add_nc_u32_e32 v4, 1, v4
	global_atomic_max_i32 v3, v4, s[0:1]
.LBB10_164:
	s_or_b32 exec_lo, exec_lo, s2
.LBB10_165:
	v_cmp_eq_u32_e32 vcc_lo, 0, v0
	s_mov_b32 s2, 0
	s_and_b32 s0, vcc_lo, s58
	s_delay_alu instid0(SALU_CYCLE_1)
	s_and_saveexec_b32 s3, s0
	s_cbranch_execz .LBB10_170
; %bb.166:
	v_mov_b32_e32 v0, 0
	v_cmp_eq_f32_e64 s0, 0, v2
                                        ; implicit-def: $sgpr4
                                        ; implicit-def: $sgpr5
	global_load_b32 v3, v0, s[44:45] glc
	s_waitcnt vmcnt(0)
	v_cmp_eq_u32_e64 s6, 0x80000000, v3
	s_set_inst_prefetch_distance 0x1
	s_branch .LBB10_168
	.p2align	6
.LBB10_167:                             ;   in Loop: Header=BB10_168 Depth=1
	s_or_b32 exec_lo, exec_lo, s7
	s_delay_alu instid0(SALU_CYCLE_1) | instskip(NEXT) | instid1(SALU_CYCLE_1)
	s_and_b32 s1, exec_lo, s4
	s_or_b32 s2, s1, s2
	s_and_not1_b32 s1, s6, exec_lo
	s_and_b32 s6, s5, exec_lo
	s_delay_alu instid0(SALU_CYCLE_1)
	s_or_b32 s6, s1, s6
	s_and_not1_b32 exec_lo, exec_lo, s2
	s_cbranch_execz .LBB10_170
.LBB10_168:                             ; =>This Inner Loop Header: Depth=1
	v_cmp_lt_f32_e64 s1, v3, v2
	s_delay_alu instid0(VALU_DEP_2) | instskip(SKIP_2) | instid1(VALU_DEP_1)
	s_and_b32 s7, s0, s6
	s_and_not1_b32 s5, s5, exec_lo
	s_or_b32 s4, s4, exec_lo
	s_or_b32 s1, s1, s7
	s_delay_alu instid0(SALU_CYCLE_1)
	s_and_saveexec_b32 s7, s1
	s_cbranch_execz .LBB10_167
; %bb.169:                              ;   in Loop: Header=BB10_168 Depth=1
	global_atomic_cmpswap_b32 v4, v0, v[2:3], s[44:45] glc
	s_and_not1_b32 s5, s5, exec_lo
	s_and_not1_b32 s4, s4, exec_lo
	s_waitcnt vmcnt(0)
	v_cmp_eq_u32_e64 s1, v4, v3
	s_delay_alu instid0(VALU_DEP_1) | instskip(SKIP_1) | instid1(SALU_CYCLE_1)
	v_cndmask_b32_e64 v3, v4, v3, s1
	s_and_b32 s1, s1, exec_lo
	s_or_b32 s4, s4, s1
	s_delay_alu instid0(VALU_DEP_1) | instskip(SKIP_1) | instid1(VALU_DEP_2)
	v_cmp_class_f32_e64 s6, v3, 32
	v_mov_b32_e32 v3, v4
	s_and_b32 s6, s6, exec_lo
	s_delay_alu instid0(SALU_CYCLE_1)
	s_or_b32 s5, s5, s6
                                        ; implicit-def: $sgpr6
	s_branch .LBB10_167
.LBB10_170:
	s_set_inst_prefetch_distance 0x2
	s_or_b32 exec_lo, exec_lo, s3
	s_and_b32 s0, vcc_lo, s33
	s_delay_alu instid0(SALU_CYCLE_1)
	s_and_saveexec_b32 s1, s0
	s_cbranch_execz .LBB10_175
; %bb.171:
	v_mov_b32_e32 v0, 0
	v_cmp_eq_f32_e32 vcc_lo, 0, v1
	s_mov_b32 s1, 0
                                        ; implicit-def: $sgpr2
                                        ; implicit-def: $sgpr3
	global_load_b32 v2, v0, s[46:47] glc
	s_waitcnt vmcnt(0)
	v_cmp_eq_u32_e64 s4, 0x80000000, v2
	s_set_inst_prefetch_distance 0x1
	s_branch .LBB10_173
	.p2align	6
.LBB10_172:                             ;   in Loop: Header=BB10_173 Depth=1
	s_or_b32 exec_lo, exec_lo, s5
	s_delay_alu instid0(SALU_CYCLE_1) | instskip(NEXT) | instid1(SALU_CYCLE_1)
	s_and_b32 s0, exec_lo, s2
	s_or_b32 s1, s0, s1
	s_and_not1_b32 s0, s4, exec_lo
	s_and_b32 s4, s3, exec_lo
	s_delay_alu instid0(SALU_CYCLE_1)
	s_or_b32 s4, s0, s4
	s_and_not1_b32 exec_lo, exec_lo, s1
	s_cbranch_execz .LBB10_175
.LBB10_173:                             ; =>This Inner Loop Header: Depth=1
	v_cmp_lt_f32_e64 s0, v2, v1
	s_delay_alu instid0(VALU_DEP_2) | instskip(SKIP_2) | instid1(VALU_DEP_1)
	s_and_b32 s5, vcc_lo, s4
	s_and_not1_b32 s3, s3, exec_lo
	s_or_b32 s2, s2, exec_lo
	s_or_b32 s0, s0, s5
	s_delay_alu instid0(SALU_CYCLE_1)
	s_and_saveexec_b32 s5, s0
	s_cbranch_execz .LBB10_172
; %bb.174:                              ;   in Loop: Header=BB10_173 Depth=1
	global_atomic_cmpswap_b32 v3, v0, v[1:2], s[46:47] glc
	s_and_not1_b32 s3, s3, exec_lo
	s_and_not1_b32 s2, s2, exec_lo
	s_waitcnt vmcnt(0)
	v_cmp_eq_u32_e64 s0, v3, v2
	s_delay_alu instid0(VALU_DEP_1) | instskip(SKIP_1) | instid1(SALU_CYCLE_1)
	v_cndmask_b32_e64 v2, v3, v2, s0
	s_and_b32 s0, s0, exec_lo
	s_or_b32 s2, s2, s0
	s_delay_alu instid0(VALU_DEP_1) | instskip(SKIP_1) | instid1(VALU_DEP_2)
	v_cmp_class_f32_e64 s4, v2, 32
	v_mov_b32_e32 v2, v3
	s_and_b32 s4, s4, exec_lo
	s_delay_alu instid0(SALU_CYCLE_1)
	s_or_b32 s3, s3, s4
                                        ; implicit-def: $sgpr4
	s_branch .LBB10_172
.LBB10_175:
	s_set_inst_prefetch_distance 0x2
	s_nop 0
	s_sendmsg sendmsg(MSG_DEALLOC_VGPRS)
	s_endpgm
	.section	.rodata,"a",@progbits
	.p2align	6, 0x0
	.amdhsa_kernel _ZN9rocsparseL6kernelILi1024ELi8EfiiEEvbbbT3_PS1_NS_15floating_traitsIT1_E6data_tES1_T2_PKS7_S9_PKS1_PKS4_21rocsparse_index_base_S9_S9_SB_PS4_SF_SE_S9_S9_SB_SF_SF_SE_SF_SF_PS6_SG_PKS6_
		.amdhsa_group_segment_fixed_size 1024
		.amdhsa_private_segment_fixed_size 0
		.amdhsa_kernarg_size 208
		.amdhsa_user_sgpr_count 15
		.amdhsa_user_sgpr_dispatch_ptr 0
		.amdhsa_user_sgpr_queue_ptr 0
		.amdhsa_user_sgpr_kernarg_segment_ptr 1
		.amdhsa_user_sgpr_dispatch_id 0
		.amdhsa_user_sgpr_private_segment_size 0
		.amdhsa_wavefront_size32 1
		.amdhsa_uses_dynamic_stack 0
		.amdhsa_enable_private_segment 0
		.amdhsa_system_sgpr_workgroup_id_x 1
		.amdhsa_system_sgpr_workgroup_id_y 0
		.amdhsa_system_sgpr_workgroup_id_z 0
		.amdhsa_system_sgpr_workgroup_info 0
		.amdhsa_system_vgpr_workitem_id 0
		.amdhsa_next_free_vgpr 46
		.amdhsa_next_free_sgpr 82
		.amdhsa_reserve_vcc 1
		.amdhsa_float_round_mode_32 0
		.amdhsa_float_round_mode_16_64 0
		.amdhsa_float_denorm_mode_32 3
		.amdhsa_float_denorm_mode_16_64 3
		.amdhsa_dx10_clamp 1
		.amdhsa_ieee_mode 1
		.amdhsa_fp16_overflow 0
		.amdhsa_workgroup_processor_mode 1
		.amdhsa_memory_ordered 1
		.amdhsa_forward_progress 0
		.amdhsa_shared_vgpr_count 0
		.amdhsa_exception_fp_ieee_invalid_op 0
		.amdhsa_exception_fp_denorm_src 0
		.amdhsa_exception_fp_ieee_div_zero 0
		.amdhsa_exception_fp_ieee_overflow 0
		.amdhsa_exception_fp_ieee_underflow 0
		.amdhsa_exception_fp_ieee_inexact 0
		.amdhsa_exception_int_div_zero 0
	.end_amdhsa_kernel
	.section	.text._ZN9rocsparseL6kernelILi1024ELi8EfiiEEvbbbT3_PS1_NS_15floating_traitsIT1_E6data_tES1_T2_PKS7_S9_PKS1_PKS4_21rocsparse_index_base_S9_S9_SB_PS4_SF_SE_S9_S9_SB_SF_SF_SE_SF_SF_PS6_SG_PKS6_,"axG",@progbits,_ZN9rocsparseL6kernelILi1024ELi8EfiiEEvbbbT3_PS1_NS_15floating_traitsIT1_E6data_tES1_T2_PKS7_S9_PKS1_PKS4_21rocsparse_index_base_S9_S9_SB_PS4_SF_SE_S9_S9_SB_SF_SF_SE_SF_SF_PS6_SG_PKS6_,comdat
.Lfunc_end10:
	.size	_ZN9rocsparseL6kernelILi1024ELi8EfiiEEvbbbT3_PS1_NS_15floating_traitsIT1_E6data_tES1_T2_PKS7_S9_PKS1_PKS4_21rocsparse_index_base_S9_S9_SB_PS4_SF_SE_S9_S9_SB_SF_SF_SE_SF_SF_PS6_SG_PKS6_, .Lfunc_end10-_ZN9rocsparseL6kernelILi1024ELi8EfiiEEvbbbT3_PS1_NS_15floating_traitsIT1_E6data_tES1_T2_PKS7_S9_PKS1_PKS4_21rocsparse_index_base_S9_S9_SB_PS4_SF_SE_S9_S9_SB_SF_SF_SE_SF_SF_PS6_SG_PKS6_
                                        ; -- End function
	.section	.AMDGPU.csdata,"",@progbits
; Kernel info:
; codeLenInByte = 6208
; NumSgprs: 84
; NumVgprs: 46
; ScratchSize: 0
; MemoryBound: 0
; FloatMode: 240
; IeeeMode: 1
; LDSByteSize: 1024 bytes/workgroup (compile time only)
; SGPRBlocks: 10
; VGPRBlocks: 5
; NumSGPRsForWavesPerEU: 84
; NumVGPRsForWavesPerEU: 46
; Occupancy: 16
; WaveLimiterHint : 1
; COMPUTE_PGM_RSRC2:SCRATCH_EN: 0
; COMPUTE_PGM_RSRC2:USER_SGPR: 15
; COMPUTE_PGM_RSRC2:TRAP_HANDLER: 0
; COMPUTE_PGM_RSRC2:TGID_X_EN: 1
; COMPUTE_PGM_RSRC2:TGID_Y_EN: 0
; COMPUTE_PGM_RSRC2:TGID_Z_EN: 0
; COMPUTE_PGM_RSRC2:TIDIG_COMP_CNT: 0
	.section	.text._ZN9rocsparseL6kernelILi1024ELi16EfiiEEvbbbT3_PS1_NS_15floating_traitsIT1_E6data_tES1_T2_PKS7_S9_PKS1_PKS4_21rocsparse_index_base_S9_S9_SB_PS4_SF_SE_S9_S9_SB_SF_SF_SE_SF_SF_PS6_SG_PKS6_,"axG",@progbits,_ZN9rocsparseL6kernelILi1024ELi16EfiiEEvbbbT3_PS1_NS_15floating_traitsIT1_E6data_tES1_T2_PKS7_S9_PKS1_PKS4_21rocsparse_index_base_S9_S9_SB_PS4_SF_SE_S9_S9_SB_SF_SF_SE_SF_SF_PS6_SG_PKS6_,comdat
	.globl	_ZN9rocsparseL6kernelILi1024ELi16EfiiEEvbbbT3_PS1_NS_15floating_traitsIT1_E6data_tES1_T2_PKS7_S9_PKS1_PKS4_21rocsparse_index_base_S9_S9_SB_PS4_SF_SE_S9_S9_SB_SF_SF_SE_SF_SF_PS6_SG_PKS6_ ; -- Begin function _ZN9rocsparseL6kernelILi1024ELi16EfiiEEvbbbT3_PS1_NS_15floating_traitsIT1_E6data_tES1_T2_PKS7_S9_PKS1_PKS4_21rocsparse_index_base_S9_S9_SB_PS4_SF_SE_S9_S9_SB_SF_SF_SE_SF_SF_PS6_SG_PKS6_
	.p2align	8
	.type	_ZN9rocsparseL6kernelILi1024ELi16EfiiEEvbbbT3_PS1_NS_15floating_traitsIT1_E6data_tES1_T2_PKS7_S9_PKS1_PKS4_21rocsparse_index_base_S9_S9_SB_PS4_SF_SE_S9_S9_SB_SF_SF_SE_SF_SF_PS6_SG_PKS6_,@function
_ZN9rocsparseL6kernelILi1024ELi16EfiiEEvbbbT3_PS1_NS_15floating_traitsIT1_E6data_tES1_T2_PKS7_S9_PKS1_PKS4_21rocsparse_index_base_S9_S9_SB_PS4_SF_SE_S9_S9_SB_SF_SF_SE_SF_SF_PS6_SG_PKS6_: ; @_ZN9rocsparseL6kernelILi1024ELi16EfiiEEvbbbT3_PS1_NS_15floating_traitsIT1_E6data_tES1_T2_PKS7_S9_PKS1_PKS4_21rocsparse_index_base_S9_S9_SB_PS4_SF_SE_S9_S9_SB_SF_SF_SE_SF_SF_PS6_SG_PKS6_
; %bb.0:
	s_clause 0x3
	s_load_b32 s2, s[0:1], 0x0
	s_load_b64 s[12:13], s[0:1], 0x0
	s_load_b64 s[34:35], s[0:1], 0x10
	s_load_b128 s[44:47], s[0:1], 0xb8
	v_lshrrev_b32_e32 v22, 4, v0
	v_dual_mov_b32 v1, 0 :: v_dual_mov_b32 v2, 0
	v_mbcnt_lo_u32_b32 v23, -1, 0
	v_lshlrev_b32_e32 v21, 2, v0
	v_dual_mov_b32 v3, 0 :: v_dual_and_b32 v24, 15, v0
	s_mov_b32 s59, 0
	ds_store_b32 v21, v1
	s_waitcnt lgkmcnt(0)
	s_barrier
	buffer_gl0_inv
	s_bitcmp1_b32 s2, 0
	s_cselect_b32 s57, -1, 0
	s_bitcmp1_b32 s2, 8
	s_cselect_b32 s56, -1, 0
	;; [unrolled: 2-line block ×3, first 2 shown]
	s_lshl_b32 s63, s15, 10
	s_cmp_gt_i32 s13, 0
	v_or_b32_e32 v25, s63, v22
	s_cselect_b32 s2, -1, 0
	s_delay_alu instid0(VALU_DEP_1) | instskip(SKIP_1) | instid1(SALU_CYCLE_1)
	v_cmp_gt_i32_e32 vcc_lo, s35, v25
	s_and_b32 s2, s2, vcc_lo
	s_and_saveexec_b32 s58, s2
	s_cbranch_execz .LBB11_140
; %bb.1:
	s_clause 0x9
	s_load_b32 s60, s[0:1], 0x40
	s_load_b32 s61, s[0:1], 0x70
	;; [unrolled: 1-line block ×3, first 2 shown]
	s_load_b64 s[14:15], s[0:1], 0x98
	s_load_b64 s[52:53], s[0:1], 0x68
	;; [unrolled: 1-line block ×3, first 2 shown]
	s_load_b128 s[48:51], s[0:1], 0xa8
	s_load_b256 s[16:23], s[0:1], 0x78
	s_load_b256 s[24:31], s[0:1], 0x48
	;; [unrolled: 1-line block ×3, first 2 shown]
	s_addk_i32 s63, 0x400
	v_cmp_eq_u32_e64 s2, 15, v24
	v_dual_mov_b32 v1, 0 :: v_dual_lshlrev_b32 v26, 2, v22
	v_cmp_gt_u32_e64 s3, 32, v0
	v_cmp_gt_u32_e64 s4, 16, v0
	;; [unrolled: 1-line block ×5, first 2 shown]
	v_cmp_eq_u32_e64 s8, 0, v0
	v_cmp_gt_u32_e64 s9, s63, v25
	s_waitcnt lgkmcnt(0)
	v_subrev_nc_u32_e32 v27, s60, v24
	v_subrev_nc_u32_e32 v28, s61, v24
	v_subrev_nc_u32_e32 v29, s62, v24
	v_cmp_eq_u32_e64 s10, 0, v24
	v_mov_b32_e32 v4, 0
	v_mov_b32_e32 v30, 0
	;; [unrolled: 1-line block ×3, first 2 shown]
	s_and_b32 s11, s56, s33
	s_xor_b32 s64, s56, -1
	s_xor_b32 s65, s11, -1
	s_mov_b32 s66, 0
	s_branch .LBB11_3
.LBB11_2:                               ;   in Loop: Header=BB11_3 Depth=1
	s_or_b32 exec_lo, exec_lo, s67
	s_delay_alu instid0(SALU_CYCLE_1) | instskip(NEXT) | instid1(SALU_CYCLE_1)
	s_and_b32 s11, exec_lo, s12
	s_or_b32 s59, s11, s59
	s_delay_alu instid0(SALU_CYCLE_1)
	s_and_not1_b32 exec_lo, exec_lo, s59
	s_cbranch_execz .LBB11_139
.LBB11_3:                               ; =>This Loop Header: Depth=1
                                        ;     Child Loop BB11_7 Depth 2
                                        ;       Child Loop BB11_12 Depth 3
                                        ;         Child Loop BB11_16 Depth 4
                                        ;         Child Loop BB11_37 Depth 4
	;; [unrolled: 1-line block ×5, first 2 shown]
                                        ;     Child Loop BB11_118 Depth 2
                                        ;       Child Loop BB11_121 Depth 3
                                        ;       Child Loop BB11_124 Depth 3
	v_cndmask_b32_e64 v2, v2, 0, s56
	v_cndmask_b32_e64 v1, v1, 0, s33
	s_mov_b32 s67, 0
	s_branch .LBB11_7
.LBB11_4:                               ;   in Loop: Header=BB11_7 Depth=2
	s_or_b32 exec_lo, exec_lo, s70
.LBB11_5:                               ;   in Loop: Header=BB11_7 Depth=2
	s_delay_alu instid0(SALU_CYCLE_1)
	s_or_b32 exec_lo, exec_lo, s69
.LBB11_6:                               ;   in Loop: Header=BB11_7 Depth=2
	s_delay_alu instid0(SALU_CYCLE_1) | instskip(SKIP_1) | instid1(SALU_CYCLE_1)
	s_or_b32 exec_lo, exec_lo, s68
	s_add_i32 s67, s67, 1
	s_cmp_eq_u32 s67, 16
	s_cbranch_scc1 .LBB11_83
.LBB11_7:                               ;   Parent Loop BB11_3 Depth=1
                                        ; =>  This Loop Header: Depth=2
                                        ;       Child Loop BB11_12 Depth 3
                                        ;         Child Loop BB11_16 Depth 4
                                        ;         Child Loop BB11_37 Depth 4
	;; [unrolled: 1-line block ×5, first 2 shown]
	v_lshl_add_u32 v5, s67, 6, v25
	s_mov_b32 s68, exec_lo
	s_delay_alu instid0(VALU_DEP_1)
	v_cmpx_gt_i32_e64 s35, v5
	s_cbranch_execz .LBB11_6
; %bb.8:                                ;   in Loop: Header=BB11_7 Depth=2
	v_ashrrev_i32_e32 v6, 31, v5
	s_mov_b32 s69, exec_lo
	s_delay_alu instid0(VALU_DEP_1) | instskip(NEXT) | instid1(VALU_DEP_1)
	v_lshlrev_b64 v[7:8], 2, v[5:6]
	v_add_co_u32 v9, vcc_lo, s36, v7
	s_delay_alu instid0(VALU_DEP_2)
	v_add_co_ci_u32_e32 v10, vcc_lo, s37, v8, vcc_lo
	v_add_co_u32 v11, vcc_lo, s38, v7
	v_add_co_ci_u32_e32 v12, vcc_lo, s39, v8, vcc_lo
	global_load_b32 v3, v[9:10], off
	global_load_b32 v9, v[11:12], off
	s_waitcnt vmcnt(1)
	v_add_nc_u32_e32 v6, v27, v3
	s_waitcnt vmcnt(0)
	v_subrev_nc_u32_e32 v31, s60, v9
	s_delay_alu instid0(VALU_DEP_1)
	v_cmpx_lt_i32_e64 v6, v31
	s_cbranch_execz .LBB11_5
; %bb.9:                                ;   in Loop: Header=BB11_7 Depth=2
	v_add_co_u32 v9, vcc_lo, s24, v7
	v_add_co_ci_u32_e32 v10, vcc_lo, s25, v8, vcc_lo
	v_add_co_u32 v7, vcc_lo, s26, v7
	v_add_co_ci_u32_e32 v8, vcc_lo, s27, v8, vcc_lo
	global_load_b32 v3, v[9:10], off
	s_mov_b32 s70, 0
	global_load_b32 v7, v[7:8], off
	s_waitcnt vmcnt(1)
	v_subrev_nc_u32_e32 v8, s61, v3
	s_waitcnt vmcnt(0)
	v_sub_nc_u32_e32 v32, v7, v3
	s_delay_alu instid0(VALU_DEP_2) | instskip(NEXT) | instid1(VALU_DEP_2)
	v_ashrrev_i32_e32 v9, 31, v8
	v_cmp_lt_i32_e64 s11, 0, v32
	s_delay_alu instid0(VALU_DEP_2) | instskip(NEXT) | instid1(VALU_DEP_1)
	v_lshlrev_b64 v[9:10], 2, v[8:9]
	v_add_co_u32 v33, vcc_lo, s28, v9
	s_delay_alu instid0(VALU_DEP_2)
	v_add_co_ci_u32_e32 v34, vcc_lo, s29, v10, vcc_lo
	v_add_co_u32 v35, vcc_lo, s30, v9
	v_add_co_ci_u32_e32 v36, vcc_lo, s31, v10, vcc_lo
	s_branch .LBB11_12
.LBB11_10:                              ;   in Loop: Header=BB11_12 Depth=3
	s_or_b32 exec_lo, exec_lo, s71
.LBB11_11:                              ;   in Loop: Header=BB11_12 Depth=3
	s_delay_alu instid0(SALU_CYCLE_1) | instskip(SKIP_1) | instid1(VALU_DEP_1)
	s_or_b32 exec_lo, exec_lo, s12
	v_add_nc_u32_e32 v6, 16, v6
	v_cmp_ge_i32_e32 vcc_lo, v6, v31
	s_or_b32 s70, vcc_lo, s70
	s_delay_alu instid0(SALU_CYCLE_1)
	s_and_not1_b32 exec_lo, exec_lo, s70
	s_cbranch_execz .LBB11_4
.LBB11_12:                              ;   Parent Loop BB11_3 Depth=1
                                        ;     Parent Loop BB11_7 Depth=2
                                        ; =>    This Loop Header: Depth=3
                                        ;         Child Loop BB11_16 Depth 4
                                        ;         Child Loop BB11_37 Depth 4
	;; [unrolled: 1-line block ×5, first 2 shown]
	v_ashrrev_i32_e32 v7, 31, v6
	s_delay_alu instid0(VALU_DEP_1) | instskip(SKIP_1) | instid1(VALU_DEP_2)
	v_lshlrev_b64 v[15:16], 2, v[6:7]
	v_mov_b32_e32 v7, 0
	v_add_co_u32 v9, vcc_lo, s40, v15
	s_delay_alu instid0(VALU_DEP_3) | instskip(SKIP_3) | instid1(VALU_DEP_1)
	v_add_co_ci_u32_e32 v10, vcc_lo, s41, v16, vcc_lo
	global_load_b32 v3, v[9:10], off
	s_waitcnt vmcnt(0)
	v_subrev_nc_u32_e32 v11, s60, v3
	v_ashrrev_i32_e32 v12, 31, v11
	s_delay_alu instid0(VALU_DEP_1) | instskip(NEXT) | instid1(VALU_DEP_1)
	v_lshlrev_b64 v[9:10], 2, v[11:12]
	v_add_co_u32 v12, vcc_lo, s16, v9
	s_delay_alu instid0(VALU_DEP_2)
	v_add_co_ci_u32_e32 v13, vcc_lo, s17, v10, vcc_lo
	v_add_co_u32 v17, vcc_lo, s18, v9
	v_add_co_ci_u32_e32 v18, vcc_lo, s19, v10, vcc_lo
	global_load_b32 v3, v[12:13], off
	global_load_b32 v14, v[17:18], off
	v_mov_b32_e32 v13, 0
	s_waitcnt vmcnt(1)
	v_subrev_nc_u32_e32 v12, s62, v3
	s_waitcnt vmcnt(0)
	v_sub_nc_u32_e32 v37, v14, v3
	v_mov_b32_e32 v3, 0
	s_and_saveexec_b32 s71, s11
	s_cbranch_execz .LBB11_20
; %bb.13:                               ;   in Loop: Header=BB11_12 Depth=3
	v_ashrrev_i32_e32 v13, 31, v12
	v_mov_b32_e32 v3, 0
	v_mov_b32_e32 v7, 0
	s_mov_b32 s72, 0
                                        ; implicit-def: $sgpr73
	s_delay_alu instid0(VALU_DEP_3) | instskip(NEXT) | instid1(VALU_DEP_1)
	v_lshlrev_b64 v[13:14], 2, v[12:13]
	v_add_co_u32 v38, vcc_lo, s20, v13
	s_delay_alu instid0(VALU_DEP_2)
	v_add_co_ci_u32_e32 v39, vcc_lo, s21, v14, vcc_lo
	v_add_co_u32 v40, vcc_lo, s22, v13
	v_add_co_ci_u32_e32 v41, vcc_lo, s23, v14, vcc_lo
	v_mov_b32_e32 v13, v3
	s_branch .LBB11_16
.LBB11_14:                              ;   in Loop: Header=BB11_16 Depth=4
	s_or_b32 exec_lo, exec_lo, s12
	v_cmp_le_i32_e32 vcc_lo, v14, v42
	v_cmp_ge_i32_e64 s12, v14, v42
	v_add_co_ci_u32_e32 v3, vcc_lo, 0, v3, vcc_lo
	s_delay_alu instid0(VALU_DEP_2) | instskip(SKIP_1) | instid1(VALU_DEP_2)
	v_add_co_ci_u32_e64 v13, s12, 0, v13, s12
	s_and_not1_b32 s12, s73, exec_lo
	v_cmp_ge_i32_e32 vcc_lo, v3, v32
	s_and_b32 s73, vcc_lo, exec_lo
	s_delay_alu instid0(SALU_CYCLE_1)
	s_or_b32 s73, s12, s73
.LBB11_15:                              ;   in Loop: Header=BB11_16 Depth=4
	s_or_b32 exec_lo, exec_lo, s74
	s_delay_alu instid0(SALU_CYCLE_1) | instskip(NEXT) | instid1(SALU_CYCLE_1)
	s_and_b32 s12, exec_lo, s73
	s_or_b32 s72, s12, s72
	s_delay_alu instid0(SALU_CYCLE_1)
	s_and_not1_b32 exec_lo, exec_lo, s72
	s_cbranch_execz .LBB11_19
.LBB11_16:                              ;   Parent Loop BB11_3 Depth=1
                                        ;     Parent Loop BB11_7 Depth=2
                                        ;       Parent Loop BB11_12 Depth=3
                                        ; =>      This Inner Loop Header: Depth=4
	s_or_b32 s73, s73, exec_lo
	s_mov_b32 s74, exec_lo
	s_delay_alu instid0(VALU_DEP_1)
	v_cmpx_lt_i32_e64 v13, v37
	s_cbranch_execz .LBB11_15
; %bb.17:                               ;   in Loop: Header=BB11_16 Depth=4
	v_mov_b32_e32 v14, v4
	v_lshlrev_b64 v[19:20], 2, v[3:4]
	s_mov_b32 s12, exec_lo
	s_delay_alu instid0(VALU_DEP_2) | instskip(NEXT) | instid1(VALU_DEP_2)
	v_lshlrev_b64 v[17:18], 2, v[13:14]
	v_add_co_u32 v42, vcc_lo, v33, v19
	s_delay_alu instid0(VALU_DEP_3) | instskip(NEXT) | instid1(VALU_DEP_3)
	v_add_co_ci_u32_e32 v43, vcc_lo, v34, v20, vcc_lo
	v_add_co_u32 v44, vcc_lo, v38, v17
	s_delay_alu instid0(VALU_DEP_4)
	v_add_co_ci_u32_e32 v45, vcc_lo, v39, v18, vcc_lo
	global_load_b32 v14, v[42:43], off
	global_load_b32 v42, v[44:45], off
	s_waitcnt vmcnt(1)
	v_subrev_nc_u32_e32 v14, s61, v14
	s_waitcnt vmcnt(0)
	v_subrev_nc_u32_e32 v42, s62, v42
	s_delay_alu instid0(VALU_DEP_1)
	v_cmpx_eq_u32_e64 v14, v42
	s_cbranch_execz .LBB11_14
; %bb.18:                               ;   in Loop: Header=BB11_16 Depth=4
	v_add_co_u32 v19, vcc_lo, v35, v19
	v_add_co_ci_u32_e32 v20, vcc_lo, v36, v20, vcc_lo
	v_add_co_u32 v17, vcc_lo, v40, v17
	v_add_co_ci_u32_e32 v18, vcc_lo, v41, v18, vcc_lo
	global_load_b32 v19, v[19:20], off
	global_load_b32 v17, v[17:18], off
	s_waitcnt vmcnt(0)
	v_fmac_f32_e32 v7, v19, v17
	s_branch .LBB11_14
.LBB11_19:                              ;   in Loop: Header=BB11_12 Depth=3
	s_or_b32 exec_lo, exec_lo, s72
.LBB11_20:                              ;   in Loop: Header=BB11_12 Depth=3
	s_delay_alu instid0(SALU_CYCLE_1)
	s_or_b32 exec_lo, exec_lo, s71
	v_add_co_u32 v14, vcc_lo, s42, v15
	v_add_co_ci_u32_e32 v15, vcc_lo, s43, v16, vcc_lo
	v_cmp_le_i32_e64 s12, v5, v11
	s_mov_b32 s71, exec_lo
	global_load_b32 v16, v[14:15], off
	s_waitcnt vmcnt(0)
	v_sub_f32_e32 v17, v16, v7
	v_cmpx_gt_i32_e64 v5, v11
	s_cbranch_execnz .LBB11_23
; %bb.21:                               ;   in Loop: Header=BB11_12 Depth=3
	s_or_b32 exec_lo, exec_lo, s71
	s_delay_alu instid0(VALU_DEP_2) | instskip(NEXT) | instid1(VALU_DEP_1)
	v_cmp_class_f32_e64 s71, v17, 0x1f8
	s_and_saveexec_b32 s72, s71
	s_cbranch_execnz .LBB11_26
.LBB11_22:                              ;   in Loop: Header=BB11_12 Depth=3
	s_or_b32 exec_lo, exec_lo, s72
	s_and_b32 s71, s71, s33
	s_delay_alu instid0(SALU_CYCLE_1)
	s_and_saveexec_b32 s12, s71
	s_cbranch_execz .LBB11_11
	s_branch .LBB11_61
.LBB11_23:                              ;   in Loop: Header=BB11_12 Depth=3
	v_add_co_u32 v14, vcc_lo, s48, v9
	v_add_co_ci_u32_e32 v15, vcc_lo, s49, v10, vcc_lo
	s_mov_b32 s72, exec_lo
	global_load_b32 v14, v[14:15], off
	v_mov_b32_e32 v15, 0
	s_waitcnt vmcnt(0)
	v_cmpx_lg_f32_e32 0, v14
; %bb.24:                               ;   in Loop: Header=BB11_12 Depth=3
	v_div_scale_f32 v15, null, v14, v14, v17
	s_delay_alu instid0(VALU_DEP_1) | instskip(SKIP_2) | instid1(VALU_DEP_1)
	v_rcp_f32_e32 v18, v15
	s_waitcnt_depctr 0xfff
	v_fma_f32 v19, -v15, v18, 1.0
	v_fmac_f32_e32 v18, v19, v18
	v_div_scale_f32 v19, vcc_lo, v17, v14, v17
	s_delay_alu instid0(VALU_DEP_1) | instskip(NEXT) | instid1(VALU_DEP_1)
	v_mul_f32_e32 v20, v19, v18
	v_fma_f32 v38, -v15, v20, v19
	s_delay_alu instid0(VALU_DEP_1) | instskip(NEXT) | instid1(VALU_DEP_1)
	v_fmac_f32_e32 v20, v38, v18
	v_fma_f32 v15, -v15, v20, v19
	s_delay_alu instid0(VALU_DEP_1) | instskip(NEXT) | instid1(VALU_DEP_1)
	v_div_fmas_f32 v15, v15, v18, v20
	v_div_fixup_f32 v15, v15, v14, v17
; %bb.25:                               ;   in Loop: Header=BB11_12 Depth=3
	s_or_b32 exec_lo, exec_lo, s72
	s_delay_alu instid0(VALU_DEP_1) | instskip(SKIP_1) | instid1(VALU_DEP_1)
	v_mov_b32_e32 v17, v15
	s_or_b32 exec_lo, exec_lo, s71
	v_cmp_class_f32_e64 s71, v17, 0x1f8
	s_delay_alu instid0(VALU_DEP_1)
	s_and_saveexec_b32 s72, s71
	s_cbranch_execz .LBB11_22
.LBB11_26:                              ;   in Loop: Header=BB11_12 Depth=3
	s_and_saveexec_b32 s73, s12
	s_delay_alu instid0(SALU_CYCLE_1)
	s_xor_b32 s12, exec_lo, s73
	s_cbranch_execz .LBB11_47
; %bb.27:                               ;   in Loop: Header=BB11_12 Depth=3
	s_mov_b32 s73, exec_lo
	v_cmpx_ge_i32_e64 v5, v11
	s_xor_b32 s73, exec_lo, s73
	s_cbranch_execz .LBB11_33
; %bb.28:                               ;   in Loop: Header=BB11_12 Depth=3
	v_add_co_u32 v14, vcc_lo, s50, v9
	v_add_co_ci_u32_e32 v15, vcc_lo, s51, v10, vcc_lo
	s_and_not1_b32 vcc_lo, exec_lo, s56
	global_store_b32 v[14:15], v17, off
	s_cbranch_vccnz .LBB11_32
; %bb.29:                               ;   in Loop: Header=BB11_12 Depth=3
	v_add_co_u32 v14, vcc_lo, s48, v9
	v_add_co_ci_u32_e32 v15, vcc_lo, s49, v10, vcc_lo
	global_load_b32 v14, v[14:15], off
	s_waitcnt vmcnt(0)
	v_sub_f32_e32 v14, v14, v17
	s_delay_alu instid0(VALU_DEP_1) | instskip(NEXT) | instid1(VALU_DEP_1)
	v_cmp_class_f32_e64 s75, v14, 0x1f8
	s_and_saveexec_b32 s74, s75
; %bb.30:                               ;   in Loop: Header=BB11_12 Depth=3
	v_cmp_lt_f32_e64 s75, v2, |v14|
	s_delay_alu instid0(VALU_DEP_1)
	v_cndmask_b32_e64 v2, v2, |v14|, s75
; %bb.31:                               ;   in Loop: Header=BB11_12 Depth=3
	s_or_b32 exec_lo, exec_lo, s74
.LBB11_32:                              ;   in Loop: Header=BB11_12 Depth=3
                                        ; implicit-def: $vgpr17
.LBB11_33:                              ;   in Loop: Header=BB11_12 Depth=3
	s_and_not1_saveexec_b32 s73, s73
	s_cbranch_execz .LBB11_46
; %bb.34:                               ;   in Loop: Header=BB11_12 Depth=3
	s_mov_b32 s74, exec_lo
	v_cmpx_lt_i32_e64 v13, v37
	s_cbranch_execz .LBB11_45
; %bb.35:                               ;   in Loop: Header=BB11_12 Depth=3
	v_mov_b32_e32 v18, v13
	s_mov_b32 s75, 0
                                        ; implicit-def: $sgpr76
                                        ; implicit-def: $sgpr78
                                        ; implicit-def: $sgpr77
	s_set_inst_prefetch_distance 0x1
	s_branch .LBB11_37
	.p2align	6
.LBB11_36:                              ;   in Loop: Header=BB11_37 Depth=4
	s_or_b32 exec_lo, exec_lo, s79
	s_delay_alu instid0(SALU_CYCLE_1) | instskip(NEXT) | instid1(SALU_CYCLE_1)
	s_and_b32 s79, exec_lo, s78
	s_or_b32 s75, s79, s75
	s_and_not1_b32 s76, s76, exec_lo
	s_and_b32 s79, s77, exec_lo
	s_delay_alu instid0(SALU_CYCLE_1)
	s_or_b32 s76, s76, s79
	s_and_not1_b32 exec_lo, exec_lo, s75
	s_cbranch_execz .LBB11_39
.LBB11_37:                              ;   Parent Loop BB11_3 Depth=1
                                        ;     Parent Loop BB11_7 Depth=2
                                        ;       Parent Loop BB11_12 Depth=3
                                        ; =>      This Inner Loop Header: Depth=4
	s_delay_alu instid0(VALU_DEP_1) | instskip(SKIP_3) | instid1(VALU_DEP_1)
	v_add_nc_u32_e32 v14, v12, v18
	s_or_b32 s77, s77, exec_lo
	s_or_b32 s78, s78, exec_lo
	s_mov_b32 s79, exec_lo
	v_ashrrev_i32_e32 v15, 31, v14
	s_delay_alu instid0(VALU_DEP_1) | instskip(NEXT) | instid1(VALU_DEP_1)
	v_lshlrev_b64 v[14:15], 2, v[14:15]
	v_add_co_u32 v19, vcc_lo, s20, v14
	s_delay_alu instid0(VALU_DEP_2) | instskip(SKIP_3) | instid1(VALU_DEP_1)
	v_add_co_ci_u32_e32 v20, vcc_lo, s21, v15, vcc_lo
	global_load_b32 v19, v[19:20], off
	s_waitcnt vmcnt(0)
	v_subrev_nc_u32_e32 v19, s62, v19
	v_cmpx_ne_u32_e64 v19, v5
	s_cbranch_execz .LBB11_36
; %bb.38:                               ;   in Loop: Header=BB11_37 Depth=4
	v_add_nc_u32_e32 v18, 1, v18
	s_and_not1_b32 s78, s78, exec_lo
	s_and_not1_b32 s77, s77, exec_lo
	s_delay_alu instid0(VALU_DEP_1) | instskip(SKIP_1) | instid1(SALU_CYCLE_1)
	v_cmp_ge_i32_e32 vcc_lo, v18, v37
	s_and_b32 s80, vcc_lo, exec_lo
	s_or_b32 s78, s78, s80
	s_branch .LBB11_36
.LBB11_39:                              ;   in Loop: Header=BB11_12 Depth=3
	s_set_inst_prefetch_distance 0x2
	s_or_b32 exec_lo, exec_lo, s75
	s_and_saveexec_b32 s75, s76
	s_delay_alu instid0(SALU_CYCLE_1)
	s_xor_b32 s75, exec_lo, s75
	s_cbranch_execz .LBB11_44
; %bb.40:                               ;   in Loop: Header=BB11_12 Depth=3
	v_add_co_u32 v18, vcc_lo, s14, v14
	v_add_co_ci_u32_e32 v19, vcc_lo, s15, v15, vcc_lo
	s_and_not1_b32 vcc_lo, exec_lo, s56
	global_store_b32 v[18:19], v17, off
	s_cbranch_vccnz .LBB11_44
; %bb.41:                               ;   in Loop: Header=BB11_12 Depth=3
	v_add_co_u32 v14, vcc_lo, s22, v14
	v_add_co_ci_u32_e32 v15, vcc_lo, s23, v15, vcc_lo
	global_load_b32 v14, v[14:15], off
	s_waitcnt vmcnt(0)
	v_sub_f32_e32 v14, v14, v17
	s_delay_alu instid0(VALU_DEP_1) | instskip(NEXT) | instid1(VALU_DEP_1)
	v_cmp_class_f32_e64 s77, v14, 0x1f8
	s_and_saveexec_b32 s76, s77
; %bb.42:                               ;   in Loop: Header=BB11_12 Depth=3
	v_cmp_lt_f32_e64 s77, v2, |v14|
	s_delay_alu instid0(VALU_DEP_1)
	v_cndmask_b32_e64 v2, v2, |v14|, s77
; %bb.43:                               ;   in Loop: Header=BB11_12 Depth=3
	s_or_b32 exec_lo, exec_lo, s76
.LBB11_44:                              ;   in Loop: Header=BB11_12 Depth=3
	s_delay_alu instid0(SALU_CYCLE_1)
	s_or_b32 exec_lo, exec_lo, s75
.LBB11_45:                              ;   in Loop: Header=BB11_12 Depth=3
	s_delay_alu instid0(SALU_CYCLE_1)
	s_or_b32 exec_lo, exec_lo, s74
.LBB11_46:                              ;   in Loop: Header=BB11_12 Depth=3
	s_delay_alu instid0(SALU_CYCLE_1)
	s_or_b32 exec_lo, exec_lo, s73
                                        ; implicit-def: $vgpr17
.LBB11_47:                              ;   in Loop: Header=BB11_12 Depth=3
	s_and_not1_saveexec_b32 s12, s12
	s_cbranch_execz .LBB11_60
; %bb.48:                               ;   in Loop: Header=BB11_12 Depth=3
	s_mov_b32 s73, exec_lo
	v_cmpx_lt_i32_e64 v3, v32
	s_cbranch_execz .LBB11_59
; %bb.49:                               ;   in Loop: Header=BB11_12 Depth=3
	v_mov_b32_e32 v18, v3
	s_mov_b32 s74, 0
                                        ; implicit-def: $sgpr75
                                        ; implicit-def: $sgpr77
                                        ; implicit-def: $sgpr76
	s_set_inst_prefetch_distance 0x1
	s_branch .LBB11_51
	.p2align	6
.LBB11_50:                              ;   in Loop: Header=BB11_51 Depth=4
	s_or_b32 exec_lo, exec_lo, s78
	s_delay_alu instid0(SALU_CYCLE_1) | instskip(NEXT) | instid1(SALU_CYCLE_1)
	s_and_b32 s78, exec_lo, s77
	s_or_b32 s74, s78, s74
	s_and_not1_b32 s75, s75, exec_lo
	s_and_b32 s78, s76, exec_lo
	s_delay_alu instid0(SALU_CYCLE_1)
	s_or_b32 s75, s75, s78
	s_and_not1_b32 exec_lo, exec_lo, s74
	s_cbranch_execz .LBB11_53
.LBB11_51:                              ;   Parent Loop BB11_3 Depth=1
                                        ;     Parent Loop BB11_7 Depth=2
                                        ;       Parent Loop BB11_12 Depth=3
                                        ; =>      This Inner Loop Header: Depth=4
	s_delay_alu instid0(VALU_DEP_1) | instskip(SKIP_3) | instid1(VALU_DEP_1)
	v_add_nc_u32_e32 v14, v8, v18
	s_or_b32 s76, s76, exec_lo
	s_or_b32 s77, s77, exec_lo
	s_mov_b32 s78, exec_lo
	v_ashrrev_i32_e32 v15, 31, v14
	s_delay_alu instid0(VALU_DEP_1) | instskip(NEXT) | instid1(VALU_DEP_1)
	v_lshlrev_b64 v[14:15], 2, v[14:15]
	v_add_co_u32 v19, vcc_lo, s28, v14
	s_delay_alu instid0(VALU_DEP_2) | instskip(SKIP_3) | instid1(VALU_DEP_1)
	v_add_co_ci_u32_e32 v20, vcc_lo, s29, v15, vcc_lo
	global_load_b32 v19, v[19:20], off
	s_waitcnt vmcnt(0)
	v_subrev_nc_u32_e32 v19, s61, v19
	v_cmpx_ne_u32_e64 v19, v11
	s_cbranch_execz .LBB11_50
; %bb.52:                               ;   in Loop: Header=BB11_51 Depth=4
	v_add_nc_u32_e32 v18, 1, v18
	s_and_not1_b32 s77, s77, exec_lo
	s_and_not1_b32 s76, s76, exec_lo
	s_delay_alu instid0(VALU_DEP_1) | instskip(SKIP_1) | instid1(SALU_CYCLE_1)
	v_cmp_ge_i32_e32 vcc_lo, v18, v32
	s_and_b32 s79, vcc_lo, exec_lo
	s_or_b32 s77, s77, s79
	s_branch .LBB11_50
.LBB11_53:                              ;   in Loop: Header=BB11_12 Depth=3
	s_set_inst_prefetch_distance 0x2
	s_or_b32 exec_lo, exec_lo, s74
	s_and_saveexec_b32 s74, s75
	s_delay_alu instid0(SALU_CYCLE_1)
	s_xor_b32 s74, exec_lo, s74
	s_cbranch_execz .LBB11_58
; %bb.54:                               ;   in Loop: Header=BB11_12 Depth=3
	v_add_co_u32 v18, vcc_lo, s52, v14
	v_add_co_ci_u32_e32 v19, vcc_lo, s53, v15, vcc_lo
	s_and_not1_b32 vcc_lo, exec_lo, s56
	global_store_b32 v[18:19], v17, off
	s_cbranch_vccnz .LBB11_58
; %bb.55:                               ;   in Loop: Header=BB11_12 Depth=3
	v_add_co_u32 v14, vcc_lo, s30, v14
	v_add_co_ci_u32_e32 v15, vcc_lo, s31, v15, vcc_lo
	global_load_b32 v14, v[14:15], off
	s_waitcnt vmcnt(0)
	v_sub_f32_e32 v14, v14, v17
	s_delay_alu instid0(VALU_DEP_1) | instskip(NEXT) | instid1(VALU_DEP_1)
	v_cmp_class_f32_e64 s76, v14, 0x1f8
	s_and_saveexec_b32 s75, s76
; %bb.56:                               ;   in Loop: Header=BB11_12 Depth=3
	v_cmp_lt_f32_e64 s76, v2, |v14|
	s_delay_alu instid0(VALU_DEP_1)
	v_cndmask_b32_e64 v2, v2, |v14|, s76
; %bb.57:                               ;   in Loop: Header=BB11_12 Depth=3
	s_or_b32 exec_lo, exec_lo, s75
.LBB11_58:                              ;   in Loop: Header=BB11_12 Depth=3
	s_delay_alu instid0(SALU_CYCLE_1)
	s_or_b32 exec_lo, exec_lo, s74
.LBB11_59:                              ;   in Loop: Header=BB11_12 Depth=3
	s_delay_alu instid0(SALU_CYCLE_1)
	s_or_b32 exec_lo, exec_lo, s73
.LBB11_60:                              ;   in Loop: Header=BB11_12 Depth=3
	s_delay_alu instid0(SALU_CYCLE_1) | instskip(NEXT) | instid1(SALU_CYCLE_1)
	s_or_b32 exec_lo, exec_lo, s12
	s_or_b32 exec_lo, exec_lo, s72
	s_and_b32 s71, s71, s33
	s_delay_alu instid0(SALU_CYCLE_1)
	s_and_saveexec_b32 s12, s71
	s_cbranch_execz .LBB11_11
.LBB11_61:                              ;   in Loop: Header=BB11_12 Depth=3
	s_mov_b32 s71, exec_lo
	v_cmpx_ge_i32_e64 v13, v37
	s_xor_b32 s71, exec_lo, s71
	s_cbranch_execnz .LBB11_67
; %bb.62:                               ;   in Loop: Header=BB11_12 Depth=3
	s_and_not1_saveexec_b32 s71, s71
	s_cbranch_execnz .LBB11_76
.LBB11_63:                              ;   in Loop: Header=BB11_12 Depth=3
	s_or_b32 exec_lo, exec_lo, s71
	s_delay_alu instid0(SALU_CYCLE_1)
	s_mov_b32 s71, exec_lo
	v_cmpx_eq_u32_e64 v5, v11
	s_cbranch_execz .LBB11_65
.LBB11_64:                              ;   in Loop: Header=BB11_12 Depth=3
	v_add_co_u32 v9, vcc_lo, s48, v9
	v_add_co_ci_u32_e32 v10, vcc_lo, s49, v10, vcc_lo
	global_load_b32 v3, v[9:10], off
	s_waitcnt vmcnt(0)
	v_add_f32_e32 v7, v7, v3
.LBB11_65:                              ;   in Loop: Header=BB11_12 Depth=3
	s_or_b32 exec_lo, exec_lo, s71
	s_delay_alu instid0(VALU_DEP_1) | instskip(NEXT) | instid1(VALU_DEP_1)
	v_sub_f32_e32 v3, v16, v7
	v_cmp_class_f32_e64 s72, v3, 0x1f8
	s_delay_alu instid0(VALU_DEP_1)
	s_and_saveexec_b32 s71, s72
	s_cbranch_execz .LBB11_10
; %bb.66:                               ;   in Loop: Header=BB11_12 Depth=3
	v_cmp_lt_f32_e64 s72, v1, |v3|
	s_delay_alu instid0(VALU_DEP_1)
	v_cndmask_b32_e64 v1, v1, |v3|, s72
	s_branch .LBB11_10
.LBB11_67:                              ;   in Loop: Header=BB11_12 Depth=3
	s_mov_b32 s72, exec_lo
	v_cmpx_lt_i32_e64 v3, v32
	s_cbranch_execz .LBB11_75
; %bb.68:                               ;   in Loop: Header=BB11_12 Depth=3
	s_mov_b32 s73, 0
                                        ; implicit-def: $sgpr74
                                        ; implicit-def: $sgpr76
                                        ; implicit-def: $sgpr75
	s_set_inst_prefetch_distance 0x1
	s_branch .LBB11_70
	.p2align	6
.LBB11_69:                              ;   in Loop: Header=BB11_70 Depth=4
	s_or_b32 exec_lo, exec_lo, s77
	s_delay_alu instid0(SALU_CYCLE_1) | instskip(NEXT) | instid1(SALU_CYCLE_1)
	s_and_b32 s77, exec_lo, s76
	s_or_b32 s73, s77, s73
	s_and_not1_b32 s74, s74, exec_lo
	s_and_b32 s77, s75, exec_lo
	s_delay_alu instid0(SALU_CYCLE_1)
	s_or_b32 s74, s74, s77
	s_and_not1_b32 exec_lo, exec_lo, s73
	s_cbranch_execz .LBB11_72
.LBB11_70:                              ;   Parent Loop BB11_3 Depth=1
                                        ;     Parent Loop BB11_7 Depth=2
                                        ;       Parent Loop BB11_12 Depth=3
                                        ; =>      This Inner Loop Header: Depth=4
	v_add_nc_u32_e32 v12, v8, v3
	s_or_b32 s75, s75, exec_lo
	s_or_b32 s76, s76, exec_lo
	s_mov_b32 s77, exec_lo
	s_delay_alu instid0(VALU_DEP_1) | instskip(NEXT) | instid1(VALU_DEP_1)
	v_ashrrev_i32_e32 v13, 31, v12
	v_lshlrev_b64 v[12:13], 2, v[12:13]
	s_delay_alu instid0(VALU_DEP_1) | instskip(NEXT) | instid1(VALU_DEP_2)
	v_add_co_u32 v14, vcc_lo, s28, v12
	v_add_co_ci_u32_e32 v15, vcc_lo, s29, v13, vcc_lo
	global_load_b32 v14, v[14:15], off
	s_waitcnt vmcnt(0)
	v_subrev_nc_u32_e32 v14, s61, v14
	s_delay_alu instid0(VALU_DEP_1)
	v_cmpx_ne_u32_e64 v14, v11
	s_cbranch_execz .LBB11_69
; %bb.71:                               ;   in Loop: Header=BB11_70 Depth=4
	v_add_nc_u32_e32 v3, 1, v3
	s_and_not1_b32 s76, s76, exec_lo
	s_and_not1_b32 s75, s75, exec_lo
	s_delay_alu instid0(VALU_DEP_1) | instskip(SKIP_1) | instid1(SALU_CYCLE_1)
	v_cmp_ge_i32_e32 vcc_lo, v3, v32
	s_and_b32 s78, vcc_lo, exec_lo
	s_or_b32 s76, s76, s78
	s_branch .LBB11_69
.LBB11_72:                              ;   in Loop: Header=BB11_12 Depth=3
	s_set_inst_prefetch_distance 0x2
	s_or_b32 exec_lo, exec_lo, s73
	s_and_saveexec_b32 s73, s74
	s_delay_alu instid0(SALU_CYCLE_1)
	s_xor_b32 s73, exec_lo, s73
	s_cbranch_execz .LBB11_74
; %bb.73:                               ;   in Loop: Header=BB11_12 Depth=3
	v_add_co_u32 v12, vcc_lo, s30, v12
	v_add_co_ci_u32_e32 v13, vcc_lo, s31, v13, vcc_lo
	v_add_co_u32 v14, vcc_lo, s48, v9
	v_add_co_ci_u32_e32 v15, vcc_lo, s49, v10, vcc_lo
	global_load_b32 v3, v[12:13], off
	global_load_b32 v12, v[14:15], off
	s_waitcnt vmcnt(0)
	v_fmac_f32_e32 v7, v3, v12
.LBB11_74:                              ;   in Loop: Header=BB11_12 Depth=3
	s_or_b32 exec_lo, exec_lo, s73
.LBB11_75:                              ;   in Loop: Header=BB11_12 Depth=3
	s_delay_alu instid0(SALU_CYCLE_1)
	s_or_b32 exec_lo, exec_lo, s72
                                        ; implicit-def: $vgpr13
                                        ; implicit-def: $vgpr12
                                        ; implicit-def: $vgpr37
	s_and_not1_saveexec_b32 s71, s71
	s_cbranch_execz .LBB11_63
.LBB11_76:                              ;   in Loop: Header=BB11_12 Depth=3
	s_mov_b32 s72, 0
                                        ; implicit-def: $sgpr73
                                        ; implicit-def: $sgpr75
                                        ; implicit-def: $sgpr74
	s_set_inst_prefetch_distance 0x1
	s_branch .LBB11_78
	.p2align	6
.LBB11_77:                              ;   in Loop: Header=BB11_78 Depth=4
	s_or_b32 exec_lo, exec_lo, s76
	s_delay_alu instid0(SALU_CYCLE_1) | instskip(NEXT) | instid1(SALU_CYCLE_1)
	s_and_b32 s76, exec_lo, s75
	s_or_b32 s72, s76, s72
	s_and_not1_b32 s73, s73, exec_lo
	s_and_b32 s76, s74, exec_lo
	s_delay_alu instid0(SALU_CYCLE_1)
	s_or_b32 s73, s73, s76
	s_and_not1_b32 exec_lo, exec_lo, s72
	s_cbranch_execz .LBB11_80
.LBB11_78:                              ;   Parent Loop BB11_3 Depth=1
                                        ;     Parent Loop BB11_7 Depth=2
                                        ;       Parent Loop BB11_12 Depth=3
                                        ; =>      This Inner Loop Header: Depth=4
	v_add_nc_u32_e32 v14, v12, v13
	s_or_b32 s74, s74, exec_lo
	s_or_b32 s75, s75, exec_lo
	s_mov_b32 s76, exec_lo
	s_delay_alu instid0(VALU_DEP_1) | instskip(NEXT) | instid1(VALU_DEP_1)
	v_ashrrev_i32_e32 v15, 31, v14
	v_lshlrev_b64 v[14:15], 2, v[14:15]
	s_delay_alu instid0(VALU_DEP_1) | instskip(NEXT) | instid1(VALU_DEP_2)
	v_add_co_u32 v17, vcc_lo, s20, v14
	v_add_co_ci_u32_e32 v18, vcc_lo, s21, v15, vcc_lo
	global_load_b32 v3, v[17:18], off
	s_waitcnt vmcnt(0)
	v_subrev_nc_u32_e32 v3, s62, v3
	s_delay_alu instid0(VALU_DEP_1)
	v_cmpx_ne_u32_e64 v3, v5
	s_cbranch_execz .LBB11_77
; %bb.79:                               ;   in Loop: Header=BB11_78 Depth=4
	v_add_nc_u32_e32 v13, 1, v13
	s_and_not1_b32 s75, s75, exec_lo
	s_and_not1_b32 s74, s74, exec_lo
	s_delay_alu instid0(VALU_DEP_1) | instskip(SKIP_1) | instid1(SALU_CYCLE_1)
	v_cmp_ge_i32_e32 vcc_lo, v13, v37
	s_and_b32 s77, vcc_lo, exec_lo
	s_or_b32 s75, s75, s77
	s_branch .LBB11_77
.LBB11_80:                              ;   in Loop: Header=BB11_12 Depth=3
	s_set_inst_prefetch_distance 0x2
	s_or_b32 exec_lo, exec_lo, s72
	s_and_saveexec_b32 s72, s73
	s_delay_alu instid0(SALU_CYCLE_1)
	s_xor_b32 s72, exec_lo, s72
	s_cbranch_execz .LBB11_82
; %bb.81:                               ;   in Loop: Header=BB11_12 Depth=3
	v_add_co_u32 v12, vcc_lo, s22, v14
	v_add_co_ci_u32_e32 v13, vcc_lo, s23, v15, vcc_lo
	global_load_b32 v3, v[12:13], off
	s_waitcnt vmcnt(0)
	v_add_f32_e32 v7, v7, v3
.LBB11_82:                              ;   in Loop: Header=BB11_12 Depth=3
	s_or_b32 exec_lo, exec_lo, s72
	s_delay_alu instid0(SALU_CYCLE_1) | instskip(NEXT) | instid1(SALU_CYCLE_1)
	s_or_b32 exec_lo, exec_lo, s71
	s_mov_b32 s71, exec_lo
	v_cmpx_eq_u32_e64 v5, v11
	s_cbranch_execnz .LBB11_64
	s_branch .LBB11_65
.LBB11_83:                              ;   in Loop: Header=BB11_3 Depth=1
	v_xor_b32_e32 v7, 8, v23
	v_xor_b32_e32 v6, 4, v23
	;; [unrolled: 1-line block ×4, first 2 shown]
	s_and_b32 vcc_lo, exec_lo, s56
	s_cbranch_vccnz .LBB11_86
; %bb.84:                               ;   in Loop: Header=BB11_3 Depth=1
	s_and_not1_b32 vcc_lo, exec_lo, s33
	s_cbranch_vccz .LBB11_101
.LBB11_85:                              ;   in Loop: Header=BB11_3 Depth=1
	s_and_saveexec_b32 s12, s9
	s_cbranch_execnz .LBB11_116
	s_branch .LBB11_127
.LBB11_86:                              ;   in Loop: Header=BB11_3 Depth=1
	v_cmp_gt_i32_e32 vcc_lo, 32, v7
	v_cndmask_b32_e32 v8, v23, v7, vcc_lo
	v_cmp_gt_i32_e32 vcc_lo, 32, v6
	v_cndmask_b32_e32 v9, v23, v6, vcc_lo
	s_delay_alu instid0(VALU_DEP_1) | instskip(NEXT) | instid1(VALU_DEP_4)
	v_lshlrev_b32_e32 v9, 2, v9
	v_lshlrev_b32_e32 v8, 2, v8
	ds_bpermute_b32 v8, v8, v2
	s_waitcnt lgkmcnt(0)
	v_cmp_lt_f32_e32 vcc_lo, v2, v8
	v_cndmask_b32_e32 v2, v2, v8, vcc_lo
	v_cmp_gt_i32_e32 vcc_lo, 32, v5
	ds_bpermute_b32 v8, v9, v2
	v_cndmask_b32_e32 v9, v23, v5, vcc_lo
	s_waitcnt lgkmcnt(0)
	v_cmp_lt_f32_e32 vcc_lo, v2, v8
	s_delay_alu instid0(VALU_DEP_2)
	v_dual_cndmask_b32 v2, v2, v8 :: v_dual_lshlrev_b32 v9, 2, v9
	v_cmp_gt_i32_e32 vcc_lo, 32, v3
	ds_bpermute_b32 v8, v9, v2
	v_cndmask_b32_e32 v9, v23, v3, vcc_lo
	s_waitcnt lgkmcnt(0)
	v_cmp_lt_f32_e32 vcc_lo, v2, v8
	v_cndmask_b32_e32 v2, v2, v8, vcc_lo
	s_delay_alu instid0(VALU_DEP_3)
	v_lshlrev_b32_e32 v8, 2, v9
	ds_bpermute_b32 v8, v8, v2
	s_and_saveexec_b32 s11, s2
	s_cbranch_execz .LBB11_88
; %bb.87:                               ;   in Loop: Header=BB11_3 Depth=1
	s_waitcnt lgkmcnt(0)
	v_cmp_lt_f32_e32 vcc_lo, v2, v8
	v_cndmask_b32_e32 v2, v2, v8, vcc_lo
	ds_store_b32 v26, v2
.LBB11_88:                              ;   in Loop: Header=BB11_3 Depth=1
	s_or_b32 exec_lo, exec_lo, s11
	s_waitcnt lgkmcnt(0)
	s_waitcnt_vscnt null, 0x0
	s_barrier
	buffer_gl0_inv
	s_and_saveexec_b32 s11, s3
	s_cbranch_execz .LBB11_90
; %bb.89:                               ;   in Loop: Header=BB11_3 Depth=1
	ds_load_2addr_b32 v[8:9], v21 offset1:32
	s_waitcnt lgkmcnt(0)
	v_cmp_lt_f32_e32 vcc_lo, v8, v9
	v_cndmask_b32_e32 v2, v8, v9, vcc_lo
	ds_store_b32 v21, v2
.LBB11_90:                              ;   in Loop: Header=BB11_3 Depth=1
	s_or_b32 exec_lo, exec_lo, s11
	s_waitcnt lgkmcnt(0)
	s_barrier
	buffer_gl0_inv
	s_and_saveexec_b32 s11, s4
	s_cbranch_execz .LBB11_92
; %bb.91:                               ;   in Loop: Header=BB11_3 Depth=1
	ds_load_2addr_b32 v[8:9], v21 offset1:16
	s_waitcnt lgkmcnt(0)
	v_cmp_lt_f32_e32 vcc_lo, v8, v9
	v_cndmask_b32_e32 v2, v8, v9, vcc_lo
	ds_store_b32 v21, v2
.LBB11_92:                              ;   in Loop: Header=BB11_3 Depth=1
	s_or_b32 exec_lo, exec_lo, s11
	s_waitcnt lgkmcnt(0)
	;; [unrolled: 13-line block ×5, first 2 shown]
	s_barrier
	buffer_gl0_inv
	s_and_saveexec_b32 s11, s8
	s_cbranch_execz .LBB11_100
; %bb.99:                               ;   in Loop: Header=BB11_3 Depth=1
	ds_load_b64 v[8:9], v30
	s_waitcnt lgkmcnt(0)
	v_cmp_lt_f32_e32 vcc_lo, v8, v9
	v_cndmask_b32_e32 v2, v8, v9, vcc_lo
	ds_store_b32 v30, v2
.LBB11_100:                             ;   in Loop: Header=BB11_3 Depth=1
	s_or_b32 exec_lo, exec_lo, s11
	s_waitcnt lgkmcnt(0)
	s_barrier
	buffer_gl0_inv
	ds_load_b32 v2, v30
	s_load_b32 s11, s[54:55], 0x0
	s_waitcnt lgkmcnt(0)
	v_div_scale_f32 v8, null, s11, s11, v2
	s_delay_alu instid0(VALU_DEP_1) | instskip(SKIP_2) | instid1(VALU_DEP_1)
	v_rcp_f32_e32 v9, v8
	s_waitcnt_depctr 0xfff
	v_fma_f32 v10, -v8, v9, 1.0
	v_fmac_f32_e32 v9, v10, v9
	v_div_scale_f32 v10, vcc_lo, v2, s11, v2
	s_delay_alu instid0(VALU_DEP_1) | instskip(NEXT) | instid1(VALU_DEP_1)
	v_mul_f32_e32 v11, v10, v9
	v_fma_f32 v12, -v8, v11, v10
	s_delay_alu instid0(VALU_DEP_1) | instskip(NEXT) | instid1(VALU_DEP_1)
	v_fmac_f32_e32 v11, v12, v9
	v_fma_f32 v8, -v8, v11, v10
	s_delay_alu instid0(VALU_DEP_1) | instskip(NEXT) | instid1(VALU_DEP_1)
	v_div_fmas_f32 v8, v8, v9, v11
	v_div_fixup_f32 v2, v8, s11, v2
	s_and_not1_b32 vcc_lo, exec_lo, s33
	s_cbranch_vccnz .LBB11_85
.LBB11_101:                             ;   in Loop: Header=BB11_3 Depth=1
	v_cmp_gt_i32_e32 vcc_lo, 32, v7
	v_cndmask_b32_e32 v7, v23, v7, vcc_lo
	v_cmp_gt_i32_e32 vcc_lo, 32, v6
	v_cndmask_b32_e32 v6, v23, v6, vcc_lo
	s_delay_alu instid0(VALU_DEP_1) | instskip(NEXT) | instid1(VALU_DEP_4)
	v_lshlrev_b32_e32 v6, 2, v6
	v_lshlrev_b32_e32 v7, 2, v7
	ds_bpermute_b32 v7, v7, v1
	s_waitcnt lgkmcnt(0)
	v_cmp_lt_f32_e32 vcc_lo, v1, v7
	v_cndmask_b32_e32 v1, v1, v7, vcc_lo
	v_cmp_gt_i32_e32 vcc_lo, 32, v5
	ds_bpermute_b32 v6, v6, v1
	v_cndmask_b32_e32 v5, v23, v5, vcc_lo
	s_delay_alu instid0(VALU_DEP_1)
	v_lshlrev_b32_e32 v5, 2, v5
	s_waitcnt lgkmcnt(0)
	v_cmp_lt_f32_e32 vcc_lo, v1, v6
	v_cndmask_b32_e32 v1, v1, v6, vcc_lo
	v_cmp_gt_i32_e32 vcc_lo, 32, v3
	ds_bpermute_b32 v5, v5, v1
	v_cndmask_b32_e32 v3, v23, v3, vcc_lo
	s_delay_alu instid0(VALU_DEP_1)
	v_lshlrev_b32_e32 v3, 2, v3
	s_waitcnt lgkmcnt(0)
	v_cmp_lt_f32_e32 vcc_lo, v1, v5
	v_cndmask_b32_e32 v1, v1, v5, vcc_lo
	ds_bpermute_b32 v3, v3, v1
	s_and_saveexec_b32 s11, s2
	s_cbranch_execz .LBB11_103
; %bb.102:                              ;   in Loop: Header=BB11_3 Depth=1
	s_waitcnt lgkmcnt(0)
	v_cmp_lt_f32_e32 vcc_lo, v1, v3
	v_cndmask_b32_e32 v1, v1, v3, vcc_lo
	ds_store_b32 v26, v1
.LBB11_103:                             ;   in Loop: Header=BB11_3 Depth=1
	s_or_b32 exec_lo, exec_lo, s11
	s_waitcnt lgkmcnt(0)
	s_waitcnt_vscnt null, 0x0
	s_barrier
	buffer_gl0_inv
	s_and_saveexec_b32 s11, s3
	s_cbranch_execz .LBB11_105
; %bb.104:                              ;   in Loop: Header=BB11_3 Depth=1
	ds_load_2addr_b32 v[5:6], v21 offset1:32
	s_waitcnt lgkmcnt(0)
	v_cmp_lt_f32_e32 vcc_lo, v5, v6
	v_cndmask_b32_e32 v1, v5, v6, vcc_lo
	ds_store_b32 v21, v1
.LBB11_105:                             ;   in Loop: Header=BB11_3 Depth=1
	s_or_b32 exec_lo, exec_lo, s11
	s_waitcnt lgkmcnt(0)
	s_barrier
	buffer_gl0_inv
	s_and_saveexec_b32 s11, s4
	s_cbranch_execz .LBB11_107
; %bb.106:                              ;   in Loop: Header=BB11_3 Depth=1
	ds_load_2addr_b32 v[5:6], v21 offset1:16
	s_waitcnt lgkmcnt(0)
	v_cmp_lt_f32_e32 vcc_lo, v5, v6
	v_cndmask_b32_e32 v1, v5, v6, vcc_lo
	ds_store_b32 v21, v1
.LBB11_107:                             ;   in Loop: Header=BB11_3 Depth=1
	s_or_b32 exec_lo, exec_lo, s11
	s_waitcnt lgkmcnt(0)
	;; [unrolled: 13-line block ×5, first 2 shown]
	s_barrier
	buffer_gl0_inv
	s_and_saveexec_b32 s11, s8
	s_cbranch_execz .LBB11_115
; %bb.114:                              ;   in Loop: Header=BB11_3 Depth=1
	ds_load_b64 v[5:6], v30
	s_waitcnt lgkmcnt(0)
	v_cmp_lt_f32_e32 vcc_lo, v5, v6
	v_cndmask_b32_e32 v1, v5, v6, vcc_lo
	ds_store_b32 v30, v1
.LBB11_115:                             ;   in Loop: Header=BB11_3 Depth=1
	s_or_b32 exec_lo, exec_lo, s11
	s_waitcnt lgkmcnt(0)
	s_barrier
	buffer_gl0_inv
	ds_load_b32 v1, v30
	s_load_b32 s11, s[54:55], 0x0
	s_waitcnt lgkmcnt(0)
	v_div_scale_f32 v3, null, s11, s11, v1
	s_delay_alu instid0(VALU_DEP_1) | instskip(SKIP_2) | instid1(VALU_DEP_1)
	v_rcp_f32_e32 v5, v3
	s_waitcnt_depctr 0xfff
	v_fma_f32 v6, -v3, v5, 1.0
	v_fmac_f32_e32 v5, v6, v5
	v_div_scale_f32 v6, vcc_lo, v1, s11, v1
	s_delay_alu instid0(VALU_DEP_1) | instskip(NEXT) | instid1(VALU_DEP_1)
	v_mul_f32_e32 v7, v6, v5
	v_fma_f32 v8, -v3, v7, v6
	s_delay_alu instid0(VALU_DEP_1) | instskip(NEXT) | instid1(VALU_DEP_1)
	v_fmac_f32_e32 v7, v8, v5
	v_fma_f32 v3, -v3, v7, v6
	s_delay_alu instid0(VALU_DEP_1) | instskip(NEXT) | instid1(VALU_DEP_1)
	v_div_fmas_f32 v3, v3, v5, v7
	v_div_fixup_f32 v1, v3, s11, v1
	s_and_saveexec_b32 s12, s9
	s_cbranch_execz .LBB11_127
.LBB11_116:                             ;   in Loop: Header=BB11_3 Depth=1
	v_mov_b32_e32 v5, v25
	s_mov_b32 s67, 0
	s_branch .LBB11_118
.LBB11_117:                             ;   in Loop: Header=BB11_118 Depth=2
	s_or_b32 exec_lo, exec_lo, s68
	v_add_nc_u32_e32 v5, 64, v5
	s_delay_alu instid0(VALU_DEP_1) | instskip(SKIP_1) | instid1(SALU_CYCLE_1)
	v_cmp_le_u32_e32 vcc_lo, s63, v5
	s_or_b32 s67, vcc_lo, s67
	s_and_not1_b32 exec_lo, exec_lo, s67
	s_cbranch_execz .LBB11_127
.LBB11_118:                             ;   Parent Loop BB11_3 Depth=1
                                        ; =>  This Loop Header: Depth=2
                                        ;       Child Loop BB11_121 Depth 3
                                        ;       Child Loop BB11_124 Depth 3
	s_mov_b32 s68, exec_lo
	s_delay_alu instid0(VALU_DEP_1)
	v_cmpx_gt_i32_e64 s35, v5
	s_cbranch_execz .LBB11_117
; %bb.119:                              ;   in Loop: Header=BB11_118 Depth=2
	v_ashrrev_i32_e32 v6, 31, v5
	s_mov_b32 s69, exec_lo
	s_delay_alu instid0(VALU_DEP_1) | instskip(NEXT) | instid1(VALU_DEP_1)
	v_lshlrev_b64 v[6:7], 2, v[5:6]
	v_add_co_u32 v8, vcc_lo, s24, v6
	s_delay_alu instid0(VALU_DEP_2)
	v_add_co_ci_u32_e32 v9, vcc_lo, s25, v7, vcc_lo
	v_add_co_u32 v10, vcc_lo, s26, v6
	v_add_co_ci_u32_e32 v11, vcc_lo, s27, v7, vcc_lo
	global_load_b32 v3, v[8:9], off
	global_load_b32 v9, v[10:11], off
	s_waitcnt vmcnt(1)
	v_add_nc_u32_e32 v8, v28, v3
	s_waitcnt vmcnt(0)
	v_subrev_nc_u32_e32 v3, s61, v9
	s_delay_alu instid0(VALU_DEP_1)
	v_cmpx_lt_i32_e64 v8, v3
	s_cbranch_execz .LBB11_122
; %bb.120:                              ;   in Loop: Header=BB11_118 Depth=2
	v_ashrrev_i32_e32 v9, 31, v8
	s_mov_b32 s70, 0
	s_delay_alu instid0(VALU_DEP_1) | instskip(NEXT) | instid1(VALU_DEP_1)
	v_lshlrev_b64 v[11:12], 2, v[8:9]
	v_add_co_u32 v9, vcc_lo, s52, v11
	s_delay_alu instid0(VALU_DEP_2)
	v_add_co_ci_u32_e32 v10, vcc_lo, s53, v12, vcc_lo
	v_add_co_u32 v11, vcc_lo, s30, v11
	v_add_co_ci_u32_e32 v12, vcc_lo, s31, v12, vcc_lo
.LBB11_121:                             ;   Parent Loop BB11_3 Depth=1
                                        ;     Parent Loop BB11_118 Depth=2
                                        ; =>    This Inner Loop Header: Depth=3
	global_load_b32 v13, v[9:10], off
	v_add_nc_u32_e32 v8, 16, v8
	v_add_co_u32 v9, vcc_lo, v9, 64
	v_add_co_ci_u32_e32 v10, vcc_lo, 0, v10, vcc_lo
	s_delay_alu instid0(VALU_DEP_3) | instskip(SKIP_4) | instid1(VALU_DEP_1)
	v_cmp_ge_i32_e32 vcc_lo, v8, v3
	s_or_b32 s70, vcc_lo, s70
	s_waitcnt vmcnt(0)
	global_store_b32 v[11:12], v13, off
	v_add_co_u32 v11, s11, v11, 64
	v_add_co_ci_u32_e64 v12, s11, 0, v12, s11
	s_and_not1_b32 exec_lo, exec_lo, s70
	s_cbranch_execnz .LBB11_121
.LBB11_122:                             ;   in Loop: Header=BB11_118 Depth=2
	s_or_b32 exec_lo, exec_lo, s69
	v_add_co_u32 v8, vcc_lo, s16, v6
	v_add_co_ci_u32_e32 v9, vcc_lo, s17, v7, vcc_lo
	v_add_co_u32 v10, vcc_lo, s18, v6
	v_add_co_ci_u32_e32 v11, vcc_lo, s19, v7, vcc_lo
	s_mov_b32 s69, exec_lo
	global_load_b32 v3, v[8:9], off
	global_load_b32 v9, v[10:11], off
	s_waitcnt vmcnt(1)
	v_add_nc_u32_e32 v8, v29, v3
	s_waitcnt vmcnt(0)
	v_subrev_nc_u32_e32 v3, s62, v9
	s_delay_alu instid0(VALU_DEP_1)
	v_cmpx_lt_i32_e64 v8, v3
	s_cbranch_execz .LBB11_125
; %bb.123:                              ;   in Loop: Header=BB11_118 Depth=2
	v_ashrrev_i32_e32 v9, 31, v8
	s_mov_b32 s70, 0
	s_delay_alu instid0(VALU_DEP_1) | instskip(NEXT) | instid1(VALU_DEP_1)
	v_lshlrev_b64 v[11:12], 2, v[8:9]
	v_add_co_u32 v9, vcc_lo, s14, v11
	s_delay_alu instid0(VALU_DEP_2)
	v_add_co_ci_u32_e32 v10, vcc_lo, s15, v12, vcc_lo
	v_add_co_u32 v11, vcc_lo, s22, v11
	v_add_co_ci_u32_e32 v12, vcc_lo, s23, v12, vcc_lo
.LBB11_124:                             ;   Parent Loop BB11_3 Depth=1
                                        ;     Parent Loop BB11_118 Depth=2
                                        ; =>    This Inner Loop Header: Depth=3
	global_load_b32 v13, v[9:10], off
	v_add_nc_u32_e32 v8, 16, v8
	v_add_co_u32 v9, vcc_lo, v9, 64
	v_add_co_ci_u32_e32 v10, vcc_lo, 0, v10, vcc_lo
	s_delay_alu instid0(VALU_DEP_3) | instskip(SKIP_4) | instid1(VALU_DEP_1)
	v_cmp_ge_i32_e32 vcc_lo, v8, v3
	s_or_b32 s70, vcc_lo, s70
	s_waitcnt vmcnt(0)
	global_store_b32 v[11:12], v13, off
	v_add_co_u32 v11, s11, v11, 64
	v_add_co_ci_u32_e64 v12, s11, 0, v12, s11
	s_and_not1_b32 exec_lo, exec_lo, s70
	s_cbranch_execnz .LBB11_124
.LBB11_125:                             ;   in Loop: Header=BB11_118 Depth=2
	s_or_b32 exec_lo, exec_lo, s69
	s_delay_alu instid0(SALU_CYCLE_1)
	s_and_b32 exec_lo, exec_lo, s10
	s_cbranch_execz .LBB11_117
; %bb.126:                              ;   in Loop: Header=BB11_118 Depth=2
	v_add_co_u32 v8, vcc_lo, s50, v6
	v_add_co_ci_u32_e32 v9, vcc_lo, s51, v7, vcc_lo
	v_add_co_u32 v6, vcc_lo, s48, v6
	v_add_co_ci_u32_e32 v7, vcc_lo, s49, v7, vcc_lo
	global_load_b32 v3, v[8:9], off
	s_waitcnt vmcnt(0)
	global_store_b32 v[6:7], v3, off
	s_branch .LBB11_117
.LBB11_127:                             ;   in Loop: Header=BB11_3 Depth=1
	s_or_b32 exec_lo, exec_lo, s12
	s_mov_b32 s12, -1
	s_and_b32 vcc_lo, exec_lo, s57
	s_mov_b32 s11, -1
	s_cbranch_vccz .LBB11_137
; %bb.128:                              ;   in Loop: Header=BB11_3 Depth=1
	s_and_b32 vcc_lo, exec_lo, s65
                                        ; implicit-def: $sgpr67
	s_cbranch_vccz .LBB11_134
; %bb.129:                              ;   in Loop: Header=BB11_3 Depth=1
	s_and_b32 vcc_lo, exec_lo, s64
                                        ; implicit-def: $sgpr67
	s_cbranch_vccz .LBB11_131
; %bb.130:                              ;   in Loop: Header=BB11_3 Depth=1
	v_cmp_ge_f32_e32 vcc_lo, s34, v1
	s_mov_b32 s11, 0
	s_and_b32 s67, vcc_lo, exec_lo
.LBB11_131:                             ;   in Loop: Header=BB11_3 Depth=1
	s_and_not1_b32 vcc_lo, exec_lo, s11
	s_cbranch_vccnz .LBB11_133
; %bb.132:                              ;   in Loop: Header=BB11_3 Depth=1
	v_cmp_ge_f32_e32 vcc_lo, s34, v2
	s_and_not1_b32 s11, s67, exec_lo
	s_and_b32 s67, vcc_lo, exec_lo
	s_delay_alu instid0(SALU_CYCLE_1)
	s_or_b32 s67, s11, s67
.LBB11_133:                             ;   in Loop: Header=BB11_3 Depth=1
	s_mov_b32 s11, 0
.LBB11_134:                             ;   in Loop: Header=BB11_3 Depth=1
	s_delay_alu instid0(SALU_CYCLE_1)
	s_and_not1_b32 vcc_lo, exec_lo, s11
	s_cbranch_vccnz .LBB11_136
; %bb.135:                              ;   in Loop: Header=BB11_3 Depth=1
	v_cmp_ge_f32_e32 vcc_lo, s34, v2
	v_cmp_ge_f32_e64 s11, s34, v1
	s_and_not1_b32 s67, s67, exec_lo
	s_delay_alu instid0(VALU_DEP_1) | instskip(NEXT) | instid1(SALU_CYCLE_1)
	s_and_b32 s11, vcc_lo, s11
	s_and_b32 s11, s11, exec_lo
	s_delay_alu instid0(SALU_CYCLE_1)
	s_or_b32 s67, s67, s11
.LBB11_136:                             ;   in Loop: Header=BB11_3 Depth=1
	s_delay_alu instid0(SALU_CYCLE_1)
	s_xor_b32 s11, s67, -1
.LBB11_137:                             ;   in Loop: Header=BB11_3 Depth=1
	v_mov_b32_e32 v3, s66
	s_and_saveexec_b32 s67, s11
	s_cbranch_execz .LBB11_2
; %bb.138:                              ;   in Loop: Header=BB11_3 Depth=1
	s_add_i32 s66, s66, 1
	v_mov_b32_e32 v3, s13
	s_cmp_eq_u32 s66, s13
	s_cselect_b32 s11, -1, 0
	s_delay_alu instid0(SALU_CYCLE_1)
	s_or_not1_b32 s12, s11, exec_lo
	s_branch .LBB11_2
.LBB11_139:
	s_or_b32 exec_lo, exec_lo, s59
.LBB11_140:
	s_delay_alu instid0(SALU_CYCLE_1) | instskip(NEXT) | instid1(SALU_CYCLE_1)
	s_or_b32 exec_lo, exec_lo, s58
	s_and_not1_b32 vcc_lo, exec_lo, s57
	s_cbranch_vccnz .LBB11_159
; %bb.141:
	v_xor_b32_e32 v4, 8, v23
	v_xor_b32_e32 v5, 4, v23
	s_mov_b32 s2, exec_lo
	s_delay_alu instid0(VALU_DEP_2) | instskip(SKIP_1) | instid1(VALU_DEP_3)
	v_cmp_gt_i32_e32 vcc_lo, 32, v4
	v_cndmask_b32_e32 v4, v23, v4, vcc_lo
	v_cmp_gt_i32_e32 vcc_lo, 32, v5
	v_cndmask_b32_e32 v5, v23, v5, vcc_lo
	s_delay_alu instid0(VALU_DEP_1) | instskip(NEXT) | instid1(VALU_DEP_4)
	v_lshlrev_b32_e32 v5, 2, v5
	v_lshlrev_b32_e32 v4, 2, v4
	ds_bpermute_b32 v4, v4, v3
	s_waitcnt lgkmcnt(0)
	v_max_i32_e32 v3, v3, v4
	ds_bpermute_b32 v4, v5, v3
	v_xor_b32_e32 v5, 2, v23
	s_delay_alu instid0(VALU_DEP_1) | instskip(SKIP_1) | instid1(VALU_DEP_1)
	v_cmp_gt_i32_e32 vcc_lo, 32, v5
	v_cndmask_b32_e32 v5, v23, v5, vcc_lo
	v_lshlrev_b32_e32 v5, 2, v5
	s_waitcnt lgkmcnt(0)
	v_max_i32_e32 v3, v3, v4
	ds_bpermute_b32 v4, v5, v3
	v_xor_b32_e32 v5, 1, v23
	s_delay_alu instid0(VALU_DEP_1) | instskip(SKIP_3) | instid1(VALU_DEP_2)
	v_cmp_gt_i32_e32 vcc_lo, 32, v5
	v_cndmask_b32_e32 v5, v23, v5, vcc_lo
	s_waitcnt lgkmcnt(0)
	v_max_i32_e32 v3, v3, v4
	v_lshlrev_b32_e32 v4, 2, v5
	ds_bpermute_b32 v4, v4, v3
	v_cmpx_eq_u32_e32 15, v24
	s_cbranch_execz .LBB11_143
; %bb.142:
	v_lshlrev_b32_e32 v5, 2, v22
	s_waitcnt lgkmcnt(0)
	v_max_i32_e32 v3, v3, v4
	ds_store_b32 v5, v3 offset:256
.LBB11_143:
	s_or_b32 exec_lo, exec_lo, s2
	s_delay_alu instid0(SALU_CYCLE_1)
	s_mov_b32 s2, exec_lo
	s_waitcnt lgkmcnt(0)
	s_waitcnt_vscnt null, 0x0
	s_barrier
	buffer_gl0_inv
	v_cmpx_gt_u32_e32 32, v0
	s_cbranch_execz .LBB11_145
; %bb.144:
	ds_load_2addr_b32 v[3:4], v21 offset0:64 offset1:96
	s_waitcnt lgkmcnt(0)
	v_max_i32_e32 v3, v3, v4
	ds_store_b32 v21, v3 offset:256
.LBB11_145:
	s_or_b32 exec_lo, exec_lo, s2
	s_delay_alu instid0(SALU_CYCLE_1)
	s_mov_b32 s2, exec_lo
	s_waitcnt lgkmcnt(0)
	s_barrier
	buffer_gl0_inv
	v_cmpx_gt_u32_e32 16, v0
	s_cbranch_execz .LBB11_147
; %bb.146:
	ds_load_2addr_b32 v[3:4], v21 offset0:64 offset1:80
	s_waitcnt lgkmcnt(0)
	v_max_i32_e32 v3, v3, v4
	ds_store_b32 v21, v3 offset:256
.LBB11_147:
	s_or_b32 exec_lo, exec_lo, s2
	s_delay_alu instid0(SALU_CYCLE_1)
	s_mov_b32 s2, exec_lo
	s_waitcnt lgkmcnt(0)
	;; [unrolled: 14-line block ×4, first 2 shown]
	s_barrier
	buffer_gl0_inv
	v_cmpx_gt_u32_e32 2, v0
	s_cbranch_execz .LBB11_153
; %bb.152:
	ds_load_2addr_b32 v[3:4], v21 offset0:64 offset1:66
	s_waitcnt lgkmcnt(0)
	v_max_i32_e32 v3, v3, v4
	ds_store_b32 v21, v3 offset:256
.LBB11_153:
	s_or_b32 exec_lo, exec_lo, s2
	v_cmp_eq_u32_e32 vcc_lo, 0, v0
	s_waitcnt lgkmcnt(0)
	s_barrier
	buffer_gl0_inv
	s_and_saveexec_b32 s2, vcc_lo
	s_cbranch_execz .LBB11_155
; %bb.154:
	v_mov_b32_e32 v5, 0
	ds_load_b64 v[3:4], v5 offset:256
	s_waitcnt lgkmcnt(0)
	v_max_i32_e32 v3, v3, v4
	ds_store_b32 v5, v3 offset:256
.LBB11_155:
	s_or_b32 exec_lo, exec_lo, s2
	s_waitcnt lgkmcnt(0)
	s_barrier
	buffer_gl0_inv
	s_and_saveexec_b32 s2, vcc_lo
	s_cbranch_execz .LBB11_158
; %bb.156:
	v_mbcnt_lo_u32_b32 v3, exec_lo, 0
	s_delay_alu instid0(VALU_DEP_1)
	v_cmp_eq_u32_e32 vcc_lo, 0, v3
	s_and_b32 exec_lo, exec_lo, vcc_lo
	s_cbranch_execz .LBB11_158
; %bb.157:
	v_mov_b32_e32 v3, 0
	s_load_b64 s[0:1], s[0:1], 0x8
	ds_load_b32 v4, v3 offset:256
	s_waitcnt lgkmcnt(0)
	v_add_nc_u32_e32 v4, 1, v4
	global_atomic_max_i32 v3, v4, s[0:1]
.LBB11_158:
	s_or_b32 exec_lo, exec_lo, s2
.LBB11_159:
	v_cmp_eq_u32_e32 vcc_lo, 0, v0
	s_mov_b32 s2, 0
	s_and_b32 s0, vcc_lo, s56
	s_delay_alu instid0(SALU_CYCLE_1)
	s_and_saveexec_b32 s3, s0
	s_cbranch_execz .LBB11_164
; %bb.160:
	v_mov_b32_e32 v0, 0
	v_cmp_eq_f32_e64 s0, 0, v2
                                        ; implicit-def: $sgpr4
                                        ; implicit-def: $sgpr5
	global_load_b32 v3, v0, s[44:45] glc
	s_waitcnt vmcnt(0)
	v_cmp_eq_u32_e64 s6, 0x80000000, v3
	s_set_inst_prefetch_distance 0x1
	s_branch .LBB11_162
	.p2align	6
.LBB11_161:                             ;   in Loop: Header=BB11_162 Depth=1
	s_or_b32 exec_lo, exec_lo, s7
	s_delay_alu instid0(SALU_CYCLE_1) | instskip(NEXT) | instid1(SALU_CYCLE_1)
	s_and_b32 s1, exec_lo, s4
	s_or_b32 s2, s1, s2
	s_and_not1_b32 s1, s6, exec_lo
	s_and_b32 s6, s5, exec_lo
	s_delay_alu instid0(SALU_CYCLE_1)
	s_or_b32 s6, s1, s6
	s_and_not1_b32 exec_lo, exec_lo, s2
	s_cbranch_execz .LBB11_164
.LBB11_162:                             ; =>This Inner Loop Header: Depth=1
	v_cmp_lt_f32_e64 s1, v3, v2
	s_delay_alu instid0(VALU_DEP_2) | instskip(SKIP_2) | instid1(VALU_DEP_1)
	s_and_b32 s7, s0, s6
	s_and_not1_b32 s5, s5, exec_lo
	s_or_b32 s4, s4, exec_lo
	s_or_b32 s1, s1, s7
	s_delay_alu instid0(SALU_CYCLE_1)
	s_and_saveexec_b32 s7, s1
	s_cbranch_execz .LBB11_161
; %bb.163:                              ;   in Loop: Header=BB11_162 Depth=1
	global_atomic_cmpswap_b32 v4, v0, v[2:3], s[44:45] glc
	s_and_not1_b32 s5, s5, exec_lo
	s_and_not1_b32 s4, s4, exec_lo
	s_waitcnt vmcnt(0)
	v_cmp_eq_u32_e64 s1, v4, v3
	s_delay_alu instid0(VALU_DEP_1) | instskip(SKIP_1) | instid1(SALU_CYCLE_1)
	v_cndmask_b32_e64 v3, v4, v3, s1
	s_and_b32 s1, s1, exec_lo
	s_or_b32 s4, s4, s1
	s_delay_alu instid0(VALU_DEP_1) | instskip(SKIP_1) | instid1(VALU_DEP_2)
	v_cmp_class_f32_e64 s6, v3, 32
	v_mov_b32_e32 v3, v4
	s_and_b32 s6, s6, exec_lo
	s_delay_alu instid0(SALU_CYCLE_1)
	s_or_b32 s5, s5, s6
                                        ; implicit-def: $sgpr6
	s_branch .LBB11_161
.LBB11_164:
	s_set_inst_prefetch_distance 0x2
	s_or_b32 exec_lo, exec_lo, s3
	s_and_b32 s0, vcc_lo, s33
	s_delay_alu instid0(SALU_CYCLE_1)
	s_and_saveexec_b32 s1, s0
	s_cbranch_execz .LBB11_169
; %bb.165:
	v_mov_b32_e32 v0, 0
	v_cmp_eq_f32_e32 vcc_lo, 0, v1
	s_mov_b32 s1, 0
                                        ; implicit-def: $sgpr2
                                        ; implicit-def: $sgpr3
	global_load_b32 v2, v0, s[46:47] glc
	s_waitcnt vmcnt(0)
	v_cmp_eq_u32_e64 s4, 0x80000000, v2
	s_set_inst_prefetch_distance 0x1
	s_branch .LBB11_167
	.p2align	6
.LBB11_166:                             ;   in Loop: Header=BB11_167 Depth=1
	s_or_b32 exec_lo, exec_lo, s5
	s_delay_alu instid0(SALU_CYCLE_1) | instskip(NEXT) | instid1(SALU_CYCLE_1)
	s_and_b32 s0, exec_lo, s2
	s_or_b32 s1, s0, s1
	s_and_not1_b32 s0, s4, exec_lo
	s_and_b32 s4, s3, exec_lo
	s_delay_alu instid0(SALU_CYCLE_1)
	s_or_b32 s4, s0, s4
	s_and_not1_b32 exec_lo, exec_lo, s1
	s_cbranch_execz .LBB11_169
.LBB11_167:                             ; =>This Inner Loop Header: Depth=1
	v_cmp_lt_f32_e64 s0, v2, v1
	s_delay_alu instid0(VALU_DEP_2) | instskip(SKIP_2) | instid1(VALU_DEP_1)
	s_and_b32 s5, vcc_lo, s4
	s_and_not1_b32 s3, s3, exec_lo
	s_or_b32 s2, s2, exec_lo
	s_or_b32 s0, s0, s5
	s_delay_alu instid0(SALU_CYCLE_1)
	s_and_saveexec_b32 s5, s0
	s_cbranch_execz .LBB11_166
; %bb.168:                              ;   in Loop: Header=BB11_167 Depth=1
	global_atomic_cmpswap_b32 v3, v0, v[1:2], s[46:47] glc
	s_and_not1_b32 s3, s3, exec_lo
	s_and_not1_b32 s2, s2, exec_lo
	s_waitcnt vmcnt(0)
	v_cmp_eq_u32_e64 s0, v3, v2
	s_delay_alu instid0(VALU_DEP_1) | instskip(SKIP_1) | instid1(SALU_CYCLE_1)
	v_cndmask_b32_e64 v2, v3, v2, s0
	s_and_b32 s0, s0, exec_lo
	s_or_b32 s2, s2, s0
	s_delay_alu instid0(VALU_DEP_1) | instskip(SKIP_1) | instid1(VALU_DEP_2)
	v_cmp_class_f32_e64 s4, v2, 32
	v_mov_b32_e32 v2, v3
	s_and_b32 s4, s4, exec_lo
	s_delay_alu instid0(SALU_CYCLE_1)
	s_or_b32 s3, s3, s4
                                        ; implicit-def: $sgpr4
	s_branch .LBB11_166
.LBB11_169:
	s_set_inst_prefetch_distance 0x2
	s_nop 0
	s_sendmsg sendmsg(MSG_DEALLOC_VGPRS)
	s_endpgm
	.section	.rodata,"a",@progbits
	.p2align	6, 0x0
	.amdhsa_kernel _ZN9rocsparseL6kernelILi1024ELi16EfiiEEvbbbT3_PS1_NS_15floating_traitsIT1_E6data_tES1_T2_PKS7_S9_PKS1_PKS4_21rocsparse_index_base_S9_S9_SB_PS4_SF_SE_S9_S9_SB_SF_SF_SE_SF_SF_PS6_SG_PKS6_
		.amdhsa_group_segment_fixed_size 512
		.amdhsa_private_segment_fixed_size 0
		.amdhsa_kernarg_size 208
		.amdhsa_user_sgpr_count 15
		.amdhsa_user_sgpr_dispatch_ptr 0
		.amdhsa_user_sgpr_queue_ptr 0
		.amdhsa_user_sgpr_kernarg_segment_ptr 1
		.amdhsa_user_sgpr_dispatch_id 0
		.amdhsa_user_sgpr_private_segment_size 0
		.amdhsa_wavefront_size32 1
		.amdhsa_uses_dynamic_stack 0
		.amdhsa_enable_private_segment 0
		.amdhsa_system_sgpr_workgroup_id_x 1
		.amdhsa_system_sgpr_workgroup_id_y 0
		.amdhsa_system_sgpr_workgroup_id_z 0
		.amdhsa_system_sgpr_workgroup_info 0
		.amdhsa_system_vgpr_workitem_id 0
		.amdhsa_next_free_vgpr 46
		.amdhsa_next_free_sgpr 81
		.amdhsa_reserve_vcc 1
		.amdhsa_float_round_mode_32 0
		.amdhsa_float_round_mode_16_64 0
		.amdhsa_float_denorm_mode_32 3
		.amdhsa_float_denorm_mode_16_64 3
		.amdhsa_dx10_clamp 1
		.amdhsa_ieee_mode 1
		.amdhsa_fp16_overflow 0
		.amdhsa_workgroup_processor_mode 1
		.amdhsa_memory_ordered 1
		.amdhsa_forward_progress 0
		.amdhsa_shared_vgpr_count 0
		.amdhsa_exception_fp_ieee_invalid_op 0
		.amdhsa_exception_fp_denorm_src 0
		.amdhsa_exception_fp_ieee_div_zero 0
		.amdhsa_exception_fp_ieee_overflow 0
		.amdhsa_exception_fp_ieee_underflow 0
		.amdhsa_exception_fp_ieee_inexact 0
		.amdhsa_exception_int_div_zero 0
	.end_amdhsa_kernel
	.section	.text._ZN9rocsparseL6kernelILi1024ELi16EfiiEEvbbbT3_PS1_NS_15floating_traitsIT1_E6data_tES1_T2_PKS7_S9_PKS1_PKS4_21rocsparse_index_base_S9_S9_SB_PS4_SF_SE_S9_S9_SB_SF_SF_SE_SF_SF_PS6_SG_PKS6_,"axG",@progbits,_ZN9rocsparseL6kernelILi1024ELi16EfiiEEvbbbT3_PS1_NS_15floating_traitsIT1_E6data_tES1_T2_PKS7_S9_PKS1_PKS4_21rocsparse_index_base_S9_S9_SB_PS4_SF_SE_S9_S9_SB_SF_SF_SE_SF_SF_PS6_SG_PKS6_,comdat
.Lfunc_end11:
	.size	_ZN9rocsparseL6kernelILi1024ELi16EfiiEEvbbbT3_PS1_NS_15floating_traitsIT1_E6data_tES1_T2_PKS7_S9_PKS1_PKS4_21rocsparse_index_base_S9_S9_SB_PS4_SF_SE_S9_S9_SB_SF_SF_SE_SF_SF_PS6_SG_PKS6_, .Lfunc_end11-_ZN9rocsparseL6kernelILi1024ELi16EfiiEEvbbbT3_PS1_NS_15floating_traitsIT1_E6data_tES1_T2_PKS7_S9_PKS1_PKS4_21rocsparse_index_base_S9_S9_SB_PS4_SF_SE_S9_S9_SB_SF_SF_SE_SF_SF_PS6_SG_PKS6_
                                        ; -- End function
	.section	.AMDGPU.csdata,"",@progbits
; Kernel info:
; codeLenInByte = 6136
; NumSgprs: 83
; NumVgprs: 46
; ScratchSize: 0
; MemoryBound: 0
; FloatMode: 240
; IeeeMode: 1
; LDSByteSize: 512 bytes/workgroup (compile time only)
; SGPRBlocks: 10
; VGPRBlocks: 5
; NumSGPRsForWavesPerEU: 83
; NumVGPRsForWavesPerEU: 46
; Occupancy: 16
; WaveLimiterHint : 1
; COMPUTE_PGM_RSRC2:SCRATCH_EN: 0
; COMPUTE_PGM_RSRC2:USER_SGPR: 15
; COMPUTE_PGM_RSRC2:TRAP_HANDLER: 0
; COMPUTE_PGM_RSRC2:TGID_X_EN: 1
; COMPUTE_PGM_RSRC2:TGID_Y_EN: 0
; COMPUTE_PGM_RSRC2:TGID_Z_EN: 0
; COMPUTE_PGM_RSRC2:TIDIG_COMP_CNT: 0
	.section	.text._ZN9rocsparseL6kernelILi1024ELi32EfiiEEvbbbT3_PS1_NS_15floating_traitsIT1_E6data_tES1_T2_PKS7_S9_PKS1_PKS4_21rocsparse_index_base_S9_S9_SB_PS4_SF_SE_S9_S9_SB_SF_SF_SE_SF_SF_PS6_SG_PKS6_,"axG",@progbits,_ZN9rocsparseL6kernelILi1024ELi32EfiiEEvbbbT3_PS1_NS_15floating_traitsIT1_E6data_tES1_T2_PKS7_S9_PKS1_PKS4_21rocsparse_index_base_S9_S9_SB_PS4_SF_SE_S9_S9_SB_SF_SF_SE_SF_SF_PS6_SG_PKS6_,comdat
	.globl	_ZN9rocsparseL6kernelILi1024ELi32EfiiEEvbbbT3_PS1_NS_15floating_traitsIT1_E6data_tES1_T2_PKS7_S9_PKS1_PKS4_21rocsparse_index_base_S9_S9_SB_PS4_SF_SE_S9_S9_SB_SF_SF_SE_SF_SF_PS6_SG_PKS6_ ; -- Begin function _ZN9rocsparseL6kernelILi1024ELi32EfiiEEvbbbT3_PS1_NS_15floating_traitsIT1_E6data_tES1_T2_PKS7_S9_PKS1_PKS4_21rocsparse_index_base_S9_S9_SB_PS4_SF_SE_S9_S9_SB_SF_SF_SE_SF_SF_PS6_SG_PKS6_
	.p2align	8
	.type	_ZN9rocsparseL6kernelILi1024ELi32EfiiEEvbbbT3_PS1_NS_15floating_traitsIT1_E6data_tES1_T2_PKS7_S9_PKS1_PKS4_21rocsparse_index_base_S9_S9_SB_PS4_SF_SE_S9_S9_SB_SF_SF_SE_SF_SF_PS6_SG_PKS6_,@function
_ZN9rocsparseL6kernelILi1024ELi32EfiiEEvbbbT3_PS1_NS_15floating_traitsIT1_E6data_tES1_T2_PKS7_S9_PKS1_PKS4_21rocsparse_index_base_S9_S9_SB_PS4_SF_SE_S9_S9_SB_SF_SF_SE_SF_SF_PS6_SG_PKS6_: ; @_ZN9rocsparseL6kernelILi1024ELi32EfiiEEvbbbT3_PS1_NS_15floating_traitsIT1_E6data_tES1_T2_PKS7_S9_PKS1_PKS4_21rocsparse_index_base_S9_S9_SB_PS4_SF_SE_S9_S9_SB_SF_SF_SE_SF_SF_PS6_SG_PKS6_
; %bb.0:
	s_clause 0x3
	s_load_b32 s2, s[0:1], 0x0
	s_load_b64 s[34:35], s[0:1], 0x0
	s_load_b64 s[48:49], s[0:1], 0x10
	s_load_b128 s[28:31], s[0:1], 0xb8
	v_lshrrev_b32_e32 v22, 5, v0
	v_dual_mov_b32 v1, 0 :: v_dual_mov_b32 v2, 0
	v_mbcnt_lo_u32_b32 v23, -1, 0
	v_lshlrev_b32_e32 v21, 2, v0
	v_dual_mov_b32 v3, 0 :: v_dual_and_b32 v24, 31, v0
	s_mov_b32 s58, 0
	ds_store_b32 v21, v1
	s_waitcnt lgkmcnt(0)
	s_barrier
	buffer_gl0_inv
	s_bitcmp1_b32 s2, 0
	s_cselect_b32 s57, -1, 0
	s_bitcmp1_b32 s2, 8
	s_cselect_b32 s56, -1, 0
	s_bitcmp1_b32 s34, 16
	s_cselect_b32 s33, -1, 0
	s_lshl_b32 s62, s15, 10
	s_cmp_gt_i32 s35, 0
	v_or_b32_e32 v25, s62, v22
	s_cselect_b32 s2, -1, 0
	s_delay_alu instid0(VALU_DEP_1) | instskip(SKIP_1) | instid1(SALU_CYCLE_1)
	v_cmp_gt_i32_e32 vcc_lo, s49, v25
	s_and_b32 s2, s2, vcc_lo
	s_and_saveexec_b32 s34, s2
	s_cbranch_execz .LBB12_136
; %bb.1:
	s_clause 0x9
	s_load_b32 s59, s[0:1], 0x40
	s_load_b32 s60, s[0:1], 0x70
	s_load_b32 s61, s[0:1], 0xa0
	s_load_b64 s[50:51], s[0:1], 0x98
	s_load_b64 s[52:53], s[0:1], 0x68
	;; [unrolled: 1-line block ×3, first 2 shown]
	s_load_b128 s[44:47], s[0:1], 0xa8
	s_load_b256 s[12:19], s[0:1], 0x78
	s_load_b256 s[20:27], s[0:1], 0x48
	;; [unrolled: 1-line block ×3, first 2 shown]
	s_addk_i32 s62, 0x400
	v_cmp_eq_u32_e64 s2, 31, v24
	v_dual_mov_b32 v1, 0 :: v_dual_lshlrev_b32 v26, 2, v22
	v_cmp_gt_u32_e64 s3, 16, v0
	v_cmp_gt_u32_e64 s4, 8, v0
	v_cmp_gt_u32_e64 s5, 4, v0
	v_cmp_gt_u32_e64 s6, 2, v0
	v_cmp_eq_u32_e64 s7, 0, v0
	v_cmp_gt_u32_e64 s8, s62, v25
	s_waitcnt lgkmcnt(0)
	v_subrev_nc_u32_e32 v27, s59, v24
	v_subrev_nc_u32_e32 v28, s60, v24
	;; [unrolled: 1-line block ×3, first 2 shown]
	v_cmp_eq_u32_e64 s9, 0, v24
	v_mov_b32_e32 v4, 0
	v_mov_b32_e32 v30, 0
	;; [unrolled: 1-line block ×3, first 2 shown]
	s_and_b32 s10, s56, s33
	s_xor_b32 s63, s56, -1
	s_xor_b32 s64, s10, -1
	s_mov_b32 s65, 0
	s_branch .LBB12_3
.LBB12_2:                               ;   in Loop: Header=BB12_3 Depth=1
	s_or_b32 exec_lo, exec_lo, s66
	s_delay_alu instid0(SALU_CYCLE_1) | instskip(NEXT) | instid1(SALU_CYCLE_1)
	s_and_b32 s10, exec_lo, s11
	s_or_b32 s58, s10, s58
	s_delay_alu instid0(SALU_CYCLE_1)
	s_and_not1_b32 exec_lo, exec_lo, s58
	s_cbranch_execz .LBB12_135
.LBB12_3:                               ; =>This Loop Header: Depth=1
                                        ;     Child Loop BB12_7 Depth 2
                                        ;       Child Loop BB12_12 Depth 3
                                        ;         Child Loop BB12_16 Depth 4
                                        ;         Child Loop BB12_37 Depth 4
	;; [unrolled: 1-line block ×5, first 2 shown]
                                        ;     Child Loop BB12_114 Depth 2
                                        ;       Child Loop BB12_117 Depth 3
                                        ;       Child Loop BB12_120 Depth 3
	v_cndmask_b32_e64 v2, v2, 0, s56
	v_cndmask_b32_e64 v1, v1, 0, s33
	s_mov_b32 s66, 0
	s_branch .LBB12_7
.LBB12_4:                               ;   in Loop: Header=BB12_7 Depth=2
	s_or_b32 exec_lo, exec_lo, s69
.LBB12_5:                               ;   in Loop: Header=BB12_7 Depth=2
	s_delay_alu instid0(SALU_CYCLE_1)
	s_or_b32 exec_lo, exec_lo, s68
.LBB12_6:                               ;   in Loop: Header=BB12_7 Depth=2
	s_delay_alu instid0(SALU_CYCLE_1) | instskip(SKIP_1) | instid1(SALU_CYCLE_1)
	s_or_b32 exec_lo, exec_lo, s67
	s_add_i32 s66, s66, 1
	s_cmp_eq_u32 s66, 32
	s_cbranch_scc1 .LBB12_83
.LBB12_7:                               ;   Parent Loop BB12_3 Depth=1
                                        ; =>  This Loop Header: Depth=2
                                        ;       Child Loop BB12_12 Depth 3
                                        ;         Child Loop BB12_16 Depth 4
                                        ;         Child Loop BB12_37 Depth 4
	;; [unrolled: 1-line block ×5, first 2 shown]
	v_lshl_add_u32 v5, s66, 5, v25
	s_mov_b32 s67, exec_lo
	s_delay_alu instid0(VALU_DEP_1)
	v_cmpx_gt_i32_e64 s49, v5
	s_cbranch_execz .LBB12_6
; %bb.8:                                ;   in Loop: Header=BB12_7 Depth=2
	v_ashrrev_i32_e32 v6, 31, v5
	s_mov_b32 s68, exec_lo
	s_delay_alu instid0(VALU_DEP_1) | instskip(NEXT) | instid1(VALU_DEP_1)
	v_lshlrev_b64 v[7:8], 2, v[5:6]
	v_add_co_u32 v9, vcc_lo, s36, v7
	s_delay_alu instid0(VALU_DEP_2)
	v_add_co_ci_u32_e32 v10, vcc_lo, s37, v8, vcc_lo
	v_add_co_u32 v11, vcc_lo, s38, v7
	v_add_co_ci_u32_e32 v12, vcc_lo, s39, v8, vcc_lo
	global_load_b32 v3, v[9:10], off
	global_load_b32 v9, v[11:12], off
	s_waitcnt vmcnt(1)
	v_add_nc_u32_e32 v6, v27, v3
	s_waitcnt vmcnt(0)
	v_subrev_nc_u32_e32 v31, s59, v9
	s_delay_alu instid0(VALU_DEP_1)
	v_cmpx_lt_i32_e64 v6, v31
	s_cbranch_execz .LBB12_5
; %bb.9:                                ;   in Loop: Header=BB12_7 Depth=2
	v_add_co_u32 v9, vcc_lo, s20, v7
	v_add_co_ci_u32_e32 v10, vcc_lo, s21, v8, vcc_lo
	v_add_co_u32 v7, vcc_lo, s22, v7
	v_add_co_ci_u32_e32 v8, vcc_lo, s23, v8, vcc_lo
	global_load_b32 v3, v[9:10], off
	s_mov_b32 s69, 0
	global_load_b32 v7, v[7:8], off
	s_waitcnt vmcnt(1)
	v_subrev_nc_u32_e32 v8, s60, v3
	s_waitcnt vmcnt(0)
	v_sub_nc_u32_e32 v32, v7, v3
	s_delay_alu instid0(VALU_DEP_2) | instskip(NEXT) | instid1(VALU_DEP_2)
	v_ashrrev_i32_e32 v9, 31, v8
	v_cmp_lt_i32_e64 s10, 0, v32
	s_delay_alu instid0(VALU_DEP_2) | instskip(NEXT) | instid1(VALU_DEP_1)
	v_lshlrev_b64 v[9:10], 2, v[8:9]
	v_add_co_u32 v33, vcc_lo, s24, v9
	s_delay_alu instid0(VALU_DEP_2)
	v_add_co_ci_u32_e32 v34, vcc_lo, s25, v10, vcc_lo
	v_add_co_u32 v35, vcc_lo, s26, v9
	v_add_co_ci_u32_e32 v36, vcc_lo, s27, v10, vcc_lo
	s_branch .LBB12_12
.LBB12_10:                              ;   in Loop: Header=BB12_12 Depth=3
	s_or_b32 exec_lo, exec_lo, s70
.LBB12_11:                              ;   in Loop: Header=BB12_12 Depth=3
	s_delay_alu instid0(SALU_CYCLE_1) | instskip(SKIP_1) | instid1(VALU_DEP_1)
	s_or_b32 exec_lo, exec_lo, s11
	v_add_nc_u32_e32 v6, 32, v6
	v_cmp_ge_i32_e32 vcc_lo, v6, v31
	s_or_b32 s69, vcc_lo, s69
	s_delay_alu instid0(SALU_CYCLE_1)
	s_and_not1_b32 exec_lo, exec_lo, s69
	s_cbranch_execz .LBB12_4
.LBB12_12:                              ;   Parent Loop BB12_3 Depth=1
                                        ;     Parent Loop BB12_7 Depth=2
                                        ; =>    This Loop Header: Depth=3
                                        ;         Child Loop BB12_16 Depth 4
                                        ;         Child Loop BB12_37 Depth 4
                                        ;         Child Loop BB12_51 Depth 4
                                        ;         Child Loop BB12_70 Depth 4
                                        ;         Child Loop BB12_78 Depth 4
	v_ashrrev_i32_e32 v7, 31, v6
	s_delay_alu instid0(VALU_DEP_1) | instskip(SKIP_1) | instid1(VALU_DEP_2)
	v_lshlrev_b64 v[15:16], 2, v[6:7]
	v_mov_b32_e32 v7, 0
	v_add_co_u32 v9, vcc_lo, s40, v15
	s_delay_alu instid0(VALU_DEP_3) | instskip(SKIP_3) | instid1(VALU_DEP_1)
	v_add_co_ci_u32_e32 v10, vcc_lo, s41, v16, vcc_lo
	global_load_b32 v3, v[9:10], off
	s_waitcnt vmcnt(0)
	v_subrev_nc_u32_e32 v11, s59, v3
	v_ashrrev_i32_e32 v12, 31, v11
	s_delay_alu instid0(VALU_DEP_1) | instskip(NEXT) | instid1(VALU_DEP_1)
	v_lshlrev_b64 v[9:10], 2, v[11:12]
	v_add_co_u32 v12, vcc_lo, s12, v9
	s_delay_alu instid0(VALU_DEP_2)
	v_add_co_ci_u32_e32 v13, vcc_lo, s13, v10, vcc_lo
	v_add_co_u32 v17, vcc_lo, s14, v9
	v_add_co_ci_u32_e32 v18, vcc_lo, s15, v10, vcc_lo
	global_load_b32 v3, v[12:13], off
	global_load_b32 v14, v[17:18], off
	v_mov_b32_e32 v13, 0
	s_waitcnt vmcnt(1)
	v_subrev_nc_u32_e32 v12, s61, v3
	s_waitcnt vmcnt(0)
	v_sub_nc_u32_e32 v37, v14, v3
	v_mov_b32_e32 v3, 0
	s_and_saveexec_b32 s70, s10
	s_cbranch_execz .LBB12_20
; %bb.13:                               ;   in Loop: Header=BB12_12 Depth=3
	v_ashrrev_i32_e32 v13, 31, v12
	v_mov_b32_e32 v3, 0
	v_mov_b32_e32 v7, 0
	s_mov_b32 s71, 0
                                        ; implicit-def: $sgpr72
	s_delay_alu instid0(VALU_DEP_3) | instskip(NEXT) | instid1(VALU_DEP_1)
	v_lshlrev_b64 v[13:14], 2, v[12:13]
	v_add_co_u32 v38, vcc_lo, s16, v13
	s_delay_alu instid0(VALU_DEP_2)
	v_add_co_ci_u32_e32 v39, vcc_lo, s17, v14, vcc_lo
	v_add_co_u32 v40, vcc_lo, s18, v13
	v_add_co_ci_u32_e32 v41, vcc_lo, s19, v14, vcc_lo
	v_mov_b32_e32 v13, v3
	s_branch .LBB12_16
.LBB12_14:                              ;   in Loop: Header=BB12_16 Depth=4
	s_or_b32 exec_lo, exec_lo, s11
	v_cmp_le_i32_e32 vcc_lo, v14, v42
	v_cmp_ge_i32_e64 s11, v14, v42
	v_add_co_ci_u32_e32 v3, vcc_lo, 0, v3, vcc_lo
	s_delay_alu instid0(VALU_DEP_2) | instskip(SKIP_1) | instid1(VALU_DEP_2)
	v_add_co_ci_u32_e64 v13, s11, 0, v13, s11
	s_and_not1_b32 s11, s72, exec_lo
	v_cmp_ge_i32_e32 vcc_lo, v3, v32
	s_and_b32 s72, vcc_lo, exec_lo
	s_delay_alu instid0(SALU_CYCLE_1)
	s_or_b32 s72, s11, s72
.LBB12_15:                              ;   in Loop: Header=BB12_16 Depth=4
	s_or_b32 exec_lo, exec_lo, s73
	s_delay_alu instid0(SALU_CYCLE_1) | instskip(NEXT) | instid1(SALU_CYCLE_1)
	s_and_b32 s11, exec_lo, s72
	s_or_b32 s71, s11, s71
	s_delay_alu instid0(SALU_CYCLE_1)
	s_and_not1_b32 exec_lo, exec_lo, s71
	s_cbranch_execz .LBB12_19
.LBB12_16:                              ;   Parent Loop BB12_3 Depth=1
                                        ;     Parent Loop BB12_7 Depth=2
                                        ;       Parent Loop BB12_12 Depth=3
                                        ; =>      This Inner Loop Header: Depth=4
	s_or_b32 s72, s72, exec_lo
	s_mov_b32 s73, exec_lo
	s_delay_alu instid0(VALU_DEP_1)
	v_cmpx_lt_i32_e64 v13, v37
	s_cbranch_execz .LBB12_15
; %bb.17:                               ;   in Loop: Header=BB12_16 Depth=4
	v_mov_b32_e32 v14, v4
	v_lshlrev_b64 v[19:20], 2, v[3:4]
	s_mov_b32 s11, exec_lo
	s_delay_alu instid0(VALU_DEP_2) | instskip(NEXT) | instid1(VALU_DEP_2)
	v_lshlrev_b64 v[17:18], 2, v[13:14]
	v_add_co_u32 v42, vcc_lo, v33, v19
	s_delay_alu instid0(VALU_DEP_3) | instskip(NEXT) | instid1(VALU_DEP_3)
	v_add_co_ci_u32_e32 v43, vcc_lo, v34, v20, vcc_lo
	v_add_co_u32 v44, vcc_lo, v38, v17
	s_delay_alu instid0(VALU_DEP_4)
	v_add_co_ci_u32_e32 v45, vcc_lo, v39, v18, vcc_lo
	global_load_b32 v14, v[42:43], off
	global_load_b32 v42, v[44:45], off
	s_waitcnt vmcnt(1)
	v_subrev_nc_u32_e32 v14, s60, v14
	s_waitcnt vmcnt(0)
	v_subrev_nc_u32_e32 v42, s61, v42
	s_delay_alu instid0(VALU_DEP_1)
	v_cmpx_eq_u32_e64 v14, v42
	s_cbranch_execz .LBB12_14
; %bb.18:                               ;   in Loop: Header=BB12_16 Depth=4
	v_add_co_u32 v19, vcc_lo, v35, v19
	v_add_co_ci_u32_e32 v20, vcc_lo, v36, v20, vcc_lo
	v_add_co_u32 v17, vcc_lo, v40, v17
	v_add_co_ci_u32_e32 v18, vcc_lo, v41, v18, vcc_lo
	global_load_b32 v19, v[19:20], off
	global_load_b32 v17, v[17:18], off
	s_waitcnt vmcnt(0)
	v_fmac_f32_e32 v7, v19, v17
	s_branch .LBB12_14
.LBB12_19:                              ;   in Loop: Header=BB12_12 Depth=3
	s_or_b32 exec_lo, exec_lo, s71
.LBB12_20:                              ;   in Loop: Header=BB12_12 Depth=3
	s_delay_alu instid0(SALU_CYCLE_1)
	s_or_b32 exec_lo, exec_lo, s70
	v_add_co_u32 v14, vcc_lo, s42, v15
	v_add_co_ci_u32_e32 v15, vcc_lo, s43, v16, vcc_lo
	v_cmp_le_i32_e64 s11, v5, v11
	s_mov_b32 s70, exec_lo
	global_load_b32 v16, v[14:15], off
	s_waitcnt vmcnt(0)
	v_sub_f32_e32 v17, v16, v7
	v_cmpx_gt_i32_e64 v5, v11
	s_cbranch_execnz .LBB12_23
; %bb.21:                               ;   in Loop: Header=BB12_12 Depth=3
	s_or_b32 exec_lo, exec_lo, s70
	s_delay_alu instid0(VALU_DEP_2) | instskip(NEXT) | instid1(VALU_DEP_1)
	v_cmp_class_f32_e64 s70, v17, 0x1f8
	s_and_saveexec_b32 s71, s70
	s_cbranch_execnz .LBB12_26
.LBB12_22:                              ;   in Loop: Header=BB12_12 Depth=3
	s_or_b32 exec_lo, exec_lo, s71
	s_and_b32 s70, s70, s33
	s_delay_alu instid0(SALU_CYCLE_1)
	s_and_saveexec_b32 s11, s70
	s_cbranch_execz .LBB12_11
	s_branch .LBB12_61
.LBB12_23:                              ;   in Loop: Header=BB12_12 Depth=3
	v_add_co_u32 v14, vcc_lo, s44, v9
	v_add_co_ci_u32_e32 v15, vcc_lo, s45, v10, vcc_lo
	s_mov_b32 s71, exec_lo
	global_load_b32 v14, v[14:15], off
	v_mov_b32_e32 v15, 0
	s_waitcnt vmcnt(0)
	v_cmpx_lg_f32_e32 0, v14
; %bb.24:                               ;   in Loop: Header=BB12_12 Depth=3
	v_div_scale_f32 v15, null, v14, v14, v17
	s_delay_alu instid0(VALU_DEP_1) | instskip(SKIP_2) | instid1(VALU_DEP_1)
	v_rcp_f32_e32 v18, v15
	s_waitcnt_depctr 0xfff
	v_fma_f32 v19, -v15, v18, 1.0
	v_fmac_f32_e32 v18, v19, v18
	v_div_scale_f32 v19, vcc_lo, v17, v14, v17
	s_delay_alu instid0(VALU_DEP_1) | instskip(NEXT) | instid1(VALU_DEP_1)
	v_mul_f32_e32 v20, v19, v18
	v_fma_f32 v38, -v15, v20, v19
	s_delay_alu instid0(VALU_DEP_1) | instskip(NEXT) | instid1(VALU_DEP_1)
	v_fmac_f32_e32 v20, v38, v18
	v_fma_f32 v15, -v15, v20, v19
	s_delay_alu instid0(VALU_DEP_1) | instskip(NEXT) | instid1(VALU_DEP_1)
	v_div_fmas_f32 v15, v15, v18, v20
	v_div_fixup_f32 v15, v15, v14, v17
; %bb.25:                               ;   in Loop: Header=BB12_12 Depth=3
	s_or_b32 exec_lo, exec_lo, s71
	s_delay_alu instid0(VALU_DEP_1) | instskip(SKIP_1) | instid1(VALU_DEP_1)
	v_mov_b32_e32 v17, v15
	s_or_b32 exec_lo, exec_lo, s70
	v_cmp_class_f32_e64 s70, v17, 0x1f8
	s_delay_alu instid0(VALU_DEP_1)
	s_and_saveexec_b32 s71, s70
	s_cbranch_execz .LBB12_22
.LBB12_26:                              ;   in Loop: Header=BB12_12 Depth=3
	s_and_saveexec_b32 s72, s11
	s_delay_alu instid0(SALU_CYCLE_1)
	s_xor_b32 s11, exec_lo, s72
	s_cbranch_execz .LBB12_47
; %bb.27:                               ;   in Loop: Header=BB12_12 Depth=3
	s_mov_b32 s72, exec_lo
	v_cmpx_ge_i32_e64 v5, v11
	s_xor_b32 s72, exec_lo, s72
	s_cbranch_execz .LBB12_33
; %bb.28:                               ;   in Loop: Header=BB12_12 Depth=3
	v_add_co_u32 v14, vcc_lo, s46, v9
	v_add_co_ci_u32_e32 v15, vcc_lo, s47, v10, vcc_lo
	s_and_not1_b32 vcc_lo, exec_lo, s56
	global_store_b32 v[14:15], v17, off
	s_cbranch_vccnz .LBB12_32
; %bb.29:                               ;   in Loop: Header=BB12_12 Depth=3
	v_add_co_u32 v14, vcc_lo, s44, v9
	v_add_co_ci_u32_e32 v15, vcc_lo, s45, v10, vcc_lo
	global_load_b32 v14, v[14:15], off
	s_waitcnt vmcnt(0)
	v_sub_f32_e32 v14, v14, v17
	s_delay_alu instid0(VALU_DEP_1) | instskip(NEXT) | instid1(VALU_DEP_1)
	v_cmp_class_f32_e64 s74, v14, 0x1f8
	s_and_saveexec_b32 s73, s74
; %bb.30:                               ;   in Loop: Header=BB12_12 Depth=3
	v_cmp_lt_f32_e64 s74, v2, |v14|
	s_delay_alu instid0(VALU_DEP_1)
	v_cndmask_b32_e64 v2, v2, |v14|, s74
; %bb.31:                               ;   in Loop: Header=BB12_12 Depth=3
	s_or_b32 exec_lo, exec_lo, s73
.LBB12_32:                              ;   in Loop: Header=BB12_12 Depth=3
                                        ; implicit-def: $vgpr17
.LBB12_33:                              ;   in Loop: Header=BB12_12 Depth=3
	s_and_not1_saveexec_b32 s72, s72
	s_cbranch_execz .LBB12_46
; %bb.34:                               ;   in Loop: Header=BB12_12 Depth=3
	s_mov_b32 s73, exec_lo
	v_cmpx_lt_i32_e64 v13, v37
	s_cbranch_execz .LBB12_45
; %bb.35:                               ;   in Loop: Header=BB12_12 Depth=3
	v_mov_b32_e32 v18, v13
	s_mov_b32 s74, 0
                                        ; implicit-def: $sgpr75
                                        ; implicit-def: $sgpr77
                                        ; implicit-def: $sgpr76
	s_set_inst_prefetch_distance 0x1
	s_branch .LBB12_37
	.p2align	6
.LBB12_36:                              ;   in Loop: Header=BB12_37 Depth=4
	s_or_b32 exec_lo, exec_lo, s78
	s_delay_alu instid0(SALU_CYCLE_1) | instskip(NEXT) | instid1(SALU_CYCLE_1)
	s_and_b32 s78, exec_lo, s77
	s_or_b32 s74, s78, s74
	s_and_not1_b32 s75, s75, exec_lo
	s_and_b32 s78, s76, exec_lo
	s_delay_alu instid0(SALU_CYCLE_1)
	s_or_b32 s75, s75, s78
	s_and_not1_b32 exec_lo, exec_lo, s74
	s_cbranch_execz .LBB12_39
.LBB12_37:                              ;   Parent Loop BB12_3 Depth=1
                                        ;     Parent Loop BB12_7 Depth=2
                                        ;       Parent Loop BB12_12 Depth=3
                                        ; =>      This Inner Loop Header: Depth=4
	s_delay_alu instid0(VALU_DEP_1) | instskip(SKIP_3) | instid1(VALU_DEP_1)
	v_add_nc_u32_e32 v14, v12, v18
	s_or_b32 s76, s76, exec_lo
	s_or_b32 s77, s77, exec_lo
	s_mov_b32 s78, exec_lo
	v_ashrrev_i32_e32 v15, 31, v14
	s_delay_alu instid0(VALU_DEP_1) | instskip(NEXT) | instid1(VALU_DEP_1)
	v_lshlrev_b64 v[14:15], 2, v[14:15]
	v_add_co_u32 v19, vcc_lo, s16, v14
	s_delay_alu instid0(VALU_DEP_2) | instskip(SKIP_3) | instid1(VALU_DEP_1)
	v_add_co_ci_u32_e32 v20, vcc_lo, s17, v15, vcc_lo
	global_load_b32 v19, v[19:20], off
	s_waitcnt vmcnt(0)
	v_subrev_nc_u32_e32 v19, s61, v19
	v_cmpx_ne_u32_e64 v19, v5
	s_cbranch_execz .LBB12_36
; %bb.38:                               ;   in Loop: Header=BB12_37 Depth=4
	v_add_nc_u32_e32 v18, 1, v18
	s_and_not1_b32 s77, s77, exec_lo
	s_and_not1_b32 s76, s76, exec_lo
	s_delay_alu instid0(VALU_DEP_1) | instskip(SKIP_1) | instid1(SALU_CYCLE_1)
	v_cmp_ge_i32_e32 vcc_lo, v18, v37
	s_and_b32 s79, vcc_lo, exec_lo
	s_or_b32 s77, s77, s79
	s_branch .LBB12_36
.LBB12_39:                              ;   in Loop: Header=BB12_12 Depth=3
	s_set_inst_prefetch_distance 0x2
	s_or_b32 exec_lo, exec_lo, s74
	s_and_saveexec_b32 s74, s75
	s_delay_alu instid0(SALU_CYCLE_1)
	s_xor_b32 s74, exec_lo, s74
	s_cbranch_execz .LBB12_44
; %bb.40:                               ;   in Loop: Header=BB12_12 Depth=3
	v_add_co_u32 v18, vcc_lo, s50, v14
	v_add_co_ci_u32_e32 v19, vcc_lo, s51, v15, vcc_lo
	s_and_not1_b32 vcc_lo, exec_lo, s56
	global_store_b32 v[18:19], v17, off
	s_cbranch_vccnz .LBB12_44
; %bb.41:                               ;   in Loop: Header=BB12_12 Depth=3
	v_add_co_u32 v14, vcc_lo, s18, v14
	v_add_co_ci_u32_e32 v15, vcc_lo, s19, v15, vcc_lo
	global_load_b32 v14, v[14:15], off
	s_waitcnt vmcnt(0)
	v_sub_f32_e32 v14, v14, v17
	s_delay_alu instid0(VALU_DEP_1) | instskip(NEXT) | instid1(VALU_DEP_1)
	v_cmp_class_f32_e64 s76, v14, 0x1f8
	s_and_saveexec_b32 s75, s76
; %bb.42:                               ;   in Loop: Header=BB12_12 Depth=3
	v_cmp_lt_f32_e64 s76, v2, |v14|
	s_delay_alu instid0(VALU_DEP_1)
	v_cndmask_b32_e64 v2, v2, |v14|, s76
; %bb.43:                               ;   in Loop: Header=BB12_12 Depth=3
	s_or_b32 exec_lo, exec_lo, s75
.LBB12_44:                              ;   in Loop: Header=BB12_12 Depth=3
	s_delay_alu instid0(SALU_CYCLE_1)
	s_or_b32 exec_lo, exec_lo, s74
.LBB12_45:                              ;   in Loop: Header=BB12_12 Depth=3
	s_delay_alu instid0(SALU_CYCLE_1)
	s_or_b32 exec_lo, exec_lo, s73
.LBB12_46:                              ;   in Loop: Header=BB12_12 Depth=3
	s_delay_alu instid0(SALU_CYCLE_1)
	s_or_b32 exec_lo, exec_lo, s72
                                        ; implicit-def: $vgpr17
.LBB12_47:                              ;   in Loop: Header=BB12_12 Depth=3
	s_and_not1_saveexec_b32 s11, s11
	s_cbranch_execz .LBB12_60
; %bb.48:                               ;   in Loop: Header=BB12_12 Depth=3
	s_mov_b32 s72, exec_lo
	v_cmpx_lt_i32_e64 v3, v32
	s_cbranch_execz .LBB12_59
; %bb.49:                               ;   in Loop: Header=BB12_12 Depth=3
	v_mov_b32_e32 v18, v3
	s_mov_b32 s73, 0
                                        ; implicit-def: $sgpr74
                                        ; implicit-def: $sgpr76
                                        ; implicit-def: $sgpr75
	s_set_inst_prefetch_distance 0x1
	s_branch .LBB12_51
	.p2align	6
.LBB12_50:                              ;   in Loop: Header=BB12_51 Depth=4
	s_or_b32 exec_lo, exec_lo, s77
	s_delay_alu instid0(SALU_CYCLE_1) | instskip(NEXT) | instid1(SALU_CYCLE_1)
	s_and_b32 s77, exec_lo, s76
	s_or_b32 s73, s77, s73
	s_and_not1_b32 s74, s74, exec_lo
	s_and_b32 s77, s75, exec_lo
	s_delay_alu instid0(SALU_CYCLE_1)
	s_or_b32 s74, s74, s77
	s_and_not1_b32 exec_lo, exec_lo, s73
	s_cbranch_execz .LBB12_53
.LBB12_51:                              ;   Parent Loop BB12_3 Depth=1
                                        ;     Parent Loop BB12_7 Depth=2
                                        ;       Parent Loop BB12_12 Depth=3
                                        ; =>      This Inner Loop Header: Depth=4
	s_delay_alu instid0(VALU_DEP_1) | instskip(SKIP_3) | instid1(VALU_DEP_1)
	v_add_nc_u32_e32 v14, v8, v18
	s_or_b32 s75, s75, exec_lo
	s_or_b32 s76, s76, exec_lo
	s_mov_b32 s77, exec_lo
	v_ashrrev_i32_e32 v15, 31, v14
	s_delay_alu instid0(VALU_DEP_1) | instskip(NEXT) | instid1(VALU_DEP_1)
	v_lshlrev_b64 v[14:15], 2, v[14:15]
	v_add_co_u32 v19, vcc_lo, s24, v14
	s_delay_alu instid0(VALU_DEP_2) | instskip(SKIP_3) | instid1(VALU_DEP_1)
	v_add_co_ci_u32_e32 v20, vcc_lo, s25, v15, vcc_lo
	global_load_b32 v19, v[19:20], off
	s_waitcnt vmcnt(0)
	v_subrev_nc_u32_e32 v19, s60, v19
	v_cmpx_ne_u32_e64 v19, v11
	s_cbranch_execz .LBB12_50
; %bb.52:                               ;   in Loop: Header=BB12_51 Depth=4
	v_add_nc_u32_e32 v18, 1, v18
	s_and_not1_b32 s76, s76, exec_lo
	s_and_not1_b32 s75, s75, exec_lo
	s_delay_alu instid0(VALU_DEP_1) | instskip(SKIP_1) | instid1(SALU_CYCLE_1)
	v_cmp_ge_i32_e32 vcc_lo, v18, v32
	s_and_b32 s78, vcc_lo, exec_lo
	s_or_b32 s76, s76, s78
	s_branch .LBB12_50
.LBB12_53:                              ;   in Loop: Header=BB12_12 Depth=3
	s_set_inst_prefetch_distance 0x2
	s_or_b32 exec_lo, exec_lo, s73
	s_and_saveexec_b32 s73, s74
	s_delay_alu instid0(SALU_CYCLE_1)
	s_xor_b32 s73, exec_lo, s73
	s_cbranch_execz .LBB12_58
; %bb.54:                               ;   in Loop: Header=BB12_12 Depth=3
	v_add_co_u32 v18, vcc_lo, s52, v14
	v_add_co_ci_u32_e32 v19, vcc_lo, s53, v15, vcc_lo
	s_and_not1_b32 vcc_lo, exec_lo, s56
	global_store_b32 v[18:19], v17, off
	s_cbranch_vccnz .LBB12_58
; %bb.55:                               ;   in Loop: Header=BB12_12 Depth=3
	v_add_co_u32 v14, vcc_lo, s26, v14
	v_add_co_ci_u32_e32 v15, vcc_lo, s27, v15, vcc_lo
	global_load_b32 v14, v[14:15], off
	s_waitcnt vmcnt(0)
	v_sub_f32_e32 v14, v14, v17
	s_delay_alu instid0(VALU_DEP_1) | instskip(NEXT) | instid1(VALU_DEP_1)
	v_cmp_class_f32_e64 s75, v14, 0x1f8
	s_and_saveexec_b32 s74, s75
; %bb.56:                               ;   in Loop: Header=BB12_12 Depth=3
	v_cmp_lt_f32_e64 s75, v2, |v14|
	s_delay_alu instid0(VALU_DEP_1)
	v_cndmask_b32_e64 v2, v2, |v14|, s75
; %bb.57:                               ;   in Loop: Header=BB12_12 Depth=3
	s_or_b32 exec_lo, exec_lo, s74
.LBB12_58:                              ;   in Loop: Header=BB12_12 Depth=3
	s_delay_alu instid0(SALU_CYCLE_1)
	s_or_b32 exec_lo, exec_lo, s73
.LBB12_59:                              ;   in Loop: Header=BB12_12 Depth=3
	s_delay_alu instid0(SALU_CYCLE_1)
	s_or_b32 exec_lo, exec_lo, s72
.LBB12_60:                              ;   in Loop: Header=BB12_12 Depth=3
	s_delay_alu instid0(SALU_CYCLE_1) | instskip(NEXT) | instid1(SALU_CYCLE_1)
	s_or_b32 exec_lo, exec_lo, s11
	s_or_b32 exec_lo, exec_lo, s71
	s_and_b32 s70, s70, s33
	s_delay_alu instid0(SALU_CYCLE_1)
	s_and_saveexec_b32 s11, s70
	s_cbranch_execz .LBB12_11
.LBB12_61:                              ;   in Loop: Header=BB12_12 Depth=3
	s_mov_b32 s70, exec_lo
	v_cmpx_ge_i32_e64 v13, v37
	s_xor_b32 s70, exec_lo, s70
	s_cbranch_execnz .LBB12_67
; %bb.62:                               ;   in Loop: Header=BB12_12 Depth=3
	s_and_not1_saveexec_b32 s70, s70
	s_cbranch_execnz .LBB12_76
.LBB12_63:                              ;   in Loop: Header=BB12_12 Depth=3
	s_or_b32 exec_lo, exec_lo, s70
	s_delay_alu instid0(SALU_CYCLE_1)
	s_mov_b32 s70, exec_lo
	v_cmpx_eq_u32_e64 v5, v11
	s_cbranch_execz .LBB12_65
.LBB12_64:                              ;   in Loop: Header=BB12_12 Depth=3
	v_add_co_u32 v9, vcc_lo, s44, v9
	v_add_co_ci_u32_e32 v10, vcc_lo, s45, v10, vcc_lo
	global_load_b32 v3, v[9:10], off
	s_waitcnt vmcnt(0)
	v_add_f32_e32 v7, v7, v3
.LBB12_65:                              ;   in Loop: Header=BB12_12 Depth=3
	s_or_b32 exec_lo, exec_lo, s70
	s_delay_alu instid0(VALU_DEP_1) | instskip(NEXT) | instid1(VALU_DEP_1)
	v_sub_f32_e32 v3, v16, v7
	v_cmp_class_f32_e64 s71, v3, 0x1f8
	s_delay_alu instid0(VALU_DEP_1)
	s_and_saveexec_b32 s70, s71
	s_cbranch_execz .LBB12_10
; %bb.66:                               ;   in Loop: Header=BB12_12 Depth=3
	v_cmp_lt_f32_e64 s71, v1, |v3|
	s_delay_alu instid0(VALU_DEP_1)
	v_cndmask_b32_e64 v1, v1, |v3|, s71
	s_branch .LBB12_10
.LBB12_67:                              ;   in Loop: Header=BB12_12 Depth=3
	s_mov_b32 s71, exec_lo
	v_cmpx_lt_i32_e64 v3, v32
	s_cbranch_execz .LBB12_75
; %bb.68:                               ;   in Loop: Header=BB12_12 Depth=3
	s_mov_b32 s72, 0
                                        ; implicit-def: $sgpr73
                                        ; implicit-def: $sgpr75
                                        ; implicit-def: $sgpr74
	s_set_inst_prefetch_distance 0x1
	s_branch .LBB12_70
	.p2align	6
.LBB12_69:                              ;   in Loop: Header=BB12_70 Depth=4
	s_or_b32 exec_lo, exec_lo, s76
	s_delay_alu instid0(SALU_CYCLE_1) | instskip(NEXT) | instid1(SALU_CYCLE_1)
	s_and_b32 s76, exec_lo, s75
	s_or_b32 s72, s76, s72
	s_and_not1_b32 s73, s73, exec_lo
	s_and_b32 s76, s74, exec_lo
	s_delay_alu instid0(SALU_CYCLE_1)
	s_or_b32 s73, s73, s76
	s_and_not1_b32 exec_lo, exec_lo, s72
	s_cbranch_execz .LBB12_72
.LBB12_70:                              ;   Parent Loop BB12_3 Depth=1
                                        ;     Parent Loop BB12_7 Depth=2
                                        ;       Parent Loop BB12_12 Depth=3
                                        ; =>      This Inner Loop Header: Depth=4
	v_add_nc_u32_e32 v12, v8, v3
	s_or_b32 s74, s74, exec_lo
	s_or_b32 s75, s75, exec_lo
	s_mov_b32 s76, exec_lo
	s_delay_alu instid0(VALU_DEP_1) | instskip(NEXT) | instid1(VALU_DEP_1)
	v_ashrrev_i32_e32 v13, 31, v12
	v_lshlrev_b64 v[12:13], 2, v[12:13]
	s_delay_alu instid0(VALU_DEP_1) | instskip(NEXT) | instid1(VALU_DEP_2)
	v_add_co_u32 v14, vcc_lo, s24, v12
	v_add_co_ci_u32_e32 v15, vcc_lo, s25, v13, vcc_lo
	global_load_b32 v14, v[14:15], off
	s_waitcnt vmcnt(0)
	v_subrev_nc_u32_e32 v14, s60, v14
	s_delay_alu instid0(VALU_DEP_1)
	v_cmpx_ne_u32_e64 v14, v11
	s_cbranch_execz .LBB12_69
; %bb.71:                               ;   in Loop: Header=BB12_70 Depth=4
	v_add_nc_u32_e32 v3, 1, v3
	s_and_not1_b32 s75, s75, exec_lo
	s_and_not1_b32 s74, s74, exec_lo
	s_delay_alu instid0(VALU_DEP_1) | instskip(SKIP_1) | instid1(SALU_CYCLE_1)
	v_cmp_ge_i32_e32 vcc_lo, v3, v32
	s_and_b32 s77, vcc_lo, exec_lo
	s_or_b32 s75, s75, s77
	s_branch .LBB12_69
.LBB12_72:                              ;   in Loop: Header=BB12_12 Depth=3
	s_set_inst_prefetch_distance 0x2
	s_or_b32 exec_lo, exec_lo, s72
	s_and_saveexec_b32 s72, s73
	s_delay_alu instid0(SALU_CYCLE_1)
	s_xor_b32 s72, exec_lo, s72
	s_cbranch_execz .LBB12_74
; %bb.73:                               ;   in Loop: Header=BB12_12 Depth=3
	v_add_co_u32 v12, vcc_lo, s26, v12
	v_add_co_ci_u32_e32 v13, vcc_lo, s27, v13, vcc_lo
	v_add_co_u32 v14, vcc_lo, s44, v9
	v_add_co_ci_u32_e32 v15, vcc_lo, s45, v10, vcc_lo
	global_load_b32 v3, v[12:13], off
	global_load_b32 v12, v[14:15], off
	s_waitcnt vmcnt(0)
	v_fmac_f32_e32 v7, v3, v12
.LBB12_74:                              ;   in Loop: Header=BB12_12 Depth=3
	s_or_b32 exec_lo, exec_lo, s72
.LBB12_75:                              ;   in Loop: Header=BB12_12 Depth=3
	s_delay_alu instid0(SALU_CYCLE_1)
	s_or_b32 exec_lo, exec_lo, s71
                                        ; implicit-def: $vgpr13
                                        ; implicit-def: $vgpr12
                                        ; implicit-def: $vgpr37
	s_and_not1_saveexec_b32 s70, s70
	s_cbranch_execz .LBB12_63
.LBB12_76:                              ;   in Loop: Header=BB12_12 Depth=3
	s_mov_b32 s71, 0
                                        ; implicit-def: $sgpr72
                                        ; implicit-def: $sgpr74
                                        ; implicit-def: $sgpr73
	s_set_inst_prefetch_distance 0x1
	s_branch .LBB12_78
	.p2align	6
.LBB12_77:                              ;   in Loop: Header=BB12_78 Depth=4
	s_or_b32 exec_lo, exec_lo, s75
	s_delay_alu instid0(SALU_CYCLE_1) | instskip(NEXT) | instid1(SALU_CYCLE_1)
	s_and_b32 s75, exec_lo, s74
	s_or_b32 s71, s75, s71
	s_and_not1_b32 s72, s72, exec_lo
	s_and_b32 s75, s73, exec_lo
	s_delay_alu instid0(SALU_CYCLE_1)
	s_or_b32 s72, s72, s75
	s_and_not1_b32 exec_lo, exec_lo, s71
	s_cbranch_execz .LBB12_80
.LBB12_78:                              ;   Parent Loop BB12_3 Depth=1
                                        ;     Parent Loop BB12_7 Depth=2
                                        ;       Parent Loop BB12_12 Depth=3
                                        ; =>      This Inner Loop Header: Depth=4
	v_add_nc_u32_e32 v14, v12, v13
	s_or_b32 s73, s73, exec_lo
	s_or_b32 s74, s74, exec_lo
	s_mov_b32 s75, exec_lo
	s_delay_alu instid0(VALU_DEP_1) | instskip(NEXT) | instid1(VALU_DEP_1)
	v_ashrrev_i32_e32 v15, 31, v14
	v_lshlrev_b64 v[14:15], 2, v[14:15]
	s_delay_alu instid0(VALU_DEP_1) | instskip(NEXT) | instid1(VALU_DEP_2)
	v_add_co_u32 v17, vcc_lo, s16, v14
	v_add_co_ci_u32_e32 v18, vcc_lo, s17, v15, vcc_lo
	global_load_b32 v3, v[17:18], off
	s_waitcnt vmcnt(0)
	v_subrev_nc_u32_e32 v3, s61, v3
	s_delay_alu instid0(VALU_DEP_1)
	v_cmpx_ne_u32_e64 v3, v5
	s_cbranch_execz .LBB12_77
; %bb.79:                               ;   in Loop: Header=BB12_78 Depth=4
	v_add_nc_u32_e32 v13, 1, v13
	s_and_not1_b32 s74, s74, exec_lo
	s_and_not1_b32 s73, s73, exec_lo
	s_delay_alu instid0(VALU_DEP_1) | instskip(SKIP_1) | instid1(SALU_CYCLE_1)
	v_cmp_ge_i32_e32 vcc_lo, v13, v37
	s_and_b32 s76, vcc_lo, exec_lo
	s_or_b32 s74, s74, s76
	s_branch .LBB12_77
.LBB12_80:                              ;   in Loop: Header=BB12_12 Depth=3
	s_set_inst_prefetch_distance 0x2
	s_or_b32 exec_lo, exec_lo, s71
	s_and_saveexec_b32 s71, s72
	s_delay_alu instid0(SALU_CYCLE_1)
	s_xor_b32 s71, exec_lo, s71
	s_cbranch_execz .LBB12_82
; %bb.81:                               ;   in Loop: Header=BB12_12 Depth=3
	v_add_co_u32 v12, vcc_lo, s18, v14
	v_add_co_ci_u32_e32 v13, vcc_lo, s19, v15, vcc_lo
	global_load_b32 v3, v[12:13], off
	s_waitcnt vmcnt(0)
	v_add_f32_e32 v7, v7, v3
.LBB12_82:                              ;   in Loop: Header=BB12_12 Depth=3
	s_or_b32 exec_lo, exec_lo, s71
	s_delay_alu instid0(SALU_CYCLE_1) | instskip(NEXT) | instid1(SALU_CYCLE_1)
	s_or_b32 exec_lo, exec_lo, s70
	s_mov_b32 s70, exec_lo
	v_cmpx_eq_u32_e64 v5, v11
	s_cbranch_execnz .LBB12_64
	s_branch .LBB12_65
.LBB12_83:                              ;   in Loop: Header=BB12_3 Depth=1
	v_xor_b32_e32 v8, 16, v23
	v_xor_b32_e32 v7, 8, v23
	;; [unrolled: 1-line block ×5, first 2 shown]
	s_and_b32 vcc_lo, exec_lo, s56
	s_cbranch_vccnz .LBB12_86
; %bb.84:                               ;   in Loop: Header=BB12_3 Depth=1
	s_and_not1_b32 vcc_lo, exec_lo, s33
	s_cbranch_vccz .LBB12_99
.LBB12_85:                              ;   in Loop: Header=BB12_3 Depth=1
	s_and_saveexec_b32 s11, s8
	s_cbranch_execnz .LBB12_112
	s_branch .LBB12_123
.LBB12_86:                              ;   in Loop: Header=BB12_3 Depth=1
	v_cmp_gt_i32_e32 vcc_lo, 32, v8
	v_cndmask_b32_e32 v9, v23, v8, vcc_lo
	v_cmp_gt_i32_e32 vcc_lo, 32, v7
	v_cndmask_b32_e32 v10, v23, v7, vcc_lo
	s_delay_alu instid0(VALU_DEP_1) | instskip(NEXT) | instid1(VALU_DEP_4)
	v_lshlrev_b32_e32 v10, 2, v10
	v_lshlrev_b32_e32 v9, 2, v9
	ds_bpermute_b32 v9, v9, v2
	s_waitcnt lgkmcnt(0)
	v_cmp_lt_f32_e32 vcc_lo, v2, v9
	v_cndmask_b32_e32 v2, v2, v9, vcc_lo
	v_cmp_gt_i32_e32 vcc_lo, 32, v6
	ds_bpermute_b32 v9, v10, v2
	v_cndmask_b32_e32 v10, v23, v6, vcc_lo
	s_delay_alu instid0(VALU_DEP_1)
	v_lshlrev_b32_e32 v10, 2, v10
	s_waitcnt lgkmcnt(0)
	v_cmp_lt_f32_e32 vcc_lo, v2, v9
	v_cndmask_b32_e32 v2, v2, v9, vcc_lo
	v_cmp_gt_i32_e32 vcc_lo, 32, v5
	ds_bpermute_b32 v9, v10, v2
	v_cndmask_b32_e32 v10, v23, v5, vcc_lo
	s_delay_alu instid0(VALU_DEP_1)
	v_lshlrev_b32_e32 v10, 2, v10
	s_waitcnt lgkmcnt(0)
	v_cmp_lt_f32_e32 vcc_lo, v2, v9
	v_cndmask_b32_e32 v2, v2, v9, vcc_lo
	v_cmp_gt_i32_e32 vcc_lo, 32, v3
	ds_bpermute_b32 v9, v10, v2
	v_cndmask_b32_e32 v10, v23, v3, vcc_lo
	s_waitcnt lgkmcnt(0)
	v_cmp_lt_f32_e32 vcc_lo, v2, v9
	s_delay_alu instid0(VALU_DEP_2)
	v_dual_cndmask_b32 v2, v2, v9 :: v_dual_lshlrev_b32 v9, 2, v10
	ds_bpermute_b32 v9, v9, v2
	s_and_saveexec_b32 s10, s2
	s_cbranch_execz .LBB12_88
; %bb.87:                               ;   in Loop: Header=BB12_3 Depth=1
	s_waitcnt lgkmcnt(0)
	v_cmp_lt_f32_e32 vcc_lo, v2, v9
	v_cndmask_b32_e32 v2, v2, v9, vcc_lo
	ds_store_b32 v26, v2
.LBB12_88:                              ;   in Loop: Header=BB12_3 Depth=1
	s_or_b32 exec_lo, exec_lo, s10
	s_waitcnt lgkmcnt(0)
	s_waitcnt_vscnt null, 0x0
	s_barrier
	buffer_gl0_inv
	s_and_saveexec_b32 s10, s3
	s_cbranch_execz .LBB12_90
; %bb.89:                               ;   in Loop: Header=BB12_3 Depth=1
	ds_load_2addr_b32 v[9:10], v21 offset1:16
	s_waitcnt lgkmcnt(0)
	v_cmp_lt_f32_e32 vcc_lo, v9, v10
	v_cndmask_b32_e32 v2, v9, v10, vcc_lo
	ds_store_b32 v21, v2
.LBB12_90:                              ;   in Loop: Header=BB12_3 Depth=1
	s_or_b32 exec_lo, exec_lo, s10
	s_waitcnt lgkmcnt(0)
	s_barrier
	buffer_gl0_inv
	s_and_saveexec_b32 s10, s4
	s_cbranch_execz .LBB12_92
; %bb.91:                               ;   in Loop: Header=BB12_3 Depth=1
	ds_load_2addr_b32 v[9:10], v21 offset1:8
	s_waitcnt lgkmcnt(0)
	v_cmp_lt_f32_e32 vcc_lo, v9, v10
	v_cndmask_b32_e32 v2, v9, v10, vcc_lo
	ds_store_b32 v21, v2
.LBB12_92:                              ;   in Loop: Header=BB12_3 Depth=1
	s_or_b32 exec_lo, exec_lo, s10
	s_waitcnt lgkmcnt(0)
	;; [unrolled: 13-line block ×4, first 2 shown]
	s_barrier
	buffer_gl0_inv
	s_and_saveexec_b32 s10, s7
	s_cbranch_execz .LBB12_98
; %bb.97:                               ;   in Loop: Header=BB12_3 Depth=1
	ds_load_b64 v[9:10], v30
	s_waitcnt lgkmcnt(0)
	v_cmp_lt_f32_e32 vcc_lo, v9, v10
	v_cndmask_b32_e32 v2, v9, v10, vcc_lo
	ds_store_b32 v30, v2
.LBB12_98:                              ;   in Loop: Header=BB12_3 Depth=1
	s_or_b32 exec_lo, exec_lo, s10
	s_waitcnt lgkmcnt(0)
	s_barrier
	buffer_gl0_inv
	ds_load_b32 v2, v30
	s_load_b32 s10, s[54:55], 0x0
	s_waitcnt lgkmcnt(0)
	v_div_scale_f32 v9, null, s10, s10, v2
	s_delay_alu instid0(VALU_DEP_1) | instskip(SKIP_2) | instid1(VALU_DEP_1)
	v_rcp_f32_e32 v10, v9
	s_waitcnt_depctr 0xfff
	v_fma_f32 v11, -v9, v10, 1.0
	v_fmac_f32_e32 v10, v11, v10
	v_div_scale_f32 v11, vcc_lo, v2, s10, v2
	s_delay_alu instid0(VALU_DEP_1) | instskip(NEXT) | instid1(VALU_DEP_1)
	v_mul_f32_e32 v12, v11, v10
	v_fma_f32 v13, -v9, v12, v11
	s_delay_alu instid0(VALU_DEP_1) | instskip(NEXT) | instid1(VALU_DEP_1)
	v_fmac_f32_e32 v12, v13, v10
	v_fma_f32 v9, -v9, v12, v11
	s_delay_alu instid0(VALU_DEP_1) | instskip(NEXT) | instid1(VALU_DEP_1)
	v_div_fmas_f32 v9, v9, v10, v12
	v_div_fixup_f32 v2, v9, s10, v2
	s_and_not1_b32 vcc_lo, exec_lo, s33
	s_cbranch_vccnz .LBB12_85
.LBB12_99:                              ;   in Loop: Header=BB12_3 Depth=1
	v_cmp_gt_i32_e32 vcc_lo, 32, v8
	v_cndmask_b32_e32 v8, v23, v8, vcc_lo
	v_cmp_gt_i32_e32 vcc_lo, 32, v7
	v_cndmask_b32_e32 v7, v23, v7, vcc_lo
	s_delay_alu instid0(VALU_DEP_1) | instskip(NEXT) | instid1(VALU_DEP_4)
	v_lshlrev_b32_e32 v7, 2, v7
	v_lshlrev_b32_e32 v8, 2, v8
	ds_bpermute_b32 v8, v8, v1
	s_waitcnt lgkmcnt(0)
	v_cmp_lt_f32_e32 vcc_lo, v1, v8
	v_cndmask_b32_e32 v1, v1, v8, vcc_lo
	v_cmp_gt_i32_e32 vcc_lo, 32, v6
	v_cndmask_b32_e32 v6, v23, v6, vcc_lo
	ds_bpermute_b32 v7, v7, v1
	v_lshlrev_b32_e32 v6, 2, v6
	s_waitcnt lgkmcnt(0)
	v_cmp_lt_f32_e32 vcc_lo, v1, v7
	v_cndmask_b32_e32 v1, v1, v7, vcc_lo
	v_cmp_gt_i32_e32 vcc_lo, 32, v5
	ds_bpermute_b32 v6, v6, v1
	v_cndmask_b32_e32 v5, v23, v5, vcc_lo
	s_delay_alu instid0(VALU_DEP_1)
	v_lshlrev_b32_e32 v5, 2, v5
	s_waitcnt lgkmcnt(0)
	v_cmp_lt_f32_e32 vcc_lo, v1, v6
	v_cndmask_b32_e32 v1, v1, v6, vcc_lo
	v_cmp_gt_i32_e32 vcc_lo, 32, v3
	ds_bpermute_b32 v5, v5, v1
	v_cndmask_b32_e32 v3, v23, v3, vcc_lo
	s_delay_alu instid0(VALU_DEP_1)
	v_lshlrev_b32_e32 v3, 2, v3
	s_waitcnt lgkmcnt(0)
	v_cmp_lt_f32_e32 vcc_lo, v1, v5
	v_cndmask_b32_e32 v1, v1, v5, vcc_lo
	ds_bpermute_b32 v3, v3, v1
	s_and_saveexec_b32 s10, s2
	s_cbranch_execz .LBB12_101
; %bb.100:                              ;   in Loop: Header=BB12_3 Depth=1
	s_waitcnt lgkmcnt(0)
	v_cmp_lt_f32_e32 vcc_lo, v1, v3
	v_cndmask_b32_e32 v1, v1, v3, vcc_lo
	ds_store_b32 v26, v1
.LBB12_101:                             ;   in Loop: Header=BB12_3 Depth=1
	s_or_b32 exec_lo, exec_lo, s10
	s_waitcnt lgkmcnt(0)
	s_waitcnt_vscnt null, 0x0
	s_barrier
	buffer_gl0_inv
	s_and_saveexec_b32 s10, s3
	s_cbranch_execz .LBB12_103
; %bb.102:                              ;   in Loop: Header=BB12_3 Depth=1
	ds_load_2addr_b32 v[5:6], v21 offset1:16
	s_waitcnt lgkmcnt(0)
	v_cmp_lt_f32_e32 vcc_lo, v5, v6
	v_cndmask_b32_e32 v1, v5, v6, vcc_lo
	ds_store_b32 v21, v1
.LBB12_103:                             ;   in Loop: Header=BB12_3 Depth=1
	s_or_b32 exec_lo, exec_lo, s10
	s_waitcnt lgkmcnt(0)
	s_barrier
	buffer_gl0_inv
	s_and_saveexec_b32 s10, s4
	s_cbranch_execz .LBB12_105
; %bb.104:                              ;   in Loop: Header=BB12_3 Depth=1
	ds_load_2addr_b32 v[5:6], v21 offset1:8
	s_waitcnt lgkmcnt(0)
	v_cmp_lt_f32_e32 vcc_lo, v5, v6
	v_cndmask_b32_e32 v1, v5, v6, vcc_lo
	ds_store_b32 v21, v1
.LBB12_105:                             ;   in Loop: Header=BB12_3 Depth=1
	s_or_b32 exec_lo, exec_lo, s10
	s_waitcnt lgkmcnt(0)
	;; [unrolled: 13-line block ×4, first 2 shown]
	s_barrier
	buffer_gl0_inv
	s_and_saveexec_b32 s10, s7
	s_cbranch_execz .LBB12_111
; %bb.110:                              ;   in Loop: Header=BB12_3 Depth=1
	ds_load_b64 v[5:6], v30
	s_waitcnt lgkmcnt(0)
	v_cmp_lt_f32_e32 vcc_lo, v5, v6
	v_cndmask_b32_e32 v1, v5, v6, vcc_lo
	ds_store_b32 v30, v1
.LBB12_111:                             ;   in Loop: Header=BB12_3 Depth=1
	s_or_b32 exec_lo, exec_lo, s10
	s_waitcnt lgkmcnt(0)
	s_barrier
	buffer_gl0_inv
	ds_load_b32 v1, v30
	s_load_b32 s10, s[54:55], 0x0
	s_waitcnt lgkmcnt(0)
	v_div_scale_f32 v3, null, s10, s10, v1
	s_delay_alu instid0(VALU_DEP_1) | instskip(SKIP_2) | instid1(VALU_DEP_1)
	v_rcp_f32_e32 v5, v3
	s_waitcnt_depctr 0xfff
	v_fma_f32 v6, -v3, v5, 1.0
	v_fmac_f32_e32 v5, v6, v5
	v_div_scale_f32 v6, vcc_lo, v1, s10, v1
	s_delay_alu instid0(VALU_DEP_1) | instskip(NEXT) | instid1(VALU_DEP_1)
	v_mul_f32_e32 v7, v6, v5
	v_fma_f32 v8, -v3, v7, v6
	s_delay_alu instid0(VALU_DEP_1) | instskip(NEXT) | instid1(VALU_DEP_1)
	v_fmac_f32_e32 v7, v8, v5
	v_fma_f32 v3, -v3, v7, v6
	s_delay_alu instid0(VALU_DEP_1) | instskip(NEXT) | instid1(VALU_DEP_1)
	v_div_fmas_f32 v3, v3, v5, v7
	v_div_fixup_f32 v1, v3, s10, v1
	s_and_saveexec_b32 s11, s8
	s_cbranch_execz .LBB12_123
.LBB12_112:                             ;   in Loop: Header=BB12_3 Depth=1
	v_mov_b32_e32 v5, v25
	s_mov_b32 s66, 0
	s_branch .LBB12_114
.LBB12_113:                             ;   in Loop: Header=BB12_114 Depth=2
	s_or_b32 exec_lo, exec_lo, s67
	v_add_nc_u32_e32 v5, 32, v5
	s_delay_alu instid0(VALU_DEP_1) | instskip(SKIP_1) | instid1(SALU_CYCLE_1)
	v_cmp_le_u32_e32 vcc_lo, s62, v5
	s_or_b32 s66, vcc_lo, s66
	s_and_not1_b32 exec_lo, exec_lo, s66
	s_cbranch_execz .LBB12_123
.LBB12_114:                             ;   Parent Loop BB12_3 Depth=1
                                        ; =>  This Loop Header: Depth=2
                                        ;       Child Loop BB12_117 Depth 3
                                        ;       Child Loop BB12_120 Depth 3
	s_mov_b32 s67, exec_lo
	s_delay_alu instid0(VALU_DEP_1)
	v_cmpx_gt_i32_e64 s49, v5
	s_cbranch_execz .LBB12_113
; %bb.115:                              ;   in Loop: Header=BB12_114 Depth=2
	v_ashrrev_i32_e32 v6, 31, v5
	s_mov_b32 s68, exec_lo
	s_delay_alu instid0(VALU_DEP_1) | instskip(NEXT) | instid1(VALU_DEP_1)
	v_lshlrev_b64 v[6:7], 2, v[5:6]
	v_add_co_u32 v8, vcc_lo, s20, v6
	s_delay_alu instid0(VALU_DEP_2)
	v_add_co_ci_u32_e32 v9, vcc_lo, s21, v7, vcc_lo
	v_add_co_u32 v10, vcc_lo, s22, v6
	v_add_co_ci_u32_e32 v11, vcc_lo, s23, v7, vcc_lo
	global_load_b32 v3, v[8:9], off
	global_load_b32 v9, v[10:11], off
	s_waitcnt vmcnt(1)
	v_add_nc_u32_e32 v8, v28, v3
	s_waitcnt vmcnt(0)
	v_subrev_nc_u32_e32 v3, s60, v9
	s_delay_alu instid0(VALU_DEP_1)
	v_cmpx_lt_i32_e64 v8, v3
	s_cbranch_execz .LBB12_118
; %bb.116:                              ;   in Loop: Header=BB12_114 Depth=2
	v_ashrrev_i32_e32 v9, 31, v8
	s_mov_b32 s69, 0
	s_delay_alu instid0(VALU_DEP_1) | instskip(NEXT) | instid1(VALU_DEP_1)
	v_lshlrev_b64 v[11:12], 2, v[8:9]
	v_add_co_u32 v9, vcc_lo, s52, v11
	s_delay_alu instid0(VALU_DEP_2)
	v_add_co_ci_u32_e32 v10, vcc_lo, s53, v12, vcc_lo
	v_add_co_u32 v11, vcc_lo, s26, v11
	v_add_co_ci_u32_e32 v12, vcc_lo, s27, v12, vcc_lo
	.p2align	6
.LBB12_117:                             ;   Parent Loop BB12_3 Depth=1
                                        ;     Parent Loop BB12_114 Depth=2
                                        ; =>    This Inner Loop Header: Depth=3
	global_load_b32 v13, v[9:10], off
	v_add_nc_u32_e32 v8, 32, v8
	v_add_co_u32 v9, vcc_lo, 0x80, v9
	v_add_co_ci_u32_e32 v10, vcc_lo, 0, v10, vcc_lo
	s_delay_alu instid0(VALU_DEP_3) | instskip(SKIP_4) | instid1(VALU_DEP_1)
	v_cmp_ge_i32_e32 vcc_lo, v8, v3
	s_or_b32 s69, vcc_lo, s69
	s_waitcnt vmcnt(0)
	global_store_b32 v[11:12], v13, off
	v_add_co_u32 v11, s10, 0x80, v11
	v_add_co_ci_u32_e64 v12, s10, 0, v12, s10
	s_and_not1_b32 exec_lo, exec_lo, s69
	s_cbranch_execnz .LBB12_117
.LBB12_118:                             ;   in Loop: Header=BB12_114 Depth=2
	s_or_b32 exec_lo, exec_lo, s68
	v_add_co_u32 v8, vcc_lo, s12, v6
	v_add_co_ci_u32_e32 v9, vcc_lo, s13, v7, vcc_lo
	v_add_co_u32 v10, vcc_lo, s14, v6
	v_add_co_ci_u32_e32 v11, vcc_lo, s15, v7, vcc_lo
	s_mov_b32 s68, exec_lo
	global_load_b32 v3, v[8:9], off
	global_load_b32 v9, v[10:11], off
	s_waitcnt vmcnt(1)
	v_add_nc_u32_e32 v8, v29, v3
	s_waitcnt vmcnt(0)
	v_subrev_nc_u32_e32 v3, s61, v9
	s_delay_alu instid0(VALU_DEP_1)
	v_cmpx_lt_i32_e64 v8, v3
	s_cbranch_execz .LBB12_121
; %bb.119:                              ;   in Loop: Header=BB12_114 Depth=2
	v_ashrrev_i32_e32 v9, 31, v8
	s_mov_b32 s69, 0
	s_delay_alu instid0(VALU_DEP_1) | instskip(NEXT) | instid1(VALU_DEP_1)
	v_lshlrev_b64 v[11:12], 2, v[8:9]
	v_add_co_u32 v9, vcc_lo, s50, v11
	s_delay_alu instid0(VALU_DEP_2)
	v_add_co_ci_u32_e32 v10, vcc_lo, s51, v12, vcc_lo
	v_add_co_u32 v11, vcc_lo, s18, v11
	v_add_co_ci_u32_e32 v12, vcc_lo, s19, v12, vcc_lo
	.p2align	6
.LBB12_120:                             ;   Parent Loop BB12_3 Depth=1
                                        ;     Parent Loop BB12_114 Depth=2
                                        ; =>    This Inner Loop Header: Depth=3
	global_load_b32 v13, v[9:10], off
	v_add_nc_u32_e32 v8, 32, v8
	v_add_co_u32 v9, vcc_lo, 0x80, v9
	v_add_co_ci_u32_e32 v10, vcc_lo, 0, v10, vcc_lo
	s_delay_alu instid0(VALU_DEP_3) | instskip(SKIP_4) | instid1(VALU_DEP_1)
	v_cmp_ge_i32_e32 vcc_lo, v8, v3
	s_or_b32 s69, vcc_lo, s69
	s_waitcnt vmcnt(0)
	global_store_b32 v[11:12], v13, off
	v_add_co_u32 v11, s10, 0x80, v11
	v_add_co_ci_u32_e64 v12, s10, 0, v12, s10
	s_and_not1_b32 exec_lo, exec_lo, s69
	s_cbranch_execnz .LBB12_120
.LBB12_121:                             ;   in Loop: Header=BB12_114 Depth=2
	s_or_b32 exec_lo, exec_lo, s68
	s_delay_alu instid0(SALU_CYCLE_1)
	s_and_b32 exec_lo, exec_lo, s9
	s_cbranch_execz .LBB12_113
; %bb.122:                              ;   in Loop: Header=BB12_114 Depth=2
	v_add_co_u32 v8, vcc_lo, s46, v6
	v_add_co_ci_u32_e32 v9, vcc_lo, s47, v7, vcc_lo
	v_add_co_u32 v6, vcc_lo, s44, v6
	v_add_co_ci_u32_e32 v7, vcc_lo, s45, v7, vcc_lo
	global_load_b32 v3, v[8:9], off
	s_waitcnt vmcnt(0)
	global_store_b32 v[6:7], v3, off
	s_branch .LBB12_113
.LBB12_123:                             ;   in Loop: Header=BB12_3 Depth=1
	s_or_b32 exec_lo, exec_lo, s11
	s_mov_b32 s11, -1
	s_and_b32 vcc_lo, exec_lo, s57
	s_mov_b32 s10, -1
	s_cbranch_vccz .LBB12_133
; %bb.124:                              ;   in Loop: Header=BB12_3 Depth=1
	s_and_b32 vcc_lo, exec_lo, s64
                                        ; implicit-def: $sgpr66
	s_cbranch_vccz .LBB12_130
; %bb.125:                              ;   in Loop: Header=BB12_3 Depth=1
	s_and_b32 vcc_lo, exec_lo, s63
                                        ; implicit-def: $sgpr66
	s_cbranch_vccz .LBB12_127
; %bb.126:                              ;   in Loop: Header=BB12_3 Depth=1
	v_cmp_ge_f32_e32 vcc_lo, s48, v1
	s_mov_b32 s10, 0
	s_and_b32 s66, vcc_lo, exec_lo
.LBB12_127:                             ;   in Loop: Header=BB12_3 Depth=1
	s_and_not1_b32 vcc_lo, exec_lo, s10
	s_cbranch_vccnz .LBB12_129
; %bb.128:                              ;   in Loop: Header=BB12_3 Depth=1
	v_cmp_ge_f32_e32 vcc_lo, s48, v2
	s_and_not1_b32 s10, s66, exec_lo
	s_and_b32 s66, vcc_lo, exec_lo
	s_delay_alu instid0(SALU_CYCLE_1)
	s_or_b32 s66, s10, s66
.LBB12_129:                             ;   in Loop: Header=BB12_3 Depth=1
	s_mov_b32 s10, 0
.LBB12_130:                             ;   in Loop: Header=BB12_3 Depth=1
	s_delay_alu instid0(SALU_CYCLE_1)
	s_and_not1_b32 vcc_lo, exec_lo, s10
	s_cbranch_vccnz .LBB12_132
; %bb.131:                              ;   in Loop: Header=BB12_3 Depth=1
	v_cmp_ge_f32_e32 vcc_lo, s48, v2
	v_cmp_ge_f32_e64 s10, s48, v1
	s_and_not1_b32 s66, s66, exec_lo
	s_delay_alu instid0(VALU_DEP_1) | instskip(NEXT) | instid1(SALU_CYCLE_1)
	s_and_b32 s10, vcc_lo, s10
	s_and_b32 s10, s10, exec_lo
	s_delay_alu instid0(SALU_CYCLE_1)
	s_or_b32 s66, s66, s10
.LBB12_132:                             ;   in Loop: Header=BB12_3 Depth=1
	s_delay_alu instid0(SALU_CYCLE_1)
	s_xor_b32 s10, s66, -1
.LBB12_133:                             ;   in Loop: Header=BB12_3 Depth=1
	v_mov_b32_e32 v3, s65
	s_and_saveexec_b32 s66, s10
	s_cbranch_execz .LBB12_2
; %bb.134:                              ;   in Loop: Header=BB12_3 Depth=1
	s_add_i32 s65, s65, 1
	v_mov_b32_e32 v3, s35
	s_cmp_eq_u32 s65, s35
	s_cselect_b32 s10, -1, 0
	s_delay_alu instid0(SALU_CYCLE_1)
	s_or_not1_b32 s11, s10, exec_lo
	s_branch .LBB12_2
.LBB12_135:
	s_or_b32 exec_lo, exec_lo, s58
.LBB12_136:
	s_delay_alu instid0(SALU_CYCLE_1) | instskip(NEXT) | instid1(SALU_CYCLE_1)
	s_or_b32 exec_lo, exec_lo, s34
	s_and_not1_b32 vcc_lo, exec_lo, s57
	s_cbranch_vccnz .LBB12_153
; %bb.137:
	v_xor_b32_e32 v4, 16, v23
	v_xor_b32_e32 v5, 8, v23
	s_mov_b32 s2, exec_lo
	s_delay_alu instid0(VALU_DEP_2) | instskip(SKIP_1) | instid1(VALU_DEP_3)
	v_cmp_gt_i32_e32 vcc_lo, 32, v4
	v_cndmask_b32_e32 v4, v23, v4, vcc_lo
	v_cmp_gt_i32_e32 vcc_lo, 32, v5
	v_cndmask_b32_e32 v5, v23, v5, vcc_lo
	s_delay_alu instid0(VALU_DEP_1) | instskip(NEXT) | instid1(VALU_DEP_4)
	v_lshlrev_b32_e32 v5, 2, v5
	v_lshlrev_b32_e32 v4, 2, v4
	ds_bpermute_b32 v4, v4, v3
	s_waitcnt lgkmcnt(0)
	v_max_i32_e32 v3, v3, v4
	ds_bpermute_b32 v4, v5, v3
	v_xor_b32_e32 v5, 4, v23
	s_delay_alu instid0(VALU_DEP_1) | instskip(SKIP_1) | instid1(VALU_DEP_1)
	v_cmp_gt_i32_e32 vcc_lo, 32, v5
	v_cndmask_b32_e32 v5, v23, v5, vcc_lo
	v_lshlrev_b32_e32 v5, 2, v5
	s_waitcnt lgkmcnt(0)
	v_max_i32_e32 v3, v3, v4
	ds_bpermute_b32 v4, v5, v3
	v_xor_b32_e32 v5, 2, v23
	s_delay_alu instid0(VALU_DEP_1) | instskip(SKIP_1) | instid1(VALU_DEP_1)
	v_cmp_gt_i32_e32 vcc_lo, 32, v5
	v_cndmask_b32_e32 v5, v23, v5, vcc_lo
	v_lshlrev_b32_e32 v5, 2, v5
	s_waitcnt lgkmcnt(0)
	v_max_i32_e32 v3, v3, v4
	ds_bpermute_b32 v4, v5, v3
	v_xor_b32_e32 v5, 1, v23
	s_delay_alu instid0(VALU_DEP_1) | instskip(SKIP_3) | instid1(VALU_DEP_2)
	v_cmp_gt_i32_e32 vcc_lo, 32, v5
	v_cndmask_b32_e32 v5, v23, v5, vcc_lo
	s_waitcnt lgkmcnt(0)
	v_max_i32_e32 v3, v3, v4
	v_lshlrev_b32_e32 v4, 2, v5
	ds_bpermute_b32 v4, v4, v3
	v_cmpx_eq_u32_e32 31, v24
	s_cbranch_execz .LBB12_139
; %bb.138:
	v_lshlrev_b32_e32 v5, 2, v22
	s_waitcnt lgkmcnt(0)
	v_max_i32_e32 v3, v3, v4
	ds_store_b32 v5, v3 offset:128
.LBB12_139:
	s_or_b32 exec_lo, exec_lo, s2
	s_delay_alu instid0(SALU_CYCLE_1)
	s_mov_b32 s2, exec_lo
	s_waitcnt lgkmcnt(0)
	s_waitcnt_vscnt null, 0x0
	s_barrier
	buffer_gl0_inv
	v_cmpx_gt_u32_e32 16, v0
	s_cbranch_execz .LBB12_141
; %bb.140:
	ds_load_2addr_b32 v[3:4], v21 offset0:32 offset1:48
	s_waitcnt lgkmcnt(0)
	v_max_i32_e32 v3, v3, v4
	ds_store_b32 v21, v3 offset:128
.LBB12_141:
	s_or_b32 exec_lo, exec_lo, s2
	s_delay_alu instid0(SALU_CYCLE_1)
	s_mov_b32 s2, exec_lo
	s_waitcnt lgkmcnt(0)
	s_barrier
	buffer_gl0_inv
	v_cmpx_gt_u32_e32 8, v0
	s_cbranch_execz .LBB12_143
; %bb.142:
	ds_load_2addr_b32 v[3:4], v21 offset0:32 offset1:40
	s_waitcnt lgkmcnt(0)
	v_max_i32_e32 v3, v3, v4
	ds_store_b32 v21, v3 offset:128
.LBB12_143:
	s_or_b32 exec_lo, exec_lo, s2
	s_delay_alu instid0(SALU_CYCLE_1)
	s_mov_b32 s2, exec_lo
	s_waitcnt lgkmcnt(0)
	;; [unrolled: 14-line block ×3, first 2 shown]
	s_barrier
	buffer_gl0_inv
	v_cmpx_gt_u32_e32 2, v0
	s_cbranch_execz .LBB12_147
; %bb.146:
	ds_load_2addr_b32 v[3:4], v21 offset0:32 offset1:34
	s_waitcnt lgkmcnt(0)
	v_max_i32_e32 v3, v3, v4
	ds_store_b32 v21, v3 offset:128
.LBB12_147:
	s_or_b32 exec_lo, exec_lo, s2
	v_cmp_eq_u32_e32 vcc_lo, 0, v0
	s_waitcnt lgkmcnt(0)
	s_barrier
	buffer_gl0_inv
	s_and_saveexec_b32 s2, vcc_lo
	s_cbranch_execz .LBB12_149
; %bb.148:
	v_mov_b32_e32 v5, 0
	ds_load_b64 v[3:4], v5 offset:128
	s_waitcnt lgkmcnt(0)
	v_max_i32_e32 v3, v3, v4
	ds_store_b32 v5, v3 offset:128
.LBB12_149:
	s_or_b32 exec_lo, exec_lo, s2
	s_waitcnt lgkmcnt(0)
	s_barrier
	buffer_gl0_inv
	s_and_saveexec_b32 s2, vcc_lo
	s_cbranch_execz .LBB12_152
; %bb.150:
	v_mbcnt_lo_u32_b32 v3, exec_lo, 0
	s_delay_alu instid0(VALU_DEP_1)
	v_cmp_eq_u32_e32 vcc_lo, 0, v3
	s_and_b32 exec_lo, exec_lo, vcc_lo
	s_cbranch_execz .LBB12_152
; %bb.151:
	v_mov_b32_e32 v3, 0
	s_load_b64 s[0:1], s[0:1], 0x8
	ds_load_b32 v4, v3 offset:128
	s_waitcnt lgkmcnt(0)
	v_add_nc_u32_e32 v4, 1, v4
	global_atomic_max_i32 v3, v4, s[0:1]
.LBB12_152:
	s_or_b32 exec_lo, exec_lo, s2
.LBB12_153:
	v_cmp_eq_u32_e32 vcc_lo, 0, v0
	s_mov_b32 s2, 0
	s_and_b32 s0, vcc_lo, s56
	s_delay_alu instid0(SALU_CYCLE_1)
	s_and_saveexec_b32 s3, s0
	s_cbranch_execz .LBB12_158
; %bb.154:
	v_mov_b32_e32 v0, 0
	v_cmp_eq_f32_e64 s0, 0, v2
                                        ; implicit-def: $sgpr4
                                        ; implicit-def: $sgpr5
	global_load_b32 v3, v0, s[28:29] glc
	s_waitcnt vmcnt(0)
	v_cmp_eq_u32_e64 s6, 0x80000000, v3
	s_set_inst_prefetch_distance 0x1
	s_branch .LBB12_156
	.p2align	6
.LBB12_155:                             ;   in Loop: Header=BB12_156 Depth=1
	s_or_b32 exec_lo, exec_lo, s7
	s_delay_alu instid0(SALU_CYCLE_1) | instskip(NEXT) | instid1(SALU_CYCLE_1)
	s_and_b32 s1, exec_lo, s4
	s_or_b32 s2, s1, s2
	s_and_not1_b32 s1, s6, exec_lo
	s_and_b32 s6, s5, exec_lo
	s_delay_alu instid0(SALU_CYCLE_1)
	s_or_b32 s6, s1, s6
	s_and_not1_b32 exec_lo, exec_lo, s2
	s_cbranch_execz .LBB12_158
.LBB12_156:                             ; =>This Inner Loop Header: Depth=1
	v_cmp_lt_f32_e64 s1, v3, v2
	s_delay_alu instid0(VALU_DEP_2) | instskip(SKIP_2) | instid1(VALU_DEP_1)
	s_and_b32 s7, s0, s6
	s_and_not1_b32 s5, s5, exec_lo
	s_or_b32 s4, s4, exec_lo
	s_or_b32 s1, s1, s7
	s_delay_alu instid0(SALU_CYCLE_1)
	s_and_saveexec_b32 s7, s1
	s_cbranch_execz .LBB12_155
; %bb.157:                              ;   in Loop: Header=BB12_156 Depth=1
	global_atomic_cmpswap_b32 v4, v0, v[2:3], s[28:29] glc
	s_and_not1_b32 s5, s5, exec_lo
	s_and_not1_b32 s4, s4, exec_lo
	s_waitcnt vmcnt(0)
	v_cmp_eq_u32_e64 s1, v4, v3
	s_delay_alu instid0(VALU_DEP_1) | instskip(SKIP_1) | instid1(SALU_CYCLE_1)
	v_cndmask_b32_e64 v3, v4, v3, s1
	s_and_b32 s1, s1, exec_lo
	s_or_b32 s4, s4, s1
	s_delay_alu instid0(VALU_DEP_1) | instskip(SKIP_1) | instid1(VALU_DEP_2)
	v_cmp_class_f32_e64 s6, v3, 32
	v_mov_b32_e32 v3, v4
	s_and_b32 s6, s6, exec_lo
	s_delay_alu instid0(SALU_CYCLE_1)
	s_or_b32 s5, s5, s6
                                        ; implicit-def: $sgpr6
	s_branch .LBB12_155
.LBB12_158:
	s_set_inst_prefetch_distance 0x2
	s_or_b32 exec_lo, exec_lo, s3
	s_and_b32 s0, vcc_lo, s33
	s_delay_alu instid0(SALU_CYCLE_1)
	s_and_saveexec_b32 s1, s0
	s_cbranch_execz .LBB12_163
; %bb.159:
	v_mov_b32_e32 v0, 0
	v_cmp_eq_f32_e32 vcc_lo, 0, v1
	s_mov_b32 s1, 0
                                        ; implicit-def: $sgpr2
                                        ; implicit-def: $sgpr3
	global_load_b32 v2, v0, s[30:31] glc
	s_waitcnt vmcnt(0)
	v_cmp_eq_u32_e64 s4, 0x80000000, v2
	s_set_inst_prefetch_distance 0x1
	s_branch .LBB12_161
	.p2align	6
.LBB12_160:                             ;   in Loop: Header=BB12_161 Depth=1
	s_or_b32 exec_lo, exec_lo, s5
	s_delay_alu instid0(SALU_CYCLE_1) | instskip(NEXT) | instid1(SALU_CYCLE_1)
	s_and_b32 s0, exec_lo, s2
	s_or_b32 s1, s0, s1
	s_and_not1_b32 s0, s4, exec_lo
	s_and_b32 s4, s3, exec_lo
	s_delay_alu instid0(SALU_CYCLE_1)
	s_or_b32 s4, s0, s4
	s_and_not1_b32 exec_lo, exec_lo, s1
	s_cbranch_execz .LBB12_163
.LBB12_161:                             ; =>This Inner Loop Header: Depth=1
	v_cmp_lt_f32_e64 s0, v2, v1
	s_delay_alu instid0(VALU_DEP_2) | instskip(SKIP_2) | instid1(VALU_DEP_1)
	s_and_b32 s5, vcc_lo, s4
	s_and_not1_b32 s3, s3, exec_lo
	s_or_b32 s2, s2, exec_lo
	s_or_b32 s0, s0, s5
	s_delay_alu instid0(SALU_CYCLE_1)
	s_and_saveexec_b32 s5, s0
	s_cbranch_execz .LBB12_160
; %bb.162:                              ;   in Loop: Header=BB12_161 Depth=1
	global_atomic_cmpswap_b32 v3, v0, v[1:2], s[30:31] glc
	s_and_not1_b32 s3, s3, exec_lo
	s_and_not1_b32 s2, s2, exec_lo
	s_waitcnt vmcnt(0)
	v_cmp_eq_u32_e64 s0, v3, v2
	s_delay_alu instid0(VALU_DEP_1) | instskip(SKIP_1) | instid1(SALU_CYCLE_1)
	v_cndmask_b32_e64 v2, v3, v2, s0
	s_and_b32 s0, s0, exec_lo
	s_or_b32 s2, s2, s0
	s_delay_alu instid0(VALU_DEP_1) | instskip(SKIP_1) | instid1(VALU_DEP_2)
	v_cmp_class_f32_e64 s4, v2, 32
	v_mov_b32_e32 v2, v3
	s_and_b32 s4, s4, exec_lo
	s_delay_alu instid0(SALU_CYCLE_1)
	s_or_b32 s3, s3, s4
                                        ; implicit-def: $sgpr4
	s_branch .LBB12_160
.LBB12_163:
	s_set_inst_prefetch_distance 0x2
	s_nop 0
	s_sendmsg sendmsg(MSG_DEALLOC_VGPRS)
	s_endpgm
	.section	.rodata,"a",@progbits
	.p2align	6, 0x0
	.amdhsa_kernel _ZN9rocsparseL6kernelILi1024ELi32EfiiEEvbbbT3_PS1_NS_15floating_traitsIT1_E6data_tES1_T2_PKS7_S9_PKS1_PKS4_21rocsparse_index_base_S9_S9_SB_PS4_SF_SE_S9_S9_SB_SF_SF_SE_SF_SF_PS6_SG_PKS6_
		.amdhsa_group_segment_fixed_size 256
		.amdhsa_private_segment_fixed_size 0
		.amdhsa_kernarg_size 208
		.amdhsa_user_sgpr_count 15
		.amdhsa_user_sgpr_dispatch_ptr 0
		.amdhsa_user_sgpr_queue_ptr 0
		.amdhsa_user_sgpr_kernarg_segment_ptr 1
		.amdhsa_user_sgpr_dispatch_id 0
		.amdhsa_user_sgpr_private_segment_size 0
		.amdhsa_wavefront_size32 1
		.amdhsa_uses_dynamic_stack 0
		.amdhsa_enable_private_segment 0
		.amdhsa_system_sgpr_workgroup_id_x 1
		.amdhsa_system_sgpr_workgroup_id_y 0
		.amdhsa_system_sgpr_workgroup_id_z 0
		.amdhsa_system_sgpr_workgroup_info 0
		.amdhsa_system_vgpr_workitem_id 0
		.amdhsa_next_free_vgpr 46
		.amdhsa_next_free_sgpr 80
		.amdhsa_reserve_vcc 1
		.amdhsa_float_round_mode_32 0
		.amdhsa_float_round_mode_16_64 0
		.amdhsa_float_denorm_mode_32 3
		.amdhsa_float_denorm_mode_16_64 3
		.amdhsa_dx10_clamp 1
		.amdhsa_ieee_mode 1
		.amdhsa_fp16_overflow 0
		.amdhsa_workgroup_processor_mode 1
		.amdhsa_memory_ordered 1
		.amdhsa_forward_progress 0
		.amdhsa_shared_vgpr_count 0
		.amdhsa_exception_fp_ieee_invalid_op 0
		.amdhsa_exception_fp_denorm_src 0
		.amdhsa_exception_fp_ieee_div_zero 0
		.amdhsa_exception_fp_ieee_overflow 0
		.amdhsa_exception_fp_ieee_underflow 0
		.amdhsa_exception_fp_ieee_inexact 0
		.amdhsa_exception_int_div_zero 0
	.end_amdhsa_kernel
	.section	.text._ZN9rocsparseL6kernelILi1024ELi32EfiiEEvbbbT3_PS1_NS_15floating_traitsIT1_E6data_tES1_T2_PKS7_S9_PKS1_PKS4_21rocsparse_index_base_S9_S9_SB_PS4_SF_SE_S9_S9_SB_SF_SF_SE_SF_SF_PS6_SG_PKS6_,"axG",@progbits,_ZN9rocsparseL6kernelILi1024ELi32EfiiEEvbbbT3_PS1_NS_15floating_traitsIT1_E6data_tES1_T2_PKS7_S9_PKS1_PKS4_21rocsparse_index_base_S9_S9_SB_PS4_SF_SE_S9_S9_SB_SF_SF_SE_SF_SF_PS6_SG_PKS6_,comdat
.Lfunc_end12:
	.size	_ZN9rocsparseL6kernelILi1024ELi32EfiiEEvbbbT3_PS1_NS_15floating_traitsIT1_E6data_tES1_T2_PKS7_S9_PKS1_PKS4_21rocsparse_index_base_S9_S9_SB_PS4_SF_SE_S9_S9_SB_SF_SF_SE_SF_SF_PS6_SG_PKS6_, .Lfunc_end12-_ZN9rocsparseL6kernelILi1024ELi32EfiiEEvbbbT3_PS1_NS_15floating_traitsIT1_E6data_tES1_T2_PKS7_S9_PKS1_PKS4_21rocsparse_index_base_S9_S9_SB_PS4_SF_SE_S9_S9_SB_SF_SF_SE_SF_SF_PS6_SG_PKS6_
                                        ; -- End function
	.section	.AMDGPU.csdata,"",@progbits
; Kernel info:
; codeLenInByte = 6080
; NumSgprs: 82
; NumVgprs: 46
; ScratchSize: 0
; MemoryBound: 0
; FloatMode: 240
; IeeeMode: 1
; LDSByteSize: 256 bytes/workgroup (compile time only)
; SGPRBlocks: 10
; VGPRBlocks: 5
; NumSGPRsForWavesPerEU: 82
; NumVGPRsForWavesPerEU: 46
; Occupancy: 16
; WaveLimiterHint : 1
; COMPUTE_PGM_RSRC2:SCRATCH_EN: 0
; COMPUTE_PGM_RSRC2:USER_SGPR: 15
; COMPUTE_PGM_RSRC2:TRAP_HANDLER: 0
; COMPUTE_PGM_RSRC2:TGID_X_EN: 1
; COMPUTE_PGM_RSRC2:TGID_Y_EN: 0
; COMPUTE_PGM_RSRC2:TGID_Z_EN: 0
; COMPUTE_PGM_RSRC2:TIDIG_COMP_CNT: 0
	.section	.text._ZN9rocsparseL6kernelILi1024ELi64EfiiEEvbbbT3_PS1_NS_15floating_traitsIT1_E6data_tES1_T2_PKS7_S9_PKS1_PKS4_21rocsparse_index_base_S9_S9_SB_PS4_SF_SE_S9_S9_SB_SF_SF_SE_SF_SF_PS6_SG_PKS6_,"axG",@progbits,_ZN9rocsparseL6kernelILi1024ELi64EfiiEEvbbbT3_PS1_NS_15floating_traitsIT1_E6data_tES1_T2_PKS7_S9_PKS1_PKS4_21rocsparse_index_base_S9_S9_SB_PS4_SF_SE_S9_S9_SB_SF_SF_SE_SF_SF_PS6_SG_PKS6_,comdat
	.globl	_ZN9rocsparseL6kernelILi1024ELi64EfiiEEvbbbT3_PS1_NS_15floating_traitsIT1_E6data_tES1_T2_PKS7_S9_PKS1_PKS4_21rocsparse_index_base_S9_S9_SB_PS4_SF_SE_S9_S9_SB_SF_SF_SE_SF_SF_PS6_SG_PKS6_ ; -- Begin function _ZN9rocsparseL6kernelILi1024ELi64EfiiEEvbbbT3_PS1_NS_15floating_traitsIT1_E6data_tES1_T2_PKS7_S9_PKS1_PKS4_21rocsparse_index_base_S9_S9_SB_PS4_SF_SE_S9_S9_SB_SF_SF_SE_SF_SF_PS6_SG_PKS6_
	.p2align	8
	.type	_ZN9rocsparseL6kernelILi1024ELi64EfiiEEvbbbT3_PS1_NS_15floating_traitsIT1_E6data_tES1_T2_PKS7_S9_PKS1_PKS4_21rocsparse_index_base_S9_S9_SB_PS4_SF_SE_S9_S9_SB_SF_SF_SE_SF_SF_PS6_SG_PKS6_,@function
_ZN9rocsparseL6kernelILi1024ELi64EfiiEEvbbbT3_PS1_NS_15floating_traitsIT1_E6data_tES1_T2_PKS7_S9_PKS1_PKS4_21rocsparse_index_base_S9_S9_SB_PS4_SF_SE_S9_S9_SB_SF_SF_SE_SF_SF_PS6_SG_PKS6_: ; @_ZN9rocsparseL6kernelILi1024ELi64EfiiEEvbbbT3_PS1_NS_15floating_traitsIT1_E6data_tES1_T2_PKS7_S9_PKS1_PKS4_21rocsparse_index_base_S9_S9_SB_PS4_SF_SE_S9_S9_SB_SF_SF_SE_SF_SF_PS6_SG_PKS6_
; %bb.0:
	s_clause 0x3
	s_load_b32 s2, s[0:1], 0x0
	s_load_b64 s[10:11], s[0:1], 0x0
	s_load_b64 s[34:35], s[0:1], 0x10
	s_load_b128 s[28:31], s[0:1], 0xb8
	v_lshrrev_b32_e32 v22, 6, v0
	v_dual_mov_b32 v1, 0 :: v_dual_mov_b32 v2, 0
	v_mbcnt_lo_u32_b32 v23, -1, 0
	v_lshlrev_b32_e32 v21, 2, v0
	v_dual_mov_b32 v3, 0 :: v_dual_and_b32 v24, 63, v0
	s_mov_b32 s57, 0
	ds_store_b32 v21, v1
	s_waitcnt lgkmcnt(0)
	s_barrier
	buffer_gl0_inv
	s_bitcmp1_b32 s2, 0
	s_cselect_b32 s55, -1, 0
	s_bitcmp1_b32 s2, 8
	s_cselect_b32 s54, -1, 0
	;; [unrolled: 2-line block ×3, first 2 shown]
	s_lshl_b32 s61, s15, 10
	s_cmp_gt_i32 s11, 0
	v_or_b32_e32 v25, s61, v22
	s_cselect_b32 s2, -1, 0
	s_delay_alu instid0(VALU_DEP_1) | instskip(SKIP_1) | instid1(SALU_CYCLE_1)
	v_cmp_gt_i32_e32 vcc_lo, s35, v25
	s_and_b32 s2, s2, vcc_lo
	s_and_saveexec_b32 s56, s2
	s_cbranch_execz .LBB13_132
; %bb.1:
	s_clause 0x9
	s_load_b32 s58, s[0:1], 0x40
	s_load_b32 s59, s[0:1], 0x70
	;; [unrolled: 1-line block ×3, first 2 shown]
	s_load_b64 s[48:49], s[0:1], 0x98
	s_load_b64 s[50:51], s[0:1], 0x68
	;; [unrolled: 1-line block ×3, first 2 shown]
	s_load_b128 s[44:47], s[0:1], 0xa8
	s_load_b256 s[12:19], s[0:1], 0x78
	s_load_b256 s[20:27], s[0:1], 0x48
	;; [unrolled: 1-line block ×3, first 2 shown]
	s_addk_i32 s61, 0x400
	v_cmp_eq_u32_e64 s2, 63, v24
	v_dual_mov_b32 v1, 0 :: v_dual_lshlrev_b32 v26, 2, v22
	v_cmp_gt_u32_e64 s3, 8, v0
	v_cmp_gt_u32_e64 s4, 4, v0
	v_cmp_gt_u32_e64 s5, 2, v0
	v_cmp_eq_u32_e64 s6, 0, v0
	v_cmp_gt_u32_e64 s7, s61, v25
	v_cmp_eq_u32_e64 s8, 0, v24
	s_waitcnt lgkmcnt(0)
	v_subrev_nc_u32_e32 v27, s58, v24
	v_subrev_nc_u32_e32 v28, s59, v24
	v_subrev_nc_u32_e32 v29, s60, v24
	v_mov_b32_e32 v4, 0
	v_mov_b32_e32 v30, 0
	;; [unrolled: 1-line block ×3, first 2 shown]
	s_and_b32 s9, s54, s33
	s_xor_b32 s62, s54, -1
	s_xor_b32 s63, s9, -1
	s_mov_b32 s64, 0
	s_branch .LBB13_3
.LBB13_2:                               ;   in Loop: Header=BB13_3 Depth=1
	s_or_b32 exec_lo, exec_lo, s65
	s_delay_alu instid0(SALU_CYCLE_1) | instskip(NEXT) | instid1(SALU_CYCLE_1)
	s_and_b32 s9, exec_lo, s10
	s_or_b32 s57, s9, s57
	s_delay_alu instid0(SALU_CYCLE_1)
	s_and_not1_b32 exec_lo, exec_lo, s57
	s_cbranch_execz .LBB13_131
.LBB13_3:                               ; =>This Loop Header: Depth=1
                                        ;     Child Loop BB13_7 Depth 2
                                        ;       Child Loop BB13_12 Depth 3
                                        ;         Child Loop BB13_16 Depth 4
                                        ;         Child Loop BB13_37 Depth 4
	;; [unrolled: 1-line block ×5, first 2 shown]
                                        ;     Child Loop BB13_110 Depth 2
                                        ;       Child Loop BB13_113 Depth 3
                                        ;       Child Loop BB13_116 Depth 3
	v_cndmask_b32_e64 v2, v2, 0, s54
	v_cndmask_b32_e64 v1, v1, 0, s33
	s_mov_b32 s65, 0
	s_branch .LBB13_7
.LBB13_4:                               ;   in Loop: Header=BB13_7 Depth=2
	s_or_b32 exec_lo, exec_lo, s68
.LBB13_5:                               ;   in Loop: Header=BB13_7 Depth=2
	s_delay_alu instid0(SALU_CYCLE_1)
	s_or_b32 exec_lo, exec_lo, s67
.LBB13_6:                               ;   in Loop: Header=BB13_7 Depth=2
	s_delay_alu instid0(SALU_CYCLE_1) | instskip(SKIP_1) | instid1(SALU_CYCLE_1)
	s_or_b32 exec_lo, exec_lo, s66
	s_add_i32 s65, s65, 1
	s_cmp_eq_u32 s65, 64
	s_cbranch_scc1 .LBB13_83
.LBB13_7:                               ;   Parent Loop BB13_3 Depth=1
                                        ; =>  This Loop Header: Depth=2
                                        ;       Child Loop BB13_12 Depth 3
                                        ;         Child Loop BB13_16 Depth 4
                                        ;         Child Loop BB13_37 Depth 4
	;; [unrolled: 1-line block ×5, first 2 shown]
	v_lshl_add_u32 v5, s65, 4, v25
	s_mov_b32 s66, exec_lo
	s_delay_alu instid0(VALU_DEP_1)
	v_cmpx_gt_i32_e64 s35, v5
	s_cbranch_execz .LBB13_6
; %bb.8:                                ;   in Loop: Header=BB13_7 Depth=2
	v_ashrrev_i32_e32 v6, 31, v5
	s_mov_b32 s67, exec_lo
	s_delay_alu instid0(VALU_DEP_1) | instskip(NEXT) | instid1(VALU_DEP_1)
	v_lshlrev_b64 v[7:8], 2, v[5:6]
	v_add_co_u32 v9, vcc_lo, s36, v7
	s_delay_alu instid0(VALU_DEP_2)
	v_add_co_ci_u32_e32 v10, vcc_lo, s37, v8, vcc_lo
	v_add_co_u32 v11, vcc_lo, s38, v7
	v_add_co_ci_u32_e32 v12, vcc_lo, s39, v8, vcc_lo
	global_load_b32 v3, v[9:10], off
	global_load_b32 v9, v[11:12], off
	s_waitcnt vmcnt(1)
	v_add_nc_u32_e32 v6, v27, v3
	s_waitcnt vmcnt(0)
	v_subrev_nc_u32_e32 v31, s58, v9
	s_delay_alu instid0(VALU_DEP_1)
	v_cmpx_lt_i32_e64 v6, v31
	s_cbranch_execz .LBB13_5
; %bb.9:                                ;   in Loop: Header=BB13_7 Depth=2
	v_add_co_u32 v9, vcc_lo, s20, v7
	v_add_co_ci_u32_e32 v10, vcc_lo, s21, v8, vcc_lo
	v_add_co_u32 v7, vcc_lo, s22, v7
	v_add_co_ci_u32_e32 v8, vcc_lo, s23, v8, vcc_lo
	global_load_b32 v3, v[9:10], off
	s_mov_b32 s68, 0
	global_load_b32 v7, v[7:8], off
	s_waitcnt vmcnt(1)
	v_subrev_nc_u32_e32 v8, s59, v3
	s_waitcnt vmcnt(0)
	v_sub_nc_u32_e32 v32, v7, v3
	s_delay_alu instid0(VALU_DEP_2) | instskip(NEXT) | instid1(VALU_DEP_2)
	v_ashrrev_i32_e32 v9, 31, v8
	v_cmp_lt_i32_e64 s9, 0, v32
	s_delay_alu instid0(VALU_DEP_2) | instskip(NEXT) | instid1(VALU_DEP_1)
	v_lshlrev_b64 v[9:10], 2, v[8:9]
	v_add_co_u32 v33, vcc_lo, s24, v9
	s_delay_alu instid0(VALU_DEP_2)
	v_add_co_ci_u32_e32 v34, vcc_lo, s25, v10, vcc_lo
	v_add_co_u32 v35, vcc_lo, s26, v9
	v_add_co_ci_u32_e32 v36, vcc_lo, s27, v10, vcc_lo
	s_branch .LBB13_12
.LBB13_10:                              ;   in Loop: Header=BB13_12 Depth=3
	s_or_b32 exec_lo, exec_lo, s69
.LBB13_11:                              ;   in Loop: Header=BB13_12 Depth=3
	s_delay_alu instid0(SALU_CYCLE_1) | instskip(SKIP_1) | instid1(VALU_DEP_1)
	s_or_b32 exec_lo, exec_lo, s10
	v_add_nc_u32_e32 v6, 64, v6
	v_cmp_ge_i32_e32 vcc_lo, v6, v31
	s_or_b32 s68, vcc_lo, s68
	s_delay_alu instid0(SALU_CYCLE_1)
	s_and_not1_b32 exec_lo, exec_lo, s68
	s_cbranch_execz .LBB13_4
.LBB13_12:                              ;   Parent Loop BB13_3 Depth=1
                                        ;     Parent Loop BB13_7 Depth=2
                                        ; =>    This Loop Header: Depth=3
                                        ;         Child Loop BB13_16 Depth 4
                                        ;         Child Loop BB13_37 Depth 4
	;; [unrolled: 1-line block ×5, first 2 shown]
	v_ashrrev_i32_e32 v7, 31, v6
	s_delay_alu instid0(VALU_DEP_1) | instskip(SKIP_1) | instid1(VALU_DEP_2)
	v_lshlrev_b64 v[15:16], 2, v[6:7]
	v_mov_b32_e32 v7, 0
	v_add_co_u32 v9, vcc_lo, s40, v15
	s_delay_alu instid0(VALU_DEP_3) | instskip(SKIP_3) | instid1(VALU_DEP_1)
	v_add_co_ci_u32_e32 v10, vcc_lo, s41, v16, vcc_lo
	global_load_b32 v3, v[9:10], off
	s_waitcnt vmcnt(0)
	v_subrev_nc_u32_e32 v11, s58, v3
	v_ashrrev_i32_e32 v12, 31, v11
	s_delay_alu instid0(VALU_DEP_1) | instskip(NEXT) | instid1(VALU_DEP_1)
	v_lshlrev_b64 v[9:10], 2, v[11:12]
	v_add_co_u32 v12, vcc_lo, s12, v9
	s_delay_alu instid0(VALU_DEP_2)
	v_add_co_ci_u32_e32 v13, vcc_lo, s13, v10, vcc_lo
	v_add_co_u32 v17, vcc_lo, s14, v9
	v_add_co_ci_u32_e32 v18, vcc_lo, s15, v10, vcc_lo
	global_load_b32 v3, v[12:13], off
	global_load_b32 v14, v[17:18], off
	v_mov_b32_e32 v13, 0
	s_waitcnt vmcnt(1)
	v_subrev_nc_u32_e32 v12, s60, v3
	s_waitcnt vmcnt(0)
	v_sub_nc_u32_e32 v37, v14, v3
	v_mov_b32_e32 v3, 0
	s_and_saveexec_b32 s69, s9
	s_cbranch_execz .LBB13_20
; %bb.13:                               ;   in Loop: Header=BB13_12 Depth=3
	v_ashrrev_i32_e32 v13, 31, v12
	v_mov_b32_e32 v3, 0
	v_mov_b32_e32 v7, 0
	s_mov_b32 s70, 0
                                        ; implicit-def: $sgpr71
	s_delay_alu instid0(VALU_DEP_3) | instskip(NEXT) | instid1(VALU_DEP_1)
	v_lshlrev_b64 v[13:14], 2, v[12:13]
	v_add_co_u32 v38, vcc_lo, s16, v13
	s_delay_alu instid0(VALU_DEP_2)
	v_add_co_ci_u32_e32 v39, vcc_lo, s17, v14, vcc_lo
	v_add_co_u32 v40, vcc_lo, s18, v13
	v_add_co_ci_u32_e32 v41, vcc_lo, s19, v14, vcc_lo
	v_mov_b32_e32 v13, v3
	s_branch .LBB13_16
.LBB13_14:                              ;   in Loop: Header=BB13_16 Depth=4
	s_or_b32 exec_lo, exec_lo, s10
	v_cmp_le_i32_e32 vcc_lo, v14, v42
	v_cmp_ge_i32_e64 s10, v14, v42
	v_add_co_ci_u32_e32 v3, vcc_lo, 0, v3, vcc_lo
	s_delay_alu instid0(VALU_DEP_2) | instskip(SKIP_1) | instid1(VALU_DEP_2)
	v_add_co_ci_u32_e64 v13, s10, 0, v13, s10
	s_and_not1_b32 s10, s71, exec_lo
	v_cmp_ge_i32_e32 vcc_lo, v3, v32
	s_and_b32 s71, vcc_lo, exec_lo
	s_delay_alu instid0(SALU_CYCLE_1)
	s_or_b32 s71, s10, s71
.LBB13_15:                              ;   in Loop: Header=BB13_16 Depth=4
	s_or_b32 exec_lo, exec_lo, s72
	s_delay_alu instid0(SALU_CYCLE_1) | instskip(NEXT) | instid1(SALU_CYCLE_1)
	s_and_b32 s10, exec_lo, s71
	s_or_b32 s70, s10, s70
	s_delay_alu instid0(SALU_CYCLE_1)
	s_and_not1_b32 exec_lo, exec_lo, s70
	s_cbranch_execz .LBB13_19
.LBB13_16:                              ;   Parent Loop BB13_3 Depth=1
                                        ;     Parent Loop BB13_7 Depth=2
                                        ;       Parent Loop BB13_12 Depth=3
                                        ; =>      This Inner Loop Header: Depth=4
	s_or_b32 s71, s71, exec_lo
	s_mov_b32 s72, exec_lo
	s_delay_alu instid0(VALU_DEP_1)
	v_cmpx_lt_i32_e64 v13, v37
	s_cbranch_execz .LBB13_15
; %bb.17:                               ;   in Loop: Header=BB13_16 Depth=4
	v_mov_b32_e32 v14, v4
	v_lshlrev_b64 v[19:20], 2, v[3:4]
	s_mov_b32 s10, exec_lo
	s_delay_alu instid0(VALU_DEP_2) | instskip(NEXT) | instid1(VALU_DEP_2)
	v_lshlrev_b64 v[17:18], 2, v[13:14]
	v_add_co_u32 v42, vcc_lo, v33, v19
	s_delay_alu instid0(VALU_DEP_3) | instskip(NEXT) | instid1(VALU_DEP_3)
	v_add_co_ci_u32_e32 v43, vcc_lo, v34, v20, vcc_lo
	v_add_co_u32 v44, vcc_lo, v38, v17
	s_delay_alu instid0(VALU_DEP_4)
	v_add_co_ci_u32_e32 v45, vcc_lo, v39, v18, vcc_lo
	global_load_b32 v14, v[42:43], off
	global_load_b32 v42, v[44:45], off
	s_waitcnt vmcnt(1)
	v_subrev_nc_u32_e32 v14, s59, v14
	s_waitcnt vmcnt(0)
	v_subrev_nc_u32_e32 v42, s60, v42
	s_delay_alu instid0(VALU_DEP_1)
	v_cmpx_eq_u32_e64 v14, v42
	s_cbranch_execz .LBB13_14
; %bb.18:                               ;   in Loop: Header=BB13_16 Depth=4
	v_add_co_u32 v19, vcc_lo, v35, v19
	v_add_co_ci_u32_e32 v20, vcc_lo, v36, v20, vcc_lo
	v_add_co_u32 v17, vcc_lo, v40, v17
	v_add_co_ci_u32_e32 v18, vcc_lo, v41, v18, vcc_lo
	global_load_b32 v19, v[19:20], off
	global_load_b32 v17, v[17:18], off
	s_waitcnt vmcnt(0)
	v_fmac_f32_e32 v7, v19, v17
	s_branch .LBB13_14
.LBB13_19:                              ;   in Loop: Header=BB13_12 Depth=3
	s_or_b32 exec_lo, exec_lo, s70
.LBB13_20:                              ;   in Loop: Header=BB13_12 Depth=3
	s_delay_alu instid0(SALU_CYCLE_1)
	s_or_b32 exec_lo, exec_lo, s69
	v_add_co_u32 v14, vcc_lo, s42, v15
	v_add_co_ci_u32_e32 v15, vcc_lo, s43, v16, vcc_lo
	v_cmp_le_i32_e64 s10, v5, v11
	s_mov_b32 s69, exec_lo
	global_load_b32 v16, v[14:15], off
	s_waitcnt vmcnt(0)
	v_sub_f32_e32 v17, v16, v7
	v_cmpx_gt_i32_e64 v5, v11
	s_cbranch_execnz .LBB13_23
; %bb.21:                               ;   in Loop: Header=BB13_12 Depth=3
	s_or_b32 exec_lo, exec_lo, s69
	s_delay_alu instid0(VALU_DEP_2) | instskip(NEXT) | instid1(VALU_DEP_1)
	v_cmp_class_f32_e64 s69, v17, 0x1f8
	s_and_saveexec_b32 s70, s69
	s_cbranch_execnz .LBB13_26
.LBB13_22:                              ;   in Loop: Header=BB13_12 Depth=3
	s_or_b32 exec_lo, exec_lo, s70
	s_and_b32 s69, s69, s33
	s_delay_alu instid0(SALU_CYCLE_1)
	s_and_saveexec_b32 s10, s69
	s_cbranch_execz .LBB13_11
	s_branch .LBB13_61
.LBB13_23:                              ;   in Loop: Header=BB13_12 Depth=3
	v_add_co_u32 v14, vcc_lo, s44, v9
	v_add_co_ci_u32_e32 v15, vcc_lo, s45, v10, vcc_lo
	s_mov_b32 s70, exec_lo
	global_load_b32 v14, v[14:15], off
	v_mov_b32_e32 v15, 0
	s_waitcnt vmcnt(0)
	v_cmpx_lg_f32_e32 0, v14
; %bb.24:                               ;   in Loop: Header=BB13_12 Depth=3
	v_div_scale_f32 v15, null, v14, v14, v17
	s_delay_alu instid0(VALU_DEP_1) | instskip(SKIP_2) | instid1(VALU_DEP_1)
	v_rcp_f32_e32 v18, v15
	s_waitcnt_depctr 0xfff
	v_fma_f32 v19, -v15, v18, 1.0
	v_fmac_f32_e32 v18, v19, v18
	v_div_scale_f32 v19, vcc_lo, v17, v14, v17
	s_delay_alu instid0(VALU_DEP_1) | instskip(NEXT) | instid1(VALU_DEP_1)
	v_mul_f32_e32 v20, v19, v18
	v_fma_f32 v38, -v15, v20, v19
	s_delay_alu instid0(VALU_DEP_1) | instskip(NEXT) | instid1(VALU_DEP_1)
	v_fmac_f32_e32 v20, v38, v18
	v_fma_f32 v15, -v15, v20, v19
	s_delay_alu instid0(VALU_DEP_1) | instskip(NEXT) | instid1(VALU_DEP_1)
	v_div_fmas_f32 v15, v15, v18, v20
	v_div_fixup_f32 v15, v15, v14, v17
; %bb.25:                               ;   in Loop: Header=BB13_12 Depth=3
	s_or_b32 exec_lo, exec_lo, s70
	s_delay_alu instid0(VALU_DEP_1) | instskip(SKIP_1) | instid1(VALU_DEP_1)
	v_mov_b32_e32 v17, v15
	s_or_b32 exec_lo, exec_lo, s69
	v_cmp_class_f32_e64 s69, v17, 0x1f8
	s_delay_alu instid0(VALU_DEP_1)
	s_and_saveexec_b32 s70, s69
	s_cbranch_execz .LBB13_22
.LBB13_26:                              ;   in Loop: Header=BB13_12 Depth=3
	s_and_saveexec_b32 s71, s10
	s_delay_alu instid0(SALU_CYCLE_1)
	s_xor_b32 s10, exec_lo, s71
	s_cbranch_execz .LBB13_47
; %bb.27:                               ;   in Loop: Header=BB13_12 Depth=3
	s_mov_b32 s71, exec_lo
	v_cmpx_ge_i32_e64 v5, v11
	s_xor_b32 s71, exec_lo, s71
	s_cbranch_execz .LBB13_33
; %bb.28:                               ;   in Loop: Header=BB13_12 Depth=3
	v_add_co_u32 v14, vcc_lo, s46, v9
	v_add_co_ci_u32_e32 v15, vcc_lo, s47, v10, vcc_lo
	s_and_not1_b32 vcc_lo, exec_lo, s54
	global_store_b32 v[14:15], v17, off
	s_cbranch_vccnz .LBB13_32
; %bb.29:                               ;   in Loop: Header=BB13_12 Depth=3
	v_add_co_u32 v14, vcc_lo, s44, v9
	v_add_co_ci_u32_e32 v15, vcc_lo, s45, v10, vcc_lo
	global_load_b32 v14, v[14:15], off
	s_waitcnt vmcnt(0)
	v_sub_f32_e32 v14, v14, v17
	s_delay_alu instid0(VALU_DEP_1) | instskip(NEXT) | instid1(VALU_DEP_1)
	v_cmp_class_f32_e64 s73, v14, 0x1f8
	s_and_saveexec_b32 s72, s73
; %bb.30:                               ;   in Loop: Header=BB13_12 Depth=3
	v_cmp_lt_f32_e64 s73, v2, |v14|
	s_delay_alu instid0(VALU_DEP_1)
	v_cndmask_b32_e64 v2, v2, |v14|, s73
; %bb.31:                               ;   in Loop: Header=BB13_12 Depth=3
	s_or_b32 exec_lo, exec_lo, s72
.LBB13_32:                              ;   in Loop: Header=BB13_12 Depth=3
                                        ; implicit-def: $vgpr17
.LBB13_33:                              ;   in Loop: Header=BB13_12 Depth=3
	s_and_not1_saveexec_b32 s71, s71
	s_cbranch_execz .LBB13_46
; %bb.34:                               ;   in Loop: Header=BB13_12 Depth=3
	s_mov_b32 s72, exec_lo
	v_cmpx_lt_i32_e64 v13, v37
	s_cbranch_execz .LBB13_45
; %bb.35:                               ;   in Loop: Header=BB13_12 Depth=3
	v_mov_b32_e32 v18, v13
	s_mov_b32 s73, 0
                                        ; implicit-def: $sgpr74
                                        ; implicit-def: $sgpr76
                                        ; implicit-def: $sgpr75
	s_set_inst_prefetch_distance 0x1
	s_branch .LBB13_37
	.p2align	6
.LBB13_36:                              ;   in Loop: Header=BB13_37 Depth=4
	s_or_b32 exec_lo, exec_lo, s77
	s_delay_alu instid0(SALU_CYCLE_1) | instskip(NEXT) | instid1(SALU_CYCLE_1)
	s_and_b32 s77, exec_lo, s76
	s_or_b32 s73, s77, s73
	s_and_not1_b32 s74, s74, exec_lo
	s_and_b32 s77, s75, exec_lo
	s_delay_alu instid0(SALU_CYCLE_1)
	s_or_b32 s74, s74, s77
	s_and_not1_b32 exec_lo, exec_lo, s73
	s_cbranch_execz .LBB13_39
.LBB13_37:                              ;   Parent Loop BB13_3 Depth=1
                                        ;     Parent Loop BB13_7 Depth=2
                                        ;       Parent Loop BB13_12 Depth=3
                                        ; =>      This Inner Loop Header: Depth=4
	s_delay_alu instid0(VALU_DEP_1) | instskip(SKIP_3) | instid1(VALU_DEP_1)
	v_add_nc_u32_e32 v14, v12, v18
	s_or_b32 s75, s75, exec_lo
	s_or_b32 s76, s76, exec_lo
	s_mov_b32 s77, exec_lo
	v_ashrrev_i32_e32 v15, 31, v14
	s_delay_alu instid0(VALU_DEP_1) | instskip(NEXT) | instid1(VALU_DEP_1)
	v_lshlrev_b64 v[14:15], 2, v[14:15]
	v_add_co_u32 v19, vcc_lo, s16, v14
	s_delay_alu instid0(VALU_DEP_2) | instskip(SKIP_3) | instid1(VALU_DEP_1)
	v_add_co_ci_u32_e32 v20, vcc_lo, s17, v15, vcc_lo
	global_load_b32 v19, v[19:20], off
	s_waitcnt vmcnt(0)
	v_subrev_nc_u32_e32 v19, s60, v19
	v_cmpx_ne_u32_e64 v19, v5
	s_cbranch_execz .LBB13_36
; %bb.38:                               ;   in Loop: Header=BB13_37 Depth=4
	v_add_nc_u32_e32 v18, 1, v18
	s_and_not1_b32 s76, s76, exec_lo
	s_and_not1_b32 s75, s75, exec_lo
	s_delay_alu instid0(VALU_DEP_1) | instskip(SKIP_1) | instid1(SALU_CYCLE_1)
	v_cmp_ge_i32_e32 vcc_lo, v18, v37
	s_and_b32 s78, vcc_lo, exec_lo
	s_or_b32 s76, s76, s78
	s_branch .LBB13_36
.LBB13_39:                              ;   in Loop: Header=BB13_12 Depth=3
	s_set_inst_prefetch_distance 0x2
	s_or_b32 exec_lo, exec_lo, s73
	s_and_saveexec_b32 s73, s74
	s_delay_alu instid0(SALU_CYCLE_1)
	s_xor_b32 s73, exec_lo, s73
	s_cbranch_execz .LBB13_44
; %bb.40:                               ;   in Loop: Header=BB13_12 Depth=3
	v_add_co_u32 v18, vcc_lo, s48, v14
	v_add_co_ci_u32_e32 v19, vcc_lo, s49, v15, vcc_lo
	s_and_not1_b32 vcc_lo, exec_lo, s54
	global_store_b32 v[18:19], v17, off
	s_cbranch_vccnz .LBB13_44
; %bb.41:                               ;   in Loop: Header=BB13_12 Depth=3
	v_add_co_u32 v14, vcc_lo, s18, v14
	v_add_co_ci_u32_e32 v15, vcc_lo, s19, v15, vcc_lo
	global_load_b32 v14, v[14:15], off
	s_waitcnt vmcnt(0)
	v_sub_f32_e32 v14, v14, v17
	s_delay_alu instid0(VALU_DEP_1) | instskip(NEXT) | instid1(VALU_DEP_1)
	v_cmp_class_f32_e64 s75, v14, 0x1f8
	s_and_saveexec_b32 s74, s75
; %bb.42:                               ;   in Loop: Header=BB13_12 Depth=3
	v_cmp_lt_f32_e64 s75, v2, |v14|
	s_delay_alu instid0(VALU_DEP_1)
	v_cndmask_b32_e64 v2, v2, |v14|, s75
; %bb.43:                               ;   in Loop: Header=BB13_12 Depth=3
	s_or_b32 exec_lo, exec_lo, s74
.LBB13_44:                              ;   in Loop: Header=BB13_12 Depth=3
	s_delay_alu instid0(SALU_CYCLE_1)
	s_or_b32 exec_lo, exec_lo, s73
.LBB13_45:                              ;   in Loop: Header=BB13_12 Depth=3
	s_delay_alu instid0(SALU_CYCLE_1)
	s_or_b32 exec_lo, exec_lo, s72
.LBB13_46:                              ;   in Loop: Header=BB13_12 Depth=3
	s_delay_alu instid0(SALU_CYCLE_1)
	s_or_b32 exec_lo, exec_lo, s71
                                        ; implicit-def: $vgpr17
.LBB13_47:                              ;   in Loop: Header=BB13_12 Depth=3
	s_and_not1_saveexec_b32 s10, s10
	s_cbranch_execz .LBB13_60
; %bb.48:                               ;   in Loop: Header=BB13_12 Depth=3
	s_mov_b32 s71, exec_lo
	v_cmpx_lt_i32_e64 v3, v32
	s_cbranch_execz .LBB13_59
; %bb.49:                               ;   in Loop: Header=BB13_12 Depth=3
	v_mov_b32_e32 v18, v3
	s_mov_b32 s72, 0
                                        ; implicit-def: $sgpr73
                                        ; implicit-def: $sgpr75
                                        ; implicit-def: $sgpr74
	s_set_inst_prefetch_distance 0x1
	s_branch .LBB13_51
	.p2align	6
.LBB13_50:                              ;   in Loop: Header=BB13_51 Depth=4
	s_or_b32 exec_lo, exec_lo, s76
	s_delay_alu instid0(SALU_CYCLE_1) | instskip(NEXT) | instid1(SALU_CYCLE_1)
	s_and_b32 s76, exec_lo, s75
	s_or_b32 s72, s76, s72
	s_and_not1_b32 s73, s73, exec_lo
	s_and_b32 s76, s74, exec_lo
	s_delay_alu instid0(SALU_CYCLE_1)
	s_or_b32 s73, s73, s76
	s_and_not1_b32 exec_lo, exec_lo, s72
	s_cbranch_execz .LBB13_53
.LBB13_51:                              ;   Parent Loop BB13_3 Depth=1
                                        ;     Parent Loop BB13_7 Depth=2
                                        ;       Parent Loop BB13_12 Depth=3
                                        ; =>      This Inner Loop Header: Depth=4
	s_delay_alu instid0(VALU_DEP_1) | instskip(SKIP_3) | instid1(VALU_DEP_1)
	v_add_nc_u32_e32 v14, v8, v18
	s_or_b32 s74, s74, exec_lo
	s_or_b32 s75, s75, exec_lo
	s_mov_b32 s76, exec_lo
	v_ashrrev_i32_e32 v15, 31, v14
	s_delay_alu instid0(VALU_DEP_1) | instskip(NEXT) | instid1(VALU_DEP_1)
	v_lshlrev_b64 v[14:15], 2, v[14:15]
	v_add_co_u32 v19, vcc_lo, s24, v14
	s_delay_alu instid0(VALU_DEP_2) | instskip(SKIP_3) | instid1(VALU_DEP_1)
	v_add_co_ci_u32_e32 v20, vcc_lo, s25, v15, vcc_lo
	global_load_b32 v19, v[19:20], off
	s_waitcnt vmcnt(0)
	v_subrev_nc_u32_e32 v19, s59, v19
	v_cmpx_ne_u32_e64 v19, v11
	s_cbranch_execz .LBB13_50
; %bb.52:                               ;   in Loop: Header=BB13_51 Depth=4
	v_add_nc_u32_e32 v18, 1, v18
	s_and_not1_b32 s75, s75, exec_lo
	s_and_not1_b32 s74, s74, exec_lo
	s_delay_alu instid0(VALU_DEP_1) | instskip(SKIP_1) | instid1(SALU_CYCLE_1)
	v_cmp_ge_i32_e32 vcc_lo, v18, v32
	s_and_b32 s77, vcc_lo, exec_lo
	s_or_b32 s75, s75, s77
	s_branch .LBB13_50
.LBB13_53:                              ;   in Loop: Header=BB13_12 Depth=3
	s_set_inst_prefetch_distance 0x2
	s_or_b32 exec_lo, exec_lo, s72
	s_and_saveexec_b32 s72, s73
	s_delay_alu instid0(SALU_CYCLE_1)
	s_xor_b32 s72, exec_lo, s72
	s_cbranch_execz .LBB13_58
; %bb.54:                               ;   in Loop: Header=BB13_12 Depth=3
	v_add_co_u32 v18, vcc_lo, s50, v14
	v_add_co_ci_u32_e32 v19, vcc_lo, s51, v15, vcc_lo
	s_and_not1_b32 vcc_lo, exec_lo, s54
	global_store_b32 v[18:19], v17, off
	s_cbranch_vccnz .LBB13_58
; %bb.55:                               ;   in Loop: Header=BB13_12 Depth=3
	v_add_co_u32 v14, vcc_lo, s26, v14
	v_add_co_ci_u32_e32 v15, vcc_lo, s27, v15, vcc_lo
	global_load_b32 v14, v[14:15], off
	s_waitcnt vmcnt(0)
	v_sub_f32_e32 v14, v14, v17
	s_delay_alu instid0(VALU_DEP_1) | instskip(NEXT) | instid1(VALU_DEP_1)
	v_cmp_class_f32_e64 s74, v14, 0x1f8
	s_and_saveexec_b32 s73, s74
; %bb.56:                               ;   in Loop: Header=BB13_12 Depth=3
	v_cmp_lt_f32_e64 s74, v2, |v14|
	s_delay_alu instid0(VALU_DEP_1)
	v_cndmask_b32_e64 v2, v2, |v14|, s74
; %bb.57:                               ;   in Loop: Header=BB13_12 Depth=3
	s_or_b32 exec_lo, exec_lo, s73
.LBB13_58:                              ;   in Loop: Header=BB13_12 Depth=3
	s_delay_alu instid0(SALU_CYCLE_1)
	s_or_b32 exec_lo, exec_lo, s72
.LBB13_59:                              ;   in Loop: Header=BB13_12 Depth=3
	s_delay_alu instid0(SALU_CYCLE_1)
	s_or_b32 exec_lo, exec_lo, s71
.LBB13_60:                              ;   in Loop: Header=BB13_12 Depth=3
	s_delay_alu instid0(SALU_CYCLE_1) | instskip(NEXT) | instid1(SALU_CYCLE_1)
	s_or_b32 exec_lo, exec_lo, s10
	s_or_b32 exec_lo, exec_lo, s70
	s_and_b32 s69, s69, s33
	s_delay_alu instid0(SALU_CYCLE_1)
	s_and_saveexec_b32 s10, s69
	s_cbranch_execz .LBB13_11
.LBB13_61:                              ;   in Loop: Header=BB13_12 Depth=3
	s_mov_b32 s69, exec_lo
	v_cmpx_ge_i32_e64 v13, v37
	s_xor_b32 s69, exec_lo, s69
	s_cbranch_execnz .LBB13_67
; %bb.62:                               ;   in Loop: Header=BB13_12 Depth=3
	s_and_not1_saveexec_b32 s69, s69
	s_cbranch_execnz .LBB13_76
.LBB13_63:                              ;   in Loop: Header=BB13_12 Depth=3
	s_or_b32 exec_lo, exec_lo, s69
	s_delay_alu instid0(SALU_CYCLE_1)
	s_mov_b32 s69, exec_lo
	v_cmpx_eq_u32_e64 v5, v11
	s_cbranch_execz .LBB13_65
.LBB13_64:                              ;   in Loop: Header=BB13_12 Depth=3
	v_add_co_u32 v9, vcc_lo, s44, v9
	v_add_co_ci_u32_e32 v10, vcc_lo, s45, v10, vcc_lo
	global_load_b32 v3, v[9:10], off
	s_waitcnt vmcnt(0)
	v_add_f32_e32 v7, v7, v3
.LBB13_65:                              ;   in Loop: Header=BB13_12 Depth=3
	s_or_b32 exec_lo, exec_lo, s69
	s_delay_alu instid0(VALU_DEP_1) | instskip(NEXT) | instid1(VALU_DEP_1)
	v_sub_f32_e32 v3, v16, v7
	v_cmp_class_f32_e64 s70, v3, 0x1f8
	s_delay_alu instid0(VALU_DEP_1)
	s_and_saveexec_b32 s69, s70
	s_cbranch_execz .LBB13_10
; %bb.66:                               ;   in Loop: Header=BB13_12 Depth=3
	v_cmp_lt_f32_e64 s70, v1, |v3|
	s_delay_alu instid0(VALU_DEP_1)
	v_cndmask_b32_e64 v1, v1, |v3|, s70
	s_branch .LBB13_10
.LBB13_67:                              ;   in Loop: Header=BB13_12 Depth=3
	s_mov_b32 s70, exec_lo
	v_cmpx_lt_i32_e64 v3, v32
	s_cbranch_execz .LBB13_75
; %bb.68:                               ;   in Loop: Header=BB13_12 Depth=3
	s_mov_b32 s71, 0
                                        ; implicit-def: $sgpr72
                                        ; implicit-def: $sgpr74
                                        ; implicit-def: $sgpr73
	s_set_inst_prefetch_distance 0x1
	s_branch .LBB13_70
	.p2align	6
.LBB13_69:                              ;   in Loop: Header=BB13_70 Depth=4
	s_or_b32 exec_lo, exec_lo, s75
	s_delay_alu instid0(SALU_CYCLE_1) | instskip(NEXT) | instid1(SALU_CYCLE_1)
	s_and_b32 s75, exec_lo, s74
	s_or_b32 s71, s75, s71
	s_and_not1_b32 s72, s72, exec_lo
	s_and_b32 s75, s73, exec_lo
	s_delay_alu instid0(SALU_CYCLE_1)
	s_or_b32 s72, s72, s75
	s_and_not1_b32 exec_lo, exec_lo, s71
	s_cbranch_execz .LBB13_72
.LBB13_70:                              ;   Parent Loop BB13_3 Depth=1
                                        ;     Parent Loop BB13_7 Depth=2
                                        ;       Parent Loop BB13_12 Depth=3
                                        ; =>      This Inner Loop Header: Depth=4
	v_add_nc_u32_e32 v12, v8, v3
	s_or_b32 s73, s73, exec_lo
	s_or_b32 s74, s74, exec_lo
	s_mov_b32 s75, exec_lo
	s_delay_alu instid0(VALU_DEP_1) | instskip(NEXT) | instid1(VALU_DEP_1)
	v_ashrrev_i32_e32 v13, 31, v12
	v_lshlrev_b64 v[12:13], 2, v[12:13]
	s_delay_alu instid0(VALU_DEP_1) | instskip(NEXT) | instid1(VALU_DEP_2)
	v_add_co_u32 v14, vcc_lo, s24, v12
	v_add_co_ci_u32_e32 v15, vcc_lo, s25, v13, vcc_lo
	global_load_b32 v14, v[14:15], off
	s_waitcnt vmcnt(0)
	v_subrev_nc_u32_e32 v14, s59, v14
	s_delay_alu instid0(VALU_DEP_1)
	v_cmpx_ne_u32_e64 v14, v11
	s_cbranch_execz .LBB13_69
; %bb.71:                               ;   in Loop: Header=BB13_70 Depth=4
	v_add_nc_u32_e32 v3, 1, v3
	s_and_not1_b32 s74, s74, exec_lo
	s_and_not1_b32 s73, s73, exec_lo
	s_delay_alu instid0(VALU_DEP_1) | instskip(SKIP_1) | instid1(SALU_CYCLE_1)
	v_cmp_ge_i32_e32 vcc_lo, v3, v32
	s_and_b32 s76, vcc_lo, exec_lo
	s_or_b32 s74, s74, s76
	s_branch .LBB13_69
.LBB13_72:                              ;   in Loop: Header=BB13_12 Depth=3
	s_set_inst_prefetch_distance 0x2
	s_or_b32 exec_lo, exec_lo, s71
	s_and_saveexec_b32 s71, s72
	s_delay_alu instid0(SALU_CYCLE_1)
	s_xor_b32 s71, exec_lo, s71
	s_cbranch_execz .LBB13_74
; %bb.73:                               ;   in Loop: Header=BB13_12 Depth=3
	v_add_co_u32 v12, vcc_lo, s26, v12
	v_add_co_ci_u32_e32 v13, vcc_lo, s27, v13, vcc_lo
	v_add_co_u32 v14, vcc_lo, s44, v9
	v_add_co_ci_u32_e32 v15, vcc_lo, s45, v10, vcc_lo
	global_load_b32 v3, v[12:13], off
	global_load_b32 v12, v[14:15], off
	s_waitcnt vmcnt(0)
	v_fmac_f32_e32 v7, v3, v12
.LBB13_74:                              ;   in Loop: Header=BB13_12 Depth=3
	s_or_b32 exec_lo, exec_lo, s71
.LBB13_75:                              ;   in Loop: Header=BB13_12 Depth=3
	s_delay_alu instid0(SALU_CYCLE_1)
	s_or_b32 exec_lo, exec_lo, s70
                                        ; implicit-def: $vgpr13
                                        ; implicit-def: $vgpr12
                                        ; implicit-def: $vgpr37
	s_and_not1_saveexec_b32 s69, s69
	s_cbranch_execz .LBB13_63
.LBB13_76:                              ;   in Loop: Header=BB13_12 Depth=3
	s_mov_b32 s70, 0
                                        ; implicit-def: $sgpr71
                                        ; implicit-def: $sgpr73
                                        ; implicit-def: $sgpr72
	s_set_inst_prefetch_distance 0x1
	s_branch .LBB13_78
	.p2align	6
.LBB13_77:                              ;   in Loop: Header=BB13_78 Depth=4
	s_or_b32 exec_lo, exec_lo, s74
	s_delay_alu instid0(SALU_CYCLE_1) | instskip(NEXT) | instid1(SALU_CYCLE_1)
	s_and_b32 s74, exec_lo, s73
	s_or_b32 s70, s74, s70
	s_and_not1_b32 s71, s71, exec_lo
	s_and_b32 s74, s72, exec_lo
	s_delay_alu instid0(SALU_CYCLE_1)
	s_or_b32 s71, s71, s74
	s_and_not1_b32 exec_lo, exec_lo, s70
	s_cbranch_execz .LBB13_80
.LBB13_78:                              ;   Parent Loop BB13_3 Depth=1
                                        ;     Parent Loop BB13_7 Depth=2
                                        ;       Parent Loop BB13_12 Depth=3
                                        ; =>      This Inner Loop Header: Depth=4
	v_add_nc_u32_e32 v14, v12, v13
	s_or_b32 s72, s72, exec_lo
	s_or_b32 s73, s73, exec_lo
	s_mov_b32 s74, exec_lo
	s_delay_alu instid0(VALU_DEP_1) | instskip(NEXT) | instid1(VALU_DEP_1)
	v_ashrrev_i32_e32 v15, 31, v14
	v_lshlrev_b64 v[14:15], 2, v[14:15]
	s_delay_alu instid0(VALU_DEP_1) | instskip(NEXT) | instid1(VALU_DEP_2)
	v_add_co_u32 v17, vcc_lo, s16, v14
	v_add_co_ci_u32_e32 v18, vcc_lo, s17, v15, vcc_lo
	global_load_b32 v3, v[17:18], off
	s_waitcnt vmcnt(0)
	v_subrev_nc_u32_e32 v3, s60, v3
	s_delay_alu instid0(VALU_DEP_1)
	v_cmpx_ne_u32_e64 v3, v5
	s_cbranch_execz .LBB13_77
; %bb.79:                               ;   in Loop: Header=BB13_78 Depth=4
	v_add_nc_u32_e32 v13, 1, v13
	s_and_not1_b32 s73, s73, exec_lo
	s_and_not1_b32 s72, s72, exec_lo
	s_delay_alu instid0(VALU_DEP_1) | instskip(SKIP_1) | instid1(SALU_CYCLE_1)
	v_cmp_ge_i32_e32 vcc_lo, v13, v37
	s_and_b32 s75, vcc_lo, exec_lo
	s_or_b32 s73, s73, s75
	s_branch .LBB13_77
.LBB13_80:                              ;   in Loop: Header=BB13_12 Depth=3
	s_set_inst_prefetch_distance 0x2
	s_or_b32 exec_lo, exec_lo, s70
	s_and_saveexec_b32 s70, s71
	s_delay_alu instid0(SALU_CYCLE_1)
	s_xor_b32 s70, exec_lo, s70
	s_cbranch_execz .LBB13_82
; %bb.81:                               ;   in Loop: Header=BB13_12 Depth=3
	v_add_co_u32 v12, vcc_lo, s18, v14
	v_add_co_ci_u32_e32 v13, vcc_lo, s19, v15, vcc_lo
	global_load_b32 v3, v[12:13], off
	s_waitcnt vmcnt(0)
	v_add_f32_e32 v7, v7, v3
.LBB13_82:                              ;   in Loop: Header=BB13_12 Depth=3
	s_or_b32 exec_lo, exec_lo, s70
	s_delay_alu instid0(SALU_CYCLE_1) | instskip(NEXT) | instid1(SALU_CYCLE_1)
	s_or_b32 exec_lo, exec_lo, s69
	s_mov_b32 s69, exec_lo
	v_cmpx_eq_u32_e64 v5, v11
	s_cbranch_execnz .LBB13_64
	s_branch .LBB13_65
.LBB13_83:                              ;   in Loop: Header=BB13_3 Depth=1
	v_or_b32_e32 v9, 32, v23
	v_xor_b32_e32 v8, 16, v23
	v_xor_b32_e32 v7, 8, v23
	;; [unrolled: 1-line block ×5, first 2 shown]
	s_and_b32 vcc_lo, exec_lo, s54
	s_cbranch_vccnz .LBB13_86
; %bb.84:                               ;   in Loop: Header=BB13_3 Depth=1
	s_and_not1_b32 vcc_lo, exec_lo, s33
	s_cbranch_vccz .LBB13_97
.LBB13_85:                              ;   in Loop: Header=BB13_3 Depth=1
	s_and_saveexec_b32 s10, s7
	s_cbranch_execnz .LBB13_108
	s_branch .LBB13_119
.LBB13_86:                              ;   in Loop: Header=BB13_3 Depth=1
	v_cmp_gt_i32_e32 vcc_lo, 32, v9
	v_cndmask_b32_e32 v10, v23, v9, vcc_lo
	v_cmp_gt_i32_e32 vcc_lo, 32, v8
	v_cndmask_b32_e32 v11, v23, v8, vcc_lo
	s_delay_alu instid0(VALU_DEP_1) | instskip(NEXT) | instid1(VALU_DEP_4)
	v_lshlrev_b32_e32 v11, 2, v11
	v_lshlrev_b32_e32 v10, 2, v10
	ds_bpermute_b32 v10, v10, v2
	s_waitcnt lgkmcnt(0)
	v_cmp_lt_f32_e32 vcc_lo, v2, v10
	v_cndmask_b32_e32 v2, v2, v10, vcc_lo
	v_cmp_gt_i32_e32 vcc_lo, 32, v7
	ds_bpermute_b32 v10, v11, v2
	v_cndmask_b32_e32 v11, v23, v7, vcc_lo
	s_waitcnt lgkmcnt(0)
	v_cmp_lt_f32_e32 vcc_lo, v2, v10
	s_delay_alu instid0(VALU_DEP_2)
	v_dual_cndmask_b32 v2, v2, v10 :: v_dual_lshlrev_b32 v11, 2, v11
	v_cmp_gt_i32_e32 vcc_lo, 32, v6
	ds_bpermute_b32 v10, v11, v2
	v_cndmask_b32_e32 v11, v23, v6, vcc_lo
	s_waitcnt lgkmcnt(0)
	v_cmp_lt_f32_e32 vcc_lo, v2, v10
	s_delay_alu instid0(VALU_DEP_2)
	v_dual_cndmask_b32 v2, v2, v10 :: v_dual_lshlrev_b32 v11, 2, v11
	;; [unrolled: 7-line block ×3, first 2 shown]
	v_cmp_gt_i32_e32 vcc_lo, 32, v3
	ds_bpermute_b32 v10, v11, v2
	v_cndmask_b32_e32 v11, v23, v3, vcc_lo
	s_waitcnt lgkmcnt(0)
	v_cmp_lt_f32_e32 vcc_lo, v2, v10
	v_cndmask_b32_e32 v2, v2, v10, vcc_lo
	s_delay_alu instid0(VALU_DEP_3)
	v_lshlrev_b32_e32 v10, 2, v11
	ds_bpermute_b32 v10, v10, v2
	s_and_saveexec_b32 s9, s2
	s_cbranch_execz .LBB13_88
; %bb.87:                               ;   in Loop: Header=BB13_3 Depth=1
	s_waitcnt lgkmcnt(0)
	v_cmp_lt_f32_e32 vcc_lo, v2, v10
	v_cndmask_b32_e32 v2, v2, v10, vcc_lo
	ds_store_b32 v26, v2
.LBB13_88:                              ;   in Loop: Header=BB13_3 Depth=1
	s_or_b32 exec_lo, exec_lo, s9
	s_waitcnt lgkmcnt(0)
	s_waitcnt_vscnt null, 0x0
	s_barrier
	buffer_gl0_inv
	s_and_saveexec_b32 s9, s3
	s_cbranch_execz .LBB13_90
; %bb.89:                               ;   in Loop: Header=BB13_3 Depth=1
	ds_load_2addr_b32 v[10:11], v21 offset1:8
	s_waitcnt lgkmcnt(0)
	v_cmp_lt_f32_e32 vcc_lo, v10, v11
	v_cndmask_b32_e32 v2, v10, v11, vcc_lo
	ds_store_b32 v21, v2
.LBB13_90:                              ;   in Loop: Header=BB13_3 Depth=1
	s_or_b32 exec_lo, exec_lo, s9
	s_waitcnt lgkmcnt(0)
	s_barrier
	buffer_gl0_inv
	s_and_saveexec_b32 s9, s4
	s_cbranch_execz .LBB13_92
; %bb.91:                               ;   in Loop: Header=BB13_3 Depth=1
	ds_load_2addr_b32 v[10:11], v21 offset1:4
	s_waitcnt lgkmcnt(0)
	v_cmp_lt_f32_e32 vcc_lo, v10, v11
	v_cndmask_b32_e32 v2, v10, v11, vcc_lo
	ds_store_b32 v21, v2
.LBB13_92:                              ;   in Loop: Header=BB13_3 Depth=1
	s_or_b32 exec_lo, exec_lo, s9
	s_waitcnt lgkmcnt(0)
	;; [unrolled: 13-line block ×3, first 2 shown]
	s_barrier
	buffer_gl0_inv
	s_and_saveexec_b32 s9, s6
	s_cbranch_execz .LBB13_96
; %bb.95:                               ;   in Loop: Header=BB13_3 Depth=1
	ds_load_b64 v[10:11], v30
	s_waitcnt lgkmcnt(0)
	v_cmp_lt_f32_e32 vcc_lo, v10, v11
	v_cndmask_b32_e32 v2, v10, v11, vcc_lo
	ds_store_b32 v30, v2
.LBB13_96:                              ;   in Loop: Header=BB13_3 Depth=1
	s_or_b32 exec_lo, exec_lo, s9
	s_waitcnt lgkmcnt(0)
	s_barrier
	buffer_gl0_inv
	ds_load_b32 v2, v30
	s_load_b32 s9, s[52:53], 0x0
	s_waitcnt lgkmcnt(0)
	v_div_scale_f32 v10, null, s9, s9, v2
	s_delay_alu instid0(VALU_DEP_1) | instskip(SKIP_2) | instid1(VALU_DEP_1)
	v_rcp_f32_e32 v11, v10
	s_waitcnt_depctr 0xfff
	v_fma_f32 v12, -v10, v11, 1.0
	v_fmac_f32_e32 v11, v12, v11
	v_div_scale_f32 v12, vcc_lo, v2, s9, v2
	s_delay_alu instid0(VALU_DEP_1) | instskip(NEXT) | instid1(VALU_DEP_1)
	v_mul_f32_e32 v13, v12, v11
	v_fma_f32 v14, -v10, v13, v12
	s_delay_alu instid0(VALU_DEP_1) | instskip(NEXT) | instid1(VALU_DEP_1)
	v_fmac_f32_e32 v13, v14, v11
	v_fma_f32 v10, -v10, v13, v12
	s_delay_alu instid0(VALU_DEP_1) | instskip(NEXT) | instid1(VALU_DEP_1)
	v_div_fmas_f32 v10, v10, v11, v13
	v_div_fixup_f32 v2, v10, s9, v2
	s_and_not1_b32 vcc_lo, exec_lo, s33
	s_cbranch_vccnz .LBB13_85
.LBB13_97:                              ;   in Loop: Header=BB13_3 Depth=1
	v_cmp_gt_i32_e32 vcc_lo, 32, v9
	v_cndmask_b32_e32 v9, v23, v9, vcc_lo
	v_cmp_gt_i32_e32 vcc_lo, 32, v8
	v_cndmask_b32_e32 v8, v23, v8, vcc_lo
	s_delay_alu instid0(VALU_DEP_1) | instskip(NEXT) | instid1(VALU_DEP_4)
	v_lshlrev_b32_e32 v8, 2, v8
	v_lshlrev_b32_e32 v9, 2, v9
	ds_bpermute_b32 v9, v9, v1
	s_waitcnt lgkmcnt(0)
	v_cmp_lt_f32_e32 vcc_lo, v1, v9
	v_cndmask_b32_e32 v1, v1, v9, vcc_lo
	v_cmp_gt_i32_e32 vcc_lo, 32, v7
	ds_bpermute_b32 v8, v8, v1
	v_cndmask_b32_e32 v7, v23, v7, vcc_lo
	s_waitcnt lgkmcnt(0)
	v_cmp_lt_f32_e32 vcc_lo, v1, v8
	v_cndmask_b32_e32 v1, v1, v8, vcc_lo
	v_cmp_gt_i32_e32 vcc_lo, 32, v6
	v_cndmask_b32_e32 v6, v23, v6, vcc_lo
	s_delay_alu instid0(VALU_DEP_1)
	v_lshlrev_b32_e32 v6, 2, v6
	v_lshlrev_b32_e32 v7, 2, v7
	ds_bpermute_b32 v7, v7, v1
	s_waitcnt lgkmcnt(0)
	v_cmp_lt_f32_e32 vcc_lo, v1, v7
	v_cndmask_b32_e32 v1, v1, v7, vcc_lo
	v_cmp_gt_i32_e32 vcc_lo, 32, v5
	ds_bpermute_b32 v6, v6, v1
	v_cndmask_b32_e32 v5, v23, v5, vcc_lo
	s_delay_alu instid0(VALU_DEP_1)
	v_lshlrev_b32_e32 v5, 2, v5
	s_waitcnt lgkmcnt(0)
	v_cmp_lt_f32_e32 vcc_lo, v1, v6
	v_cndmask_b32_e32 v1, v1, v6, vcc_lo
	v_cmp_gt_i32_e32 vcc_lo, 32, v3
	ds_bpermute_b32 v5, v5, v1
	v_cndmask_b32_e32 v3, v23, v3, vcc_lo
	s_delay_alu instid0(VALU_DEP_1)
	v_lshlrev_b32_e32 v3, 2, v3
	s_waitcnt lgkmcnt(0)
	v_cmp_lt_f32_e32 vcc_lo, v1, v5
	v_cndmask_b32_e32 v1, v1, v5, vcc_lo
	ds_bpermute_b32 v3, v3, v1
	s_and_saveexec_b32 s9, s2
	s_cbranch_execz .LBB13_99
; %bb.98:                               ;   in Loop: Header=BB13_3 Depth=1
	s_waitcnt lgkmcnt(0)
	v_cmp_lt_f32_e32 vcc_lo, v1, v3
	v_cndmask_b32_e32 v1, v1, v3, vcc_lo
	ds_store_b32 v26, v1
.LBB13_99:                              ;   in Loop: Header=BB13_3 Depth=1
	s_or_b32 exec_lo, exec_lo, s9
	s_waitcnt lgkmcnt(0)
	s_waitcnt_vscnt null, 0x0
	s_barrier
	buffer_gl0_inv
	s_and_saveexec_b32 s9, s3
	s_cbranch_execz .LBB13_101
; %bb.100:                              ;   in Loop: Header=BB13_3 Depth=1
	ds_load_2addr_b32 v[5:6], v21 offset1:8
	s_waitcnt lgkmcnt(0)
	v_cmp_lt_f32_e32 vcc_lo, v5, v6
	v_cndmask_b32_e32 v1, v5, v6, vcc_lo
	ds_store_b32 v21, v1
.LBB13_101:                             ;   in Loop: Header=BB13_3 Depth=1
	s_or_b32 exec_lo, exec_lo, s9
	s_waitcnt lgkmcnt(0)
	s_barrier
	buffer_gl0_inv
	s_and_saveexec_b32 s9, s4
	s_cbranch_execz .LBB13_103
; %bb.102:                              ;   in Loop: Header=BB13_3 Depth=1
	ds_load_2addr_b32 v[5:6], v21 offset1:4
	s_waitcnt lgkmcnt(0)
	v_cmp_lt_f32_e32 vcc_lo, v5, v6
	v_cndmask_b32_e32 v1, v5, v6, vcc_lo
	ds_store_b32 v21, v1
.LBB13_103:                             ;   in Loop: Header=BB13_3 Depth=1
	s_or_b32 exec_lo, exec_lo, s9
	s_waitcnt lgkmcnt(0)
	;; [unrolled: 13-line block ×3, first 2 shown]
	s_barrier
	buffer_gl0_inv
	s_and_saveexec_b32 s9, s6
	s_cbranch_execz .LBB13_107
; %bb.106:                              ;   in Loop: Header=BB13_3 Depth=1
	ds_load_b64 v[5:6], v30
	s_waitcnt lgkmcnt(0)
	v_cmp_lt_f32_e32 vcc_lo, v5, v6
	v_cndmask_b32_e32 v1, v5, v6, vcc_lo
	ds_store_b32 v30, v1
.LBB13_107:                             ;   in Loop: Header=BB13_3 Depth=1
	s_or_b32 exec_lo, exec_lo, s9
	s_waitcnt lgkmcnt(0)
	s_barrier
	buffer_gl0_inv
	ds_load_b32 v1, v30
	s_load_b32 s9, s[52:53], 0x0
	s_waitcnt lgkmcnt(0)
	v_div_scale_f32 v3, null, s9, s9, v1
	s_delay_alu instid0(VALU_DEP_1) | instskip(SKIP_2) | instid1(VALU_DEP_1)
	v_rcp_f32_e32 v5, v3
	s_waitcnt_depctr 0xfff
	v_fma_f32 v6, -v3, v5, 1.0
	v_fmac_f32_e32 v5, v6, v5
	v_div_scale_f32 v6, vcc_lo, v1, s9, v1
	s_delay_alu instid0(VALU_DEP_1) | instskip(NEXT) | instid1(VALU_DEP_1)
	v_mul_f32_e32 v7, v6, v5
	v_fma_f32 v8, -v3, v7, v6
	s_delay_alu instid0(VALU_DEP_1) | instskip(NEXT) | instid1(VALU_DEP_1)
	v_fmac_f32_e32 v7, v8, v5
	v_fma_f32 v3, -v3, v7, v6
	s_delay_alu instid0(VALU_DEP_1) | instskip(NEXT) | instid1(VALU_DEP_1)
	v_div_fmas_f32 v3, v3, v5, v7
	v_div_fixup_f32 v1, v3, s9, v1
	s_and_saveexec_b32 s10, s7
	s_cbranch_execz .LBB13_119
.LBB13_108:                             ;   in Loop: Header=BB13_3 Depth=1
	v_mov_b32_e32 v5, v25
	s_mov_b32 s65, 0
	s_branch .LBB13_110
.LBB13_109:                             ;   in Loop: Header=BB13_110 Depth=2
	s_or_b32 exec_lo, exec_lo, s66
	v_add_nc_u32_e32 v5, 16, v5
	s_delay_alu instid0(VALU_DEP_1) | instskip(SKIP_1) | instid1(SALU_CYCLE_1)
	v_cmp_le_u32_e32 vcc_lo, s61, v5
	s_or_b32 s65, vcc_lo, s65
	s_and_not1_b32 exec_lo, exec_lo, s65
	s_cbranch_execz .LBB13_119
.LBB13_110:                             ;   Parent Loop BB13_3 Depth=1
                                        ; =>  This Loop Header: Depth=2
                                        ;       Child Loop BB13_113 Depth 3
                                        ;       Child Loop BB13_116 Depth 3
	s_mov_b32 s66, exec_lo
	s_delay_alu instid0(VALU_DEP_1)
	v_cmpx_gt_i32_e64 s35, v5
	s_cbranch_execz .LBB13_109
; %bb.111:                              ;   in Loop: Header=BB13_110 Depth=2
	v_ashrrev_i32_e32 v6, 31, v5
	s_mov_b32 s67, exec_lo
	s_delay_alu instid0(VALU_DEP_1) | instskip(NEXT) | instid1(VALU_DEP_1)
	v_lshlrev_b64 v[6:7], 2, v[5:6]
	v_add_co_u32 v8, vcc_lo, s20, v6
	s_delay_alu instid0(VALU_DEP_2)
	v_add_co_ci_u32_e32 v9, vcc_lo, s21, v7, vcc_lo
	v_add_co_u32 v10, vcc_lo, s22, v6
	v_add_co_ci_u32_e32 v11, vcc_lo, s23, v7, vcc_lo
	global_load_b32 v3, v[8:9], off
	global_load_b32 v9, v[10:11], off
	s_waitcnt vmcnt(1)
	v_add_nc_u32_e32 v8, v28, v3
	s_waitcnt vmcnt(0)
	v_subrev_nc_u32_e32 v3, s59, v9
	s_delay_alu instid0(VALU_DEP_1)
	v_cmpx_lt_i32_e64 v8, v3
	s_cbranch_execz .LBB13_114
; %bb.112:                              ;   in Loop: Header=BB13_110 Depth=2
	v_ashrrev_i32_e32 v9, 31, v8
	s_mov_b32 s68, 0
	s_delay_alu instid0(VALU_DEP_1) | instskip(NEXT) | instid1(VALU_DEP_1)
	v_lshlrev_b64 v[11:12], 2, v[8:9]
	v_add_co_u32 v9, vcc_lo, s50, v11
	s_delay_alu instid0(VALU_DEP_2)
	v_add_co_ci_u32_e32 v10, vcc_lo, s51, v12, vcc_lo
	v_add_co_u32 v11, vcc_lo, s26, v11
	v_add_co_ci_u32_e32 v12, vcc_lo, s27, v12, vcc_lo
	.p2align	6
.LBB13_113:                             ;   Parent Loop BB13_3 Depth=1
                                        ;     Parent Loop BB13_110 Depth=2
                                        ; =>    This Inner Loop Header: Depth=3
	global_load_b32 v13, v[9:10], off
	v_add_nc_u32_e32 v8, 64, v8
	v_add_co_u32 v9, vcc_lo, 0x100, v9
	v_add_co_ci_u32_e32 v10, vcc_lo, 0, v10, vcc_lo
	s_delay_alu instid0(VALU_DEP_3) | instskip(SKIP_4) | instid1(VALU_DEP_1)
	v_cmp_ge_i32_e32 vcc_lo, v8, v3
	s_or_b32 s68, vcc_lo, s68
	s_waitcnt vmcnt(0)
	global_store_b32 v[11:12], v13, off
	v_add_co_u32 v11, s9, 0x100, v11
	v_add_co_ci_u32_e64 v12, s9, 0, v12, s9
	s_and_not1_b32 exec_lo, exec_lo, s68
	s_cbranch_execnz .LBB13_113
.LBB13_114:                             ;   in Loop: Header=BB13_110 Depth=2
	s_or_b32 exec_lo, exec_lo, s67
	v_add_co_u32 v8, vcc_lo, s12, v6
	v_add_co_ci_u32_e32 v9, vcc_lo, s13, v7, vcc_lo
	v_add_co_u32 v10, vcc_lo, s14, v6
	v_add_co_ci_u32_e32 v11, vcc_lo, s15, v7, vcc_lo
	s_mov_b32 s67, exec_lo
	global_load_b32 v3, v[8:9], off
	global_load_b32 v9, v[10:11], off
	s_waitcnt vmcnt(1)
	v_add_nc_u32_e32 v8, v29, v3
	s_waitcnt vmcnt(0)
	v_subrev_nc_u32_e32 v3, s60, v9
	s_delay_alu instid0(VALU_DEP_1)
	v_cmpx_lt_i32_e64 v8, v3
	s_cbranch_execz .LBB13_117
; %bb.115:                              ;   in Loop: Header=BB13_110 Depth=2
	v_ashrrev_i32_e32 v9, 31, v8
	s_mov_b32 s68, 0
	s_delay_alu instid0(VALU_DEP_1) | instskip(NEXT) | instid1(VALU_DEP_1)
	v_lshlrev_b64 v[11:12], 2, v[8:9]
	v_add_co_u32 v9, vcc_lo, s48, v11
	s_delay_alu instid0(VALU_DEP_2)
	v_add_co_ci_u32_e32 v10, vcc_lo, s49, v12, vcc_lo
	v_add_co_u32 v11, vcc_lo, s18, v11
	v_add_co_ci_u32_e32 v12, vcc_lo, s19, v12, vcc_lo
	.p2align	6
.LBB13_116:                             ;   Parent Loop BB13_3 Depth=1
                                        ;     Parent Loop BB13_110 Depth=2
                                        ; =>    This Inner Loop Header: Depth=3
	global_load_b32 v13, v[9:10], off
	v_add_nc_u32_e32 v8, 64, v8
	v_add_co_u32 v9, vcc_lo, 0x100, v9
	v_add_co_ci_u32_e32 v10, vcc_lo, 0, v10, vcc_lo
	s_delay_alu instid0(VALU_DEP_3) | instskip(SKIP_4) | instid1(VALU_DEP_1)
	v_cmp_ge_i32_e32 vcc_lo, v8, v3
	s_or_b32 s68, vcc_lo, s68
	s_waitcnt vmcnt(0)
	global_store_b32 v[11:12], v13, off
	v_add_co_u32 v11, s9, 0x100, v11
	v_add_co_ci_u32_e64 v12, s9, 0, v12, s9
	s_and_not1_b32 exec_lo, exec_lo, s68
	s_cbranch_execnz .LBB13_116
.LBB13_117:                             ;   in Loop: Header=BB13_110 Depth=2
	s_or_b32 exec_lo, exec_lo, s67
	s_delay_alu instid0(SALU_CYCLE_1)
	s_and_b32 exec_lo, exec_lo, s8
	s_cbranch_execz .LBB13_109
; %bb.118:                              ;   in Loop: Header=BB13_110 Depth=2
	v_add_co_u32 v8, vcc_lo, s46, v6
	v_add_co_ci_u32_e32 v9, vcc_lo, s47, v7, vcc_lo
	v_add_co_u32 v6, vcc_lo, s44, v6
	v_add_co_ci_u32_e32 v7, vcc_lo, s45, v7, vcc_lo
	global_load_b32 v3, v[8:9], off
	s_waitcnt vmcnt(0)
	global_store_b32 v[6:7], v3, off
	s_branch .LBB13_109
.LBB13_119:                             ;   in Loop: Header=BB13_3 Depth=1
	s_or_b32 exec_lo, exec_lo, s10
	s_mov_b32 s10, -1
	s_and_b32 vcc_lo, exec_lo, s55
	s_mov_b32 s9, -1
	s_cbranch_vccz .LBB13_129
; %bb.120:                              ;   in Loop: Header=BB13_3 Depth=1
	s_and_b32 vcc_lo, exec_lo, s63
                                        ; implicit-def: $sgpr65
	s_cbranch_vccz .LBB13_126
; %bb.121:                              ;   in Loop: Header=BB13_3 Depth=1
	s_and_b32 vcc_lo, exec_lo, s62
                                        ; implicit-def: $sgpr65
	s_cbranch_vccz .LBB13_123
; %bb.122:                              ;   in Loop: Header=BB13_3 Depth=1
	v_cmp_ge_f32_e32 vcc_lo, s34, v1
	s_mov_b32 s9, 0
	s_and_b32 s65, vcc_lo, exec_lo
.LBB13_123:                             ;   in Loop: Header=BB13_3 Depth=1
	s_and_not1_b32 vcc_lo, exec_lo, s9
	s_cbranch_vccnz .LBB13_125
; %bb.124:                              ;   in Loop: Header=BB13_3 Depth=1
	v_cmp_ge_f32_e32 vcc_lo, s34, v2
	s_and_not1_b32 s9, s65, exec_lo
	s_and_b32 s65, vcc_lo, exec_lo
	s_delay_alu instid0(SALU_CYCLE_1)
	s_or_b32 s65, s9, s65
.LBB13_125:                             ;   in Loop: Header=BB13_3 Depth=1
	s_mov_b32 s9, 0
.LBB13_126:                             ;   in Loop: Header=BB13_3 Depth=1
	s_delay_alu instid0(SALU_CYCLE_1)
	s_and_not1_b32 vcc_lo, exec_lo, s9
	s_cbranch_vccnz .LBB13_128
; %bb.127:                              ;   in Loop: Header=BB13_3 Depth=1
	v_cmp_ge_f32_e32 vcc_lo, s34, v2
	v_cmp_ge_f32_e64 s9, s34, v1
	s_and_not1_b32 s65, s65, exec_lo
	s_delay_alu instid0(VALU_DEP_1) | instskip(NEXT) | instid1(SALU_CYCLE_1)
	s_and_b32 s9, vcc_lo, s9
	s_and_b32 s9, s9, exec_lo
	s_delay_alu instid0(SALU_CYCLE_1)
	s_or_b32 s65, s65, s9
.LBB13_128:                             ;   in Loop: Header=BB13_3 Depth=1
	s_delay_alu instid0(SALU_CYCLE_1)
	s_xor_b32 s9, s65, -1
.LBB13_129:                             ;   in Loop: Header=BB13_3 Depth=1
	v_mov_b32_e32 v3, s64
	s_and_saveexec_b32 s65, s9
	s_cbranch_execz .LBB13_2
; %bb.130:                              ;   in Loop: Header=BB13_3 Depth=1
	s_add_i32 s64, s64, 1
	v_mov_b32_e32 v3, s11
	s_cmp_eq_u32 s64, s11
	s_cselect_b32 s9, -1, 0
	s_delay_alu instid0(SALU_CYCLE_1)
	s_or_not1_b32 s10, s9, exec_lo
	s_branch .LBB13_2
.LBB13_131:
	s_or_b32 exec_lo, exec_lo, s57
.LBB13_132:
	s_delay_alu instid0(SALU_CYCLE_1) | instskip(NEXT) | instid1(SALU_CYCLE_1)
	s_or_b32 exec_lo, exec_lo, s56
	s_and_not1_b32 vcc_lo, exec_lo, s55
	s_cbranch_vccnz .LBB13_147
; %bb.133:
	v_or_b32_e32 v4, 32, v23
	v_xor_b32_e32 v5, 16, v23
	s_mov_b32 s2, exec_lo
	s_delay_alu instid0(VALU_DEP_2) | instskip(SKIP_1) | instid1(VALU_DEP_3)
	v_cmp_gt_i32_e32 vcc_lo, 32, v4
	v_cndmask_b32_e32 v4, v23, v4, vcc_lo
	v_cmp_gt_i32_e32 vcc_lo, 32, v5
	v_cndmask_b32_e32 v5, v23, v5, vcc_lo
	s_delay_alu instid0(VALU_DEP_1) | instskip(NEXT) | instid1(VALU_DEP_4)
	v_lshlrev_b32_e32 v5, 2, v5
	v_lshlrev_b32_e32 v4, 2, v4
	ds_bpermute_b32 v4, v4, v3
	s_waitcnt lgkmcnt(0)
	v_max_i32_e32 v3, v3, v4
	ds_bpermute_b32 v4, v5, v3
	v_xor_b32_e32 v5, 8, v23
	s_delay_alu instid0(VALU_DEP_1) | instskip(SKIP_1) | instid1(VALU_DEP_1)
	v_cmp_gt_i32_e32 vcc_lo, 32, v5
	v_cndmask_b32_e32 v5, v23, v5, vcc_lo
	v_lshlrev_b32_e32 v5, 2, v5
	s_waitcnt lgkmcnt(0)
	v_max_i32_e32 v3, v3, v4
	ds_bpermute_b32 v4, v5, v3
	v_xor_b32_e32 v5, 4, v23
	s_delay_alu instid0(VALU_DEP_1) | instskip(SKIP_1) | instid1(VALU_DEP_1)
	v_cmp_gt_i32_e32 vcc_lo, 32, v5
	v_cndmask_b32_e32 v5, v23, v5, vcc_lo
	v_lshlrev_b32_e32 v5, 2, v5
	;; [unrolled: 8-line block ×3, first 2 shown]
	s_waitcnt lgkmcnt(0)
	v_max_i32_e32 v3, v3, v4
	ds_bpermute_b32 v4, v5, v3
	v_xor_b32_e32 v5, 1, v23
	s_delay_alu instid0(VALU_DEP_1) | instskip(SKIP_3) | instid1(VALU_DEP_2)
	v_cmp_gt_i32_e32 vcc_lo, 32, v5
	v_cndmask_b32_e32 v5, v23, v5, vcc_lo
	s_waitcnt lgkmcnt(0)
	v_max_i32_e32 v3, v3, v4
	v_lshlrev_b32_e32 v4, 2, v5
	ds_bpermute_b32 v4, v4, v3
	v_cmpx_eq_u32_e32 63, v24
	s_cbranch_execz .LBB13_135
; %bb.134:
	v_lshlrev_b32_e32 v5, 2, v22
	s_waitcnt lgkmcnt(0)
	v_max_i32_e32 v3, v3, v4
	ds_store_b32 v5, v3 offset:64
.LBB13_135:
	s_or_b32 exec_lo, exec_lo, s2
	s_delay_alu instid0(SALU_CYCLE_1)
	s_mov_b32 s2, exec_lo
	s_waitcnt lgkmcnt(0)
	s_waitcnt_vscnt null, 0x0
	s_barrier
	buffer_gl0_inv
	v_cmpx_gt_u32_e32 8, v0
	s_cbranch_execz .LBB13_137
; %bb.136:
	ds_load_2addr_b32 v[3:4], v21 offset0:16 offset1:24
	s_waitcnt lgkmcnt(0)
	v_max_i32_e32 v3, v3, v4
	ds_store_b32 v21, v3 offset:64
.LBB13_137:
	s_or_b32 exec_lo, exec_lo, s2
	s_delay_alu instid0(SALU_CYCLE_1)
	s_mov_b32 s2, exec_lo
	s_waitcnt lgkmcnt(0)
	s_barrier
	buffer_gl0_inv
	v_cmpx_gt_u32_e32 4, v0
	s_cbranch_execz .LBB13_139
; %bb.138:
	ds_load_2addr_b32 v[3:4], v21 offset0:16 offset1:20
	s_waitcnt lgkmcnt(0)
	v_max_i32_e32 v3, v3, v4
	ds_store_b32 v21, v3 offset:64
.LBB13_139:
	s_or_b32 exec_lo, exec_lo, s2
	s_delay_alu instid0(SALU_CYCLE_1)
	s_mov_b32 s2, exec_lo
	s_waitcnt lgkmcnt(0)
	s_barrier
	buffer_gl0_inv
	v_cmpx_gt_u32_e32 2, v0
	s_cbranch_execz .LBB13_141
; %bb.140:
	ds_load_2addr_b32 v[3:4], v21 offset0:16 offset1:18
	s_waitcnt lgkmcnt(0)
	v_max_i32_e32 v3, v3, v4
	ds_store_b32 v21, v3 offset:64
.LBB13_141:
	s_or_b32 exec_lo, exec_lo, s2
	v_cmp_eq_u32_e32 vcc_lo, 0, v0
	s_waitcnt lgkmcnt(0)
	s_barrier
	buffer_gl0_inv
	s_and_saveexec_b32 s2, vcc_lo
	s_cbranch_execz .LBB13_143
; %bb.142:
	v_mov_b32_e32 v5, 0
	ds_load_b64 v[3:4], v5 offset:64
	s_waitcnt lgkmcnt(0)
	v_max_i32_e32 v3, v3, v4
	ds_store_b32 v5, v3 offset:64
.LBB13_143:
	s_or_b32 exec_lo, exec_lo, s2
	s_waitcnt lgkmcnt(0)
	s_barrier
	buffer_gl0_inv
	s_and_saveexec_b32 s2, vcc_lo
	s_cbranch_execz .LBB13_146
; %bb.144:
	v_mbcnt_lo_u32_b32 v3, exec_lo, 0
	s_delay_alu instid0(VALU_DEP_1)
	v_cmp_eq_u32_e32 vcc_lo, 0, v3
	s_and_b32 exec_lo, exec_lo, vcc_lo
	s_cbranch_execz .LBB13_146
; %bb.145:
	v_mov_b32_e32 v3, 0
	s_load_b64 s[0:1], s[0:1], 0x8
	ds_load_b32 v4, v3 offset:64
	s_waitcnt lgkmcnt(0)
	v_add_nc_u32_e32 v4, 1, v4
	global_atomic_max_i32 v3, v4, s[0:1]
.LBB13_146:
	s_or_b32 exec_lo, exec_lo, s2
.LBB13_147:
	v_cmp_eq_u32_e32 vcc_lo, 0, v0
	s_mov_b32 s2, 0
	s_and_b32 s0, vcc_lo, s54
	s_delay_alu instid0(SALU_CYCLE_1)
	s_and_saveexec_b32 s3, s0
	s_cbranch_execz .LBB13_152
; %bb.148:
	v_mov_b32_e32 v0, 0
	v_cmp_eq_f32_e64 s0, 0, v2
                                        ; implicit-def: $sgpr4
                                        ; implicit-def: $sgpr5
	global_load_b32 v3, v0, s[28:29] glc
	s_waitcnt vmcnt(0)
	v_cmp_eq_u32_e64 s6, 0x80000000, v3
	s_set_inst_prefetch_distance 0x1
	s_branch .LBB13_150
	.p2align	6
.LBB13_149:                             ;   in Loop: Header=BB13_150 Depth=1
	s_or_b32 exec_lo, exec_lo, s7
	s_delay_alu instid0(SALU_CYCLE_1) | instskip(NEXT) | instid1(SALU_CYCLE_1)
	s_and_b32 s1, exec_lo, s4
	s_or_b32 s2, s1, s2
	s_and_not1_b32 s1, s6, exec_lo
	s_and_b32 s6, s5, exec_lo
	s_delay_alu instid0(SALU_CYCLE_1)
	s_or_b32 s6, s1, s6
	s_and_not1_b32 exec_lo, exec_lo, s2
	s_cbranch_execz .LBB13_152
.LBB13_150:                             ; =>This Inner Loop Header: Depth=1
	v_cmp_lt_f32_e64 s1, v3, v2
	s_delay_alu instid0(VALU_DEP_2) | instskip(SKIP_2) | instid1(VALU_DEP_1)
	s_and_b32 s7, s0, s6
	s_and_not1_b32 s5, s5, exec_lo
	s_or_b32 s4, s4, exec_lo
	s_or_b32 s1, s1, s7
	s_delay_alu instid0(SALU_CYCLE_1)
	s_and_saveexec_b32 s7, s1
	s_cbranch_execz .LBB13_149
; %bb.151:                              ;   in Loop: Header=BB13_150 Depth=1
	global_atomic_cmpswap_b32 v4, v0, v[2:3], s[28:29] glc
	s_and_not1_b32 s5, s5, exec_lo
	s_and_not1_b32 s4, s4, exec_lo
	s_waitcnt vmcnt(0)
	v_cmp_eq_u32_e64 s1, v4, v3
	s_delay_alu instid0(VALU_DEP_1) | instskip(SKIP_1) | instid1(SALU_CYCLE_1)
	v_cndmask_b32_e64 v3, v4, v3, s1
	s_and_b32 s1, s1, exec_lo
	s_or_b32 s4, s4, s1
	s_delay_alu instid0(VALU_DEP_1) | instskip(SKIP_1) | instid1(VALU_DEP_2)
	v_cmp_class_f32_e64 s6, v3, 32
	v_mov_b32_e32 v3, v4
	s_and_b32 s6, s6, exec_lo
	s_delay_alu instid0(SALU_CYCLE_1)
	s_or_b32 s5, s5, s6
                                        ; implicit-def: $sgpr6
	s_branch .LBB13_149
.LBB13_152:
	s_set_inst_prefetch_distance 0x2
	s_or_b32 exec_lo, exec_lo, s3
	s_and_b32 s0, vcc_lo, s33
	s_delay_alu instid0(SALU_CYCLE_1)
	s_and_saveexec_b32 s1, s0
	s_cbranch_execz .LBB13_157
; %bb.153:
	v_mov_b32_e32 v0, 0
	v_cmp_eq_f32_e32 vcc_lo, 0, v1
	s_mov_b32 s1, 0
                                        ; implicit-def: $sgpr2
                                        ; implicit-def: $sgpr3
	global_load_b32 v2, v0, s[30:31] glc
	s_waitcnt vmcnt(0)
	v_cmp_eq_u32_e64 s4, 0x80000000, v2
	s_set_inst_prefetch_distance 0x1
	s_branch .LBB13_155
	.p2align	6
.LBB13_154:                             ;   in Loop: Header=BB13_155 Depth=1
	s_or_b32 exec_lo, exec_lo, s5
	s_delay_alu instid0(SALU_CYCLE_1) | instskip(NEXT) | instid1(SALU_CYCLE_1)
	s_and_b32 s0, exec_lo, s2
	s_or_b32 s1, s0, s1
	s_and_not1_b32 s0, s4, exec_lo
	s_and_b32 s4, s3, exec_lo
	s_delay_alu instid0(SALU_CYCLE_1)
	s_or_b32 s4, s0, s4
	s_and_not1_b32 exec_lo, exec_lo, s1
	s_cbranch_execz .LBB13_157
.LBB13_155:                             ; =>This Inner Loop Header: Depth=1
	v_cmp_lt_f32_e64 s0, v2, v1
	s_delay_alu instid0(VALU_DEP_2) | instskip(SKIP_2) | instid1(VALU_DEP_1)
	s_and_b32 s5, vcc_lo, s4
	s_and_not1_b32 s3, s3, exec_lo
	s_or_b32 s2, s2, exec_lo
	s_or_b32 s0, s0, s5
	s_delay_alu instid0(SALU_CYCLE_1)
	s_and_saveexec_b32 s5, s0
	s_cbranch_execz .LBB13_154
; %bb.156:                              ;   in Loop: Header=BB13_155 Depth=1
	global_atomic_cmpswap_b32 v3, v0, v[1:2], s[30:31] glc
	s_and_not1_b32 s3, s3, exec_lo
	s_and_not1_b32 s2, s2, exec_lo
	s_waitcnt vmcnt(0)
	v_cmp_eq_u32_e64 s0, v3, v2
	s_delay_alu instid0(VALU_DEP_1) | instskip(SKIP_1) | instid1(SALU_CYCLE_1)
	v_cndmask_b32_e64 v2, v3, v2, s0
	s_and_b32 s0, s0, exec_lo
	s_or_b32 s2, s2, s0
	s_delay_alu instid0(VALU_DEP_1) | instskip(SKIP_1) | instid1(VALU_DEP_2)
	v_cmp_class_f32_e64 s4, v2, 32
	v_mov_b32_e32 v2, v3
	s_and_b32 s4, s4, exec_lo
	s_delay_alu instid0(SALU_CYCLE_1)
	s_or_b32 s3, s3, s4
                                        ; implicit-def: $sgpr4
	s_branch .LBB13_154
.LBB13_157:
	s_set_inst_prefetch_distance 0x2
	s_nop 0
	s_sendmsg sendmsg(MSG_DEALLOC_VGPRS)
	s_endpgm
	.section	.rodata,"a",@progbits
	.p2align	6, 0x0
	.amdhsa_kernel _ZN9rocsparseL6kernelILi1024ELi64EfiiEEvbbbT3_PS1_NS_15floating_traitsIT1_E6data_tES1_T2_PKS7_S9_PKS1_PKS4_21rocsparse_index_base_S9_S9_SB_PS4_SF_SE_S9_S9_SB_SF_SF_SE_SF_SF_PS6_SG_PKS6_
		.amdhsa_group_segment_fixed_size 128
		.amdhsa_private_segment_fixed_size 0
		.amdhsa_kernarg_size 208
		.amdhsa_user_sgpr_count 15
		.amdhsa_user_sgpr_dispatch_ptr 0
		.amdhsa_user_sgpr_queue_ptr 0
		.amdhsa_user_sgpr_kernarg_segment_ptr 1
		.amdhsa_user_sgpr_dispatch_id 0
		.amdhsa_user_sgpr_private_segment_size 0
		.amdhsa_wavefront_size32 1
		.amdhsa_uses_dynamic_stack 0
		.amdhsa_enable_private_segment 0
		.amdhsa_system_sgpr_workgroup_id_x 1
		.amdhsa_system_sgpr_workgroup_id_y 0
		.amdhsa_system_sgpr_workgroup_id_z 0
		.amdhsa_system_sgpr_workgroup_info 0
		.amdhsa_system_vgpr_workitem_id 0
		.amdhsa_next_free_vgpr 46
		.amdhsa_next_free_sgpr 79
		.amdhsa_reserve_vcc 1
		.amdhsa_float_round_mode_32 0
		.amdhsa_float_round_mode_16_64 0
		.amdhsa_float_denorm_mode_32 3
		.amdhsa_float_denorm_mode_16_64 3
		.amdhsa_dx10_clamp 1
		.amdhsa_ieee_mode 1
		.amdhsa_fp16_overflow 0
		.amdhsa_workgroup_processor_mode 1
		.amdhsa_memory_ordered 1
		.amdhsa_forward_progress 0
		.amdhsa_shared_vgpr_count 0
		.amdhsa_exception_fp_ieee_invalid_op 0
		.amdhsa_exception_fp_denorm_src 0
		.amdhsa_exception_fp_ieee_div_zero 0
		.amdhsa_exception_fp_ieee_overflow 0
		.amdhsa_exception_fp_ieee_underflow 0
		.amdhsa_exception_fp_ieee_inexact 0
		.amdhsa_exception_int_div_zero 0
	.end_amdhsa_kernel
	.section	.text._ZN9rocsparseL6kernelILi1024ELi64EfiiEEvbbbT3_PS1_NS_15floating_traitsIT1_E6data_tES1_T2_PKS7_S9_PKS1_PKS4_21rocsparse_index_base_S9_S9_SB_PS4_SF_SE_S9_S9_SB_SF_SF_SE_SF_SF_PS6_SG_PKS6_,"axG",@progbits,_ZN9rocsparseL6kernelILi1024ELi64EfiiEEvbbbT3_PS1_NS_15floating_traitsIT1_E6data_tES1_T2_PKS7_S9_PKS1_PKS4_21rocsparse_index_base_S9_S9_SB_PS4_SF_SE_S9_S9_SB_SF_SF_SE_SF_SF_PS6_SG_PKS6_,comdat
.Lfunc_end13:
	.size	_ZN9rocsparseL6kernelILi1024ELi64EfiiEEvbbbT3_PS1_NS_15floating_traitsIT1_E6data_tES1_T2_PKS7_S9_PKS1_PKS4_21rocsparse_index_base_S9_S9_SB_PS4_SF_SE_S9_S9_SB_SF_SF_SE_SF_SF_PS6_SG_PKS6_, .Lfunc_end13-_ZN9rocsparseL6kernelILi1024ELi64EfiiEEvbbbT3_PS1_NS_15floating_traitsIT1_E6data_tES1_T2_PKS7_S9_PKS1_PKS4_21rocsparse_index_base_S9_S9_SB_PS4_SF_SE_S9_S9_SB_SF_SF_SE_SF_SF_PS6_SG_PKS6_
                                        ; -- End function
	.section	.AMDGPU.csdata,"",@progbits
; Kernel info:
; codeLenInByte = 6012
; NumSgprs: 81
; NumVgprs: 46
; ScratchSize: 0
; MemoryBound: 0
; FloatMode: 240
; IeeeMode: 1
; LDSByteSize: 128 bytes/workgroup (compile time only)
; SGPRBlocks: 10
; VGPRBlocks: 5
; NumSGPRsForWavesPerEU: 81
; NumVGPRsForWavesPerEU: 46
; Occupancy: 16
; WaveLimiterHint : 1
; COMPUTE_PGM_RSRC2:SCRATCH_EN: 0
; COMPUTE_PGM_RSRC2:USER_SGPR: 15
; COMPUTE_PGM_RSRC2:TRAP_HANDLER: 0
; COMPUTE_PGM_RSRC2:TGID_X_EN: 1
; COMPUTE_PGM_RSRC2:TGID_Y_EN: 0
; COMPUTE_PGM_RSRC2:TGID_Z_EN: 0
; COMPUTE_PGM_RSRC2:TIDIG_COMP_CNT: 0
	.section	.text._ZN9rocsparseL14kernel_freerunILi1024ELi1EdiiEEvT3_S1_T2_PKS2_S4_PKS1_PKT1_21rocsparse_index_base_S4_S4_S6_PS7_SB_SA_S4_S4_S6_SB_SB_SA_SB_SB_,"axG",@progbits,_ZN9rocsparseL14kernel_freerunILi1024ELi1EdiiEEvT3_S1_T2_PKS2_S4_PKS1_PKT1_21rocsparse_index_base_S4_S4_S6_PS7_SB_SA_S4_S4_S6_SB_SB_SA_SB_SB_,comdat
	.globl	_ZN9rocsparseL14kernel_freerunILi1024ELi1EdiiEEvT3_S1_T2_PKS2_S4_PKS1_PKT1_21rocsparse_index_base_S4_S4_S6_PS7_SB_SA_S4_S4_S6_SB_SB_SA_SB_SB_ ; -- Begin function _ZN9rocsparseL14kernel_freerunILi1024ELi1EdiiEEvT3_S1_T2_PKS2_S4_PKS1_PKT1_21rocsparse_index_base_S4_S4_S6_PS7_SB_SA_S4_S4_S6_SB_SB_SA_SB_SB_
	.p2align	8
	.type	_ZN9rocsparseL14kernel_freerunILi1024ELi1EdiiEEvT3_S1_T2_PKS2_S4_PKS1_PKT1_21rocsparse_index_base_S4_S4_S6_PS7_SB_SA_S4_S4_S6_SB_SB_SA_SB_SB_,@function
_ZN9rocsparseL14kernel_freerunILi1024ELi1EdiiEEvT3_S1_T2_PKS2_S4_PKS1_PKT1_21rocsparse_index_base_S4_S4_S6_PS7_SB_SA_S4_S4_S6_SB_SB_SA_SB_SB_: ; @_ZN9rocsparseL14kernel_freerunILi1024ELi1EdiiEEvT3_S1_T2_PKS2_S4_PKS1_PKT1_21rocsparse_index_base_S4_S4_S6_PS7_SB_SA_S4_S4_S6_SB_SB_SA_SB_SB_
; %bb.0:
	s_load_b64 s[28:29], s[0:1], 0x0
	s_lshl_b32 s38, s15, 10
	s_mov_b32 s33, 0
	v_or_b32_e32 v0, s38, v0
	s_waitcnt lgkmcnt(0)
	s_delay_alu instid0(VALU_DEP_1) | instskip(SKIP_2) | instid1(SALU_CYCLE_1)
	v_cmp_gt_i32_e32 vcc_lo, s29, v0
	s_cmp_gt_i32 s28, 0
	s_cselect_b32 s2, -1, 0
	s_and_b32 s2, vcc_lo, s2
	s_delay_alu instid0(SALU_CYCLE_1)
	s_and_saveexec_b32 s3, s2
	s_cbranch_execz .LBB14_56
; %bb.1:
	s_clause 0x1
	s_load_b256 s[4:11], s[0:1], 0x38
	s_load_b256 s[12:19], s[0:1], 0x10
	v_ashrrev_i32_e32 v1, 31, v0
	s_addk_i32 s38, 0x400
	s_delay_alu instid0(VALU_DEP_1) | instskip(SKIP_1) | instid1(VALU_DEP_1)
	v_lshlrev_b64 v[1:2], 2, v[0:1]
	s_waitcnt lgkmcnt(0)
	v_add_co_u32 v3, vcc_lo, s4, v1
	s_delay_alu instid0(VALU_DEP_2)
	v_add_co_ci_u32_e32 v4, vcc_lo, s5, v2, vcc_lo
	v_add_co_u32 v5, vcc_lo, s6, v1
	v_add_co_ci_u32_e32 v6, vcc_lo, s7, v2, vcc_lo
	global_load_b32 v7, v[3:4], off
	v_add_co_u32 v3, vcc_lo, s12, v1
	v_add_co_ci_u32_e32 v4, vcc_lo, s13, v2, vcc_lo
	v_add_co_u32 v1, vcc_lo, s14, v1
	v_add_co_ci_u32_e32 v2, vcc_lo, s15, v2, vcc_lo
	global_load_b32 v5, v[5:6], off
	global_load_b32 v6, v[3:4], off
	;; [unrolled: 1-line block ×3, first 2 shown]
	s_clause 0x6
	s_load_b32 s36, s[0:1], 0x60
	s_load_b32 s37, s[0:1], 0x30
	s_load_b64 s[30:31], s[0:1], 0x58
	s_load_b128 s[12:15], s[0:1], 0x98
	s_load_b256 s[20:27], s[0:1], 0x68
	s_load_b64 s[34:35], s[0:1], 0x88
	s_load_b32 s39, s[0:1], 0x90
	v_cmp_gt_u32_e64 s0, s38, v0
	s_waitcnt vmcnt(3) lgkmcnt(0)
	v_subrev_nc_u32_e32 v1, s36, v7
	s_delay_alu instid0(VALU_DEP_1)
	v_ashrrev_i32_e32 v2, 31, v1
	s_waitcnt vmcnt(2)
	v_sub_nc_u32_e32 v15, v5, v7
	s_waitcnt vmcnt(1)
	v_subrev_nc_u32_e32 v16, s37, v6
	v_lshlrev_b64 v[3:4], 2, v[1:2]
	s_waitcnt vmcnt(0)
	v_cmp_lt_i32_e64 s1, v6, v8
	v_lshlrev_b64 v[5:6], 3, v[1:2]
	v_subrev_nc_u32_e32 v17, s37, v8
	v_cmp_lt_i32_e64 s2, 0, v15
	v_add_co_u32 v18, vcc_lo, s8, v3
	v_add_co_ci_u32_e32 v19, vcc_lo, s9, v4, vcc_lo
	v_add_co_u32 v20, vcc_lo, s10, v5
	v_add_co_ci_u32_e32 v21, vcc_lo, s11, v6, vcc_lo
	v_mov_b32_e32 v3, 0
	s_branch .LBB14_3
.LBB14_2:                               ;   in Loop: Header=BB14_3 Depth=1
	s_or_b32 exec_lo, exec_lo, s40
	s_add_i32 s33, s33, 1
	s_delay_alu instid0(SALU_CYCLE_1)
	s_cmp_eq_u32 s33, s28
	s_cbranch_scc1 .LBB14_56
.LBB14_3:                               ; =>This Loop Header: Depth=1
                                        ;     Child Loop BB14_6 Depth 2
                                        ;       Child Loop BB14_10 Depth 3
                                        ;       Child Loop BB14_28 Depth 3
	;; [unrolled: 1-line block ×3, first 2 shown]
                                        ;     Child Loop BB14_49 Depth 2
                                        ;       Child Loop BB14_52 Depth 3
                                        ;       Child Loop BB14_55 Depth 3
	s_and_saveexec_b32 s40, s1
	s_cbranch_execz .LBB14_45
; %bb.4:                                ;   in Loop: Header=BB14_3 Depth=1
	v_mov_b32_e32 v4, v16
	s_mov_b32 s41, 0
	s_branch .LBB14_6
.LBB14_5:                               ;   in Loop: Header=BB14_6 Depth=2
	s_or_b32 exec_lo, exec_lo, s42
	v_add_nc_u32_e32 v4, 1, v4
	s_delay_alu instid0(VALU_DEP_1) | instskip(SKIP_1) | instid1(SALU_CYCLE_1)
	v_cmp_ge_i32_e32 vcc_lo, v4, v17
	s_or_b32 s41, vcc_lo, s41
	s_and_not1_b32 exec_lo, exec_lo, s41
	s_cbranch_execz .LBB14_45
.LBB14_6:                               ;   Parent Loop BB14_3 Depth=1
                                        ; =>  This Loop Header: Depth=2
                                        ;       Child Loop BB14_10 Depth 3
                                        ;       Child Loop BB14_28 Depth 3
	;; [unrolled: 1-line block ×3, first 2 shown]
	s_delay_alu instid0(VALU_DEP_1) | instskip(NEXT) | instid1(VALU_DEP_1)
	v_ashrrev_i32_e32 v5, 31, v4
	v_lshlrev_b64 v[6:7], 2, v[4:5]
	s_delay_alu instid0(VALU_DEP_1) | instskip(NEXT) | instid1(VALU_DEP_2)
	v_add_co_u32 v6, vcc_lo, s16, v6
	v_add_co_ci_u32_e32 v7, vcc_lo, s17, v7, vcc_lo
	global_load_b32 v2, v[6:7], off
	s_waitcnt vmcnt(0)
	v_subrev_nc_u32_e32 v7, s37, v2
	s_delay_alu instid0(VALU_DEP_1) | instskip(NEXT) | instid1(VALU_DEP_1)
	v_ashrrev_i32_e32 v8, 31, v7
	v_lshlrev_b64 v[9:10], 2, v[7:8]
	s_delay_alu instid0(VALU_DEP_1) | instskip(NEXT) | instid1(VALU_DEP_2)
	v_add_co_u32 v11, vcc_lo, s20, v9
	v_add_co_ci_u32_e32 v12, vcc_lo, s21, v10, vcc_lo
	v_add_co_u32 v9, vcc_lo, s22, v9
	v_add_co_ci_u32_e32 v10, vcc_lo, s23, v10, vcc_lo
	global_load_b32 v2, v[11:12], off
	global_load_b32 v6, v[9:10], off
	v_mov_b32_e32 v12, 0
	v_dual_mov_b32 v13, 0 :: v_dual_mov_b32 v10, 0
	s_waitcnt vmcnt(1)
	v_subrev_nc_u32_e32 v9, s39, v2
	s_waitcnt vmcnt(0)
	v_sub_nc_u32_e32 v22, v6, v2
	v_mov_b32_e32 v2, 0
	s_and_saveexec_b32 s42, s2
	s_cbranch_execz .LBB14_14
; %bb.7:                                ;   in Loop: Header=BB14_6 Depth=2
	v_ashrrev_i32_e32 v10, 31, v9
	v_mov_b32_e32 v2, 0
	s_mov_b32 s43, 0
                                        ; implicit-def: $sgpr44
	s_delay_alu instid0(VALU_DEP_2) | instskip(SKIP_1) | instid1(VALU_DEP_2)
	v_lshlrev_b64 v[11:12], 2, v[9:10]
	v_lshlrev_b64 v[23:24], 3, v[9:10]
	v_add_co_u32 v6, vcc_lo, s24, v11
	s_delay_alu instid0(VALU_DEP_3) | instskip(NEXT) | instid1(VALU_DEP_3)
	v_add_co_ci_u32_e32 v14, vcc_lo, s25, v12, vcc_lo
	v_add_co_u32 v23, vcc_lo, s26, v23
	v_mov_b32_e32 v12, 0
	v_mov_b32_e32 v13, 0
	v_add_co_ci_u32_e32 v24, vcc_lo, s27, v24, vcc_lo
	v_mov_b32_e32 v10, v2
	s_branch .LBB14_10
.LBB14_8:                               ;   in Loop: Header=BB14_10 Depth=3
	s_or_b32 exec_lo, exec_lo, s3
	v_cmp_le_i32_e32 vcc_lo, v25, v26
	v_cmp_ge_i32_e64 s3, v25, v26
	v_add_co_ci_u32_e32 v2, vcc_lo, 0, v2, vcc_lo
	s_delay_alu instid0(VALU_DEP_2) | instskip(SKIP_1) | instid1(VALU_DEP_2)
	v_add_co_ci_u32_e64 v10, s3, 0, v10, s3
	s_and_not1_b32 s3, s44, exec_lo
	v_cmp_ge_i32_e32 vcc_lo, v2, v15
	s_and_b32 s44, vcc_lo, exec_lo
	s_delay_alu instid0(SALU_CYCLE_1)
	s_or_b32 s44, s3, s44
.LBB14_9:                               ;   in Loop: Header=BB14_10 Depth=3
	s_or_b32 exec_lo, exec_lo, s45
	s_delay_alu instid0(SALU_CYCLE_1) | instskip(NEXT) | instid1(SALU_CYCLE_1)
	s_and_b32 s3, exec_lo, s44
	s_or_b32 s43, s3, s43
	s_delay_alu instid0(SALU_CYCLE_1)
	s_and_not1_b32 exec_lo, exec_lo, s43
	s_cbranch_execz .LBB14_13
.LBB14_10:                              ;   Parent Loop BB14_3 Depth=1
                                        ;     Parent Loop BB14_6 Depth=2
                                        ; =>    This Inner Loop Header: Depth=3
	s_or_b32 s44, s44, exec_lo
	s_mov_b32 s45, exec_lo
	s_delay_alu instid0(VALU_DEP_1)
	v_cmpx_lt_i32_e64 v10, v22
	s_cbranch_execz .LBB14_9
; %bb.11:                               ;   in Loop: Header=BB14_10 Depth=3
	v_mov_b32_e32 v11, v3
	v_lshlrev_b64 v[25:26], 2, v[2:3]
	s_mov_b32 s3, exec_lo
	s_delay_alu instid0(VALU_DEP_2) | instskip(NEXT) | instid1(VALU_DEP_2)
	v_lshlrev_b64 v[27:28], 2, v[10:11]
	v_add_co_u32 v25, vcc_lo, v18, v25
	s_delay_alu instid0(VALU_DEP_3) | instskip(NEXT) | instid1(VALU_DEP_3)
	v_add_co_ci_u32_e32 v26, vcc_lo, v19, v26, vcc_lo
	v_add_co_u32 v27, vcc_lo, v6, v27
	s_delay_alu instid0(VALU_DEP_4)
	v_add_co_ci_u32_e32 v28, vcc_lo, v14, v28, vcc_lo
	global_load_b32 v25, v[25:26], off
	global_load_b32 v26, v[27:28], off
	s_waitcnt vmcnt(1)
	v_subrev_nc_u32_e32 v25, s36, v25
	s_waitcnt vmcnt(0)
	v_subrev_nc_u32_e32 v26, s39, v26
	s_delay_alu instid0(VALU_DEP_1)
	v_cmpx_eq_u32_e64 v25, v26
	s_cbranch_execz .LBB14_8
; %bb.12:                               ;   in Loop: Header=BB14_10 Depth=3
	v_lshlrev_b64 v[27:28], 3, v[2:3]
	v_lshlrev_b64 v[29:30], 3, v[10:11]
	s_delay_alu instid0(VALU_DEP_2) | instskip(NEXT) | instid1(VALU_DEP_3)
	v_add_co_u32 v27, vcc_lo, v20, v27
	v_add_co_ci_u32_e32 v28, vcc_lo, v21, v28, vcc_lo
	s_delay_alu instid0(VALU_DEP_3) | instskip(NEXT) | instid1(VALU_DEP_4)
	v_add_co_u32 v29, vcc_lo, v23, v29
	v_add_co_ci_u32_e32 v30, vcc_lo, v24, v30, vcc_lo
	global_load_b64 v[27:28], v[27:28], off
	global_load_b64 v[29:30], v[29:30], off
	s_waitcnt vmcnt(0)
	v_fma_f64 v[12:13], v[27:28], v[29:30], v[12:13]
	s_branch .LBB14_8
.LBB14_13:                              ;   in Loop: Header=BB14_6 Depth=2
	s_or_b32 exec_lo, exec_lo, s43
.LBB14_14:                              ;   in Loop: Header=BB14_6 Depth=2
	s_delay_alu instid0(SALU_CYCLE_1) | instskip(SKIP_3) | instid1(VALU_DEP_2)
	s_or_b32 exec_lo, exec_lo, s42
	v_lshlrev_b64 v[5:6], 3, v[4:5]
	v_cmp_le_i32_e64 s3, v0, v7
	s_mov_b32 s42, exec_lo
	v_add_co_u32 v5, vcc_lo, s18, v5
	s_delay_alu instid0(VALU_DEP_3)
	v_add_co_ci_u32_e32 v6, vcc_lo, s19, v6, vcc_lo
	global_load_b64 v[5:6], v[5:6], off
	s_waitcnt vmcnt(0)
	v_add_f64 v[5:6], v[5:6], -v[12:13]
	v_cmpx_gt_i32_e64 v0, v7
	s_cbranch_execz .LBB14_18
; %bb.15:                               ;   in Loop: Header=BB14_6 Depth=2
	v_lshlrev_b64 v[11:12], 3, v[7:8]
	v_mov_b32_e32 v13, 0
	v_mov_b32_e32 v14, 0
	s_mov_b32 s43, exec_lo
	s_delay_alu instid0(VALU_DEP_3) | instskip(NEXT) | instid1(VALU_DEP_4)
	v_add_co_u32 v11, vcc_lo, s12, v11
	v_add_co_ci_u32_e32 v12, vcc_lo, s13, v12, vcc_lo
	global_load_b64 v[11:12], v[11:12], off
	s_waitcnt vmcnt(0)
	v_cmpx_lg_f64_e32 0, v[11:12]
; %bb.16:                               ;   in Loop: Header=BB14_6 Depth=2
	v_div_scale_f64 v[13:14], null, v[11:12], v[11:12], v[5:6]
	s_delay_alu instid0(VALU_DEP_1) | instskip(SKIP_2) | instid1(VALU_DEP_1)
	v_rcp_f64_e32 v[23:24], v[13:14]
	s_waitcnt_depctr 0xfff
	v_fma_f64 v[25:26], -v[13:14], v[23:24], 1.0
	v_fma_f64 v[23:24], v[23:24], v[25:26], v[23:24]
	s_delay_alu instid0(VALU_DEP_1) | instskip(NEXT) | instid1(VALU_DEP_1)
	v_fma_f64 v[25:26], -v[13:14], v[23:24], 1.0
	v_fma_f64 v[23:24], v[23:24], v[25:26], v[23:24]
	v_div_scale_f64 v[25:26], vcc_lo, v[5:6], v[11:12], v[5:6]
	s_delay_alu instid0(VALU_DEP_1) | instskip(NEXT) | instid1(VALU_DEP_1)
	v_mul_f64 v[27:28], v[25:26], v[23:24]
	v_fma_f64 v[13:14], -v[13:14], v[27:28], v[25:26]
	s_delay_alu instid0(VALU_DEP_1) | instskip(NEXT) | instid1(VALU_DEP_1)
	v_div_fmas_f64 v[13:14], v[13:14], v[23:24], v[27:28]
	v_div_fixup_f64 v[13:14], v[13:14], v[11:12], v[5:6]
; %bb.17:                               ;   in Loop: Header=BB14_6 Depth=2
	s_or_b32 exec_lo, exec_lo, s43
	s_delay_alu instid0(VALU_DEP_1)
	v_dual_mov_b32 v5, v13 :: v_dual_mov_b32 v6, v14
.LBB14_18:                              ;   in Loop: Header=BB14_6 Depth=2
	s_or_b32 exec_lo, exec_lo, s42
	s_delay_alu instid0(VALU_DEP_1) | instskip(NEXT) | instid1(VALU_DEP_1)
	v_cmp_class_f64_e64 s43, v[5:6], 0x1f8
	s_and_saveexec_b32 s42, s43
	s_cbranch_execz .LBB14_5
; %bb.19:                               ;   in Loop: Header=BB14_6 Depth=2
	s_mov_b32 s43, 0
                                        ; implicit-def: $vgpr11_vgpr12
	s_and_saveexec_b32 s44, s3
	s_delay_alu instid0(SALU_CYCLE_1)
	s_xor_b32 s3, exec_lo, s44
	s_cbranch_execnz .LBB14_22
; %bb.20:                               ;   in Loop: Header=BB14_6 Depth=2
	s_and_not1_saveexec_b32 s3, s3
	s_cbranch_execnz .LBB14_35
.LBB14_21:                              ;   in Loop: Header=BB14_6 Depth=2
	s_or_b32 exec_lo, exec_lo, s3
	s_delay_alu instid0(SALU_CYCLE_1)
	s_and_b32 exec_lo, exec_lo, s43
	s_cbranch_execz .LBB14_5
	s_branch .LBB14_44
.LBB14_22:                              ;   in Loop: Header=BB14_6 Depth=2
	s_mov_b32 s44, exec_lo
                                        ; implicit-def: $vgpr11_vgpr12
	v_cmpx_ge_i32_e64 v0, v7
	s_xor_b32 s44, exec_lo, s44
; %bb.23:                               ;   in Loop: Header=BB14_6 Depth=2
	v_lshlrev_b64 v[7:8], 3, v[7:8]
	s_mov_b32 s43, exec_lo
                                        ; implicit-def: $vgpr10
                                        ; implicit-def: $vgpr22
                                        ; implicit-def: $vgpr9
	s_delay_alu instid0(VALU_DEP_1) | instskip(NEXT) | instid1(VALU_DEP_2)
	v_add_co_u32 v11, vcc_lo, s14, v7
	v_add_co_ci_u32_e32 v12, vcc_lo, s15, v8, vcc_lo
; %bb.24:                               ;   in Loop: Header=BB14_6 Depth=2
	s_and_not1_saveexec_b32 s44, s44
	s_cbranch_execz .LBB14_34
; %bb.25:                               ;   in Loop: Header=BB14_6 Depth=2
	s_mov_b32 s46, s43
	s_mov_b32 s45, exec_lo
                                        ; implicit-def: $vgpr11_vgpr12
	v_cmpx_lt_i32_e64 v10, v22
	s_cbranch_execz .LBB14_33
; %bb.26:                               ;   in Loop: Header=BB14_6 Depth=2
	s_mov_b32 s47, 0
                                        ; implicit-def: $sgpr46
                                        ; implicit-def: $sgpr49
                                        ; implicit-def: $sgpr48
	s_set_inst_prefetch_distance 0x1
	s_branch .LBB14_28
	.p2align	6
.LBB14_27:                              ;   in Loop: Header=BB14_28 Depth=3
	s_or_b32 exec_lo, exec_lo, s50
	s_delay_alu instid0(SALU_CYCLE_1) | instskip(NEXT) | instid1(SALU_CYCLE_1)
	s_and_b32 s50, exec_lo, s49
	s_or_b32 s47, s50, s47
	s_and_not1_b32 s46, s46, exec_lo
	s_and_b32 s50, s48, exec_lo
	s_delay_alu instid0(SALU_CYCLE_1)
	s_or_b32 s46, s46, s50
	s_and_not1_b32 exec_lo, exec_lo, s47
	s_cbranch_execz .LBB14_30
.LBB14_28:                              ;   Parent Loop BB14_3 Depth=1
                                        ;     Parent Loop BB14_6 Depth=2
                                        ; =>    This Inner Loop Header: Depth=3
	v_add_nc_u32_e32 v7, v9, v10
	s_or_b32 s48, s48, exec_lo
	s_or_b32 s49, s49, exec_lo
	s_mov_b32 s50, exec_lo
	s_delay_alu instid0(VALU_DEP_1) | instskip(NEXT) | instid1(VALU_DEP_1)
	v_ashrrev_i32_e32 v8, 31, v7
	v_lshlrev_b64 v[11:12], 2, v[7:8]
	s_delay_alu instid0(VALU_DEP_1) | instskip(NEXT) | instid1(VALU_DEP_2)
	v_add_co_u32 v11, vcc_lo, s24, v11
	v_add_co_ci_u32_e32 v12, vcc_lo, s25, v12, vcc_lo
	global_load_b32 v2, v[11:12], off
	s_waitcnt vmcnt(0)
	v_subrev_nc_u32_e32 v2, s39, v2
	s_delay_alu instid0(VALU_DEP_1)
	v_cmpx_ne_u32_e64 v2, v0
	s_cbranch_execz .LBB14_27
; %bb.29:                               ;   in Loop: Header=BB14_28 Depth=3
	v_add_nc_u32_e32 v10, 1, v10
	s_and_not1_b32 s49, s49, exec_lo
	s_and_not1_b32 s48, s48, exec_lo
	s_delay_alu instid0(VALU_DEP_1) | instskip(SKIP_1) | instid1(SALU_CYCLE_1)
	v_cmp_ge_i32_e32 vcc_lo, v10, v22
	s_and_b32 s51, vcc_lo, exec_lo
	s_or_b32 s49, s49, s51
	s_branch .LBB14_27
.LBB14_30:                              ;   in Loop: Header=BB14_6 Depth=2
	s_set_inst_prefetch_distance 0x2
	s_or_b32 exec_lo, exec_lo, s47
	s_mov_b32 s47, s43
                                        ; implicit-def: $vgpr11_vgpr12
	s_and_saveexec_b32 s48, s46
	s_delay_alu instid0(SALU_CYCLE_1)
	s_xor_b32 s46, exec_lo, s48
; %bb.31:                               ;   in Loop: Header=BB14_6 Depth=2
	v_lshlrev_b64 v[7:8], 3, v[7:8]
	s_or_b32 s47, s43, exec_lo
	s_delay_alu instid0(VALU_DEP_1) | instskip(NEXT) | instid1(VALU_DEP_2)
	v_add_co_u32 v11, vcc_lo, s34, v7
	v_add_co_ci_u32_e32 v12, vcc_lo, s35, v8, vcc_lo
; %bb.32:                               ;   in Loop: Header=BB14_6 Depth=2
	s_or_b32 exec_lo, exec_lo, s46
	s_delay_alu instid0(SALU_CYCLE_1) | instskip(SKIP_1) | instid1(SALU_CYCLE_1)
	s_and_not1_b32 s46, s43, exec_lo
	s_and_b32 s47, s47, exec_lo
	s_or_b32 s46, s46, s47
.LBB14_33:                              ;   in Loop: Header=BB14_6 Depth=2
	s_or_b32 exec_lo, exec_lo, s45
	s_delay_alu instid0(SALU_CYCLE_1) | instskip(SKIP_1) | instid1(SALU_CYCLE_1)
	s_and_not1_b32 s43, s43, exec_lo
	s_and_b32 s45, s46, exec_lo
	s_or_b32 s43, s43, s45
.LBB14_34:                              ;   in Loop: Header=BB14_6 Depth=2
	s_or_b32 exec_lo, exec_lo, s44
	s_delay_alu instid0(SALU_CYCLE_1)
	s_and_b32 s43, s43, exec_lo
                                        ; implicit-def: $vgpr7_vgpr8
	s_and_not1_saveexec_b32 s3, s3
	s_cbranch_execz .LBB14_21
.LBB14_35:                              ;   in Loop: Header=BB14_6 Depth=2
	s_mov_b32 s45, s43
	s_mov_b32 s44, exec_lo
                                        ; implicit-def: $vgpr11_vgpr12
	v_cmpx_lt_i32_e64 v2, v15
	s_cbranch_execz .LBB14_43
; %bb.36:                               ;   in Loop: Header=BB14_6 Depth=2
	s_mov_b32 s46, 0
                                        ; implicit-def: $sgpr45
                                        ; implicit-def: $sgpr48
                                        ; implicit-def: $sgpr47
	s_set_inst_prefetch_distance 0x1
	s_branch .LBB14_38
	.p2align	6
.LBB14_37:                              ;   in Loop: Header=BB14_38 Depth=3
	s_or_b32 exec_lo, exec_lo, s49
	s_delay_alu instid0(SALU_CYCLE_1) | instskip(NEXT) | instid1(SALU_CYCLE_1)
	s_and_b32 s49, exec_lo, s48
	s_or_b32 s46, s49, s46
	s_and_not1_b32 s45, s45, exec_lo
	s_and_b32 s49, s47, exec_lo
	s_delay_alu instid0(SALU_CYCLE_1)
	s_or_b32 s45, s45, s49
	s_and_not1_b32 exec_lo, exec_lo, s46
	s_cbranch_execz .LBB14_40
.LBB14_38:                              ;   Parent Loop BB14_3 Depth=1
                                        ;     Parent Loop BB14_6 Depth=2
                                        ; =>    This Inner Loop Header: Depth=3
	v_add_nc_u32_e32 v8, v1, v2
	s_or_b32 s47, s47, exec_lo
	s_or_b32 s48, s48, exec_lo
	s_mov_b32 s49, exec_lo
	s_delay_alu instid0(VALU_DEP_1) | instskip(NEXT) | instid1(VALU_DEP_1)
	v_ashrrev_i32_e32 v9, 31, v8
	v_lshlrev_b64 v[10:11], 2, v[8:9]
	s_delay_alu instid0(VALU_DEP_1) | instskip(NEXT) | instid1(VALU_DEP_2)
	v_add_co_u32 v10, vcc_lo, s8, v10
	v_add_co_ci_u32_e32 v11, vcc_lo, s9, v11, vcc_lo
	global_load_b32 v10, v[10:11], off
	s_waitcnt vmcnt(0)
	v_subrev_nc_u32_e32 v10, s36, v10
	s_delay_alu instid0(VALU_DEP_1)
	v_cmpx_ne_u32_e64 v10, v7
	s_cbranch_execz .LBB14_37
; %bb.39:                               ;   in Loop: Header=BB14_38 Depth=3
	v_add_nc_u32_e32 v2, 1, v2
	s_and_not1_b32 s48, s48, exec_lo
	s_and_not1_b32 s47, s47, exec_lo
	s_delay_alu instid0(VALU_DEP_1) | instskip(SKIP_1) | instid1(SALU_CYCLE_1)
	v_cmp_ge_i32_e32 vcc_lo, v2, v15
	s_and_b32 s50, vcc_lo, exec_lo
	s_or_b32 s48, s48, s50
	s_branch .LBB14_37
.LBB14_40:                              ;   in Loop: Header=BB14_6 Depth=2
	s_set_inst_prefetch_distance 0x2
	s_or_b32 exec_lo, exec_lo, s46
	s_mov_b32 s46, s43
                                        ; implicit-def: $vgpr11_vgpr12
	s_and_saveexec_b32 s47, s45
	s_delay_alu instid0(SALU_CYCLE_1)
	s_xor_b32 s45, exec_lo, s47
; %bb.41:                               ;   in Loop: Header=BB14_6 Depth=2
	v_lshlrev_b64 v[7:8], 3, v[8:9]
	s_or_b32 s46, s43, exec_lo
	s_delay_alu instid0(VALU_DEP_1) | instskip(NEXT) | instid1(VALU_DEP_2)
	v_add_co_u32 v11, vcc_lo, s30, v7
	v_add_co_ci_u32_e32 v12, vcc_lo, s31, v8, vcc_lo
; %bb.42:                               ;   in Loop: Header=BB14_6 Depth=2
	s_or_b32 exec_lo, exec_lo, s45
	s_delay_alu instid0(SALU_CYCLE_1) | instskip(SKIP_1) | instid1(SALU_CYCLE_1)
	s_and_not1_b32 s45, s43, exec_lo
	s_and_b32 s46, s46, exec_lo
	s_or_b32 s45, s45, s46
.LBB14_43:                              ;   in Loop: Header=BB14_6 Depth=2
	s_or_b32 exec_lo, exec_lo, s44
	s_delay_alu instid0(SALU_CYCLE_1) | instskip(SKIP_1) | instid1(SALU_CYCLE_1)
	s_and_not1_b32 s43, s43, exec_lo
	s_and_b32 s44, s45, exec_lo
	s_or_b32 s43, s43, s44
	s_or_b32 exec_lo, exec_lo, s3
	s_delay_alu instid0(SALU_CYCLE_1)
	s_and_b32 exec_lo, exec_lo, s43
	s_cbranch_execz .LBB14_5
.LBB14_44:                              ;   in Loop: Header=BB14_6 Depth=2
	global_store_b64 v[11:12], v[5:6], off
	s_branch .LBB14_5
.LBB14_45:                              ;   in Loop: Header=BB14_3 Depth=1
	s_or_b32 exec_lo, exec_lo, s40
	s_and_saveexec_b32 s40, s0
	s_cbranch_execz .LBB14_2
; %bb.46:                               ;   in Loop: Header=BB14_3 Depth=1
	v_mov_b32_e32 v4, v0
	s_mov_b32 s41, 0
	s_branch .LBB14_49
.LBB14_47:                              ;   in Loop: Header=BB14_49 Depth=2
	s_or_b32 exec_lo, exec_lo, s43
	v_lshlrev_b64 v[5:6], 3, v[4:5]
	s_delay_alu instid0(VALU_DEP_1) | instskip(NEXT) | instid1(VALU_DEP_2)
	v_add_co_u32 v7, vcc_lo, s14, v5
	v_add_co_ci_u32_e32 v8, vcc_lo, s15, v6, vcc_lo
	v_add_co_u32 v5, vcc_lo, s12, v5
	v_add_co_ci_u32_e32 v6, vcc_lo, s13, v6, vcc_lo
	global_load_b64 v[7:8], v[7:8], off
	s_waitcnt vmcnt(0)
	global_store_b64 v[5:6], v[7:8], off
.LBB14_48:                              ;   in Loop: Header=BB14_49 Depth=2
	s_or_b32 exec_lo, exec_lo, s42
	v_add_nc_u32_e32 v4, 0x400, v4
	s_delay_alu instid0(VALU_DEP_1) | instskip(SKIP_1) | instid1(SALU_CYCLE_1)
	v_cmp_le_u32_e32 vcc_lo, s38, v4
	s_or_b32 s41, vcc_lo, s41
	s_and_not1_b32 exec_lo, exec_lo, s41
	s_cbranch_execz .LBB14_2
.LBB14_49:                              ;   Parent Loop BB14_3 Depth=1
                                        ; =>  This Loop Header: Depth=2
                                        ;       Child Loop BB14_52 Depth 3
                                        ;       Child Loop BB14_55 Depth 3
	s_mov_b32 s42, exec_lo
	s_delay_alu instid0(VALU_DEP_1)
	v_cmpx_gt_i32_e64 s29, v4
	s_cbranch_execz .LBB14_48
; %bb.50:                               ;   in Loop: Header=BB14_49 Depth=2
	v_ashrrev_i32_e32 v5, 31, v4
	s_mov_b32 s43, exec_lo
	s_delay_alu instid0(VALU_DEP_1) | instskip(NEXT) | instid1(VALU_DEP_1)
	v_lshlrev_b64 v[6:7], 2, v[4:5]
	v_add_co_u32 v8, vcc_lo, s4, v6
	s_delay_alu instid0(VALU_DEP_2)
	v_add_co_ci_u32_e32 v9, vcc_lo, s5, v7, vcc_lo
	v_add_co_u32 v10, vcc_lo, s6, v6
	v_add_co_ci_u32_e32 v11, vcc_lo, s7, v7, vcc_lo
	global_load_b32 v8, v[8:9], off
	global_load_b32 v2, v[10:11], off
	s_waitcnt vmcnt(0)
	v_cmpx_lt_i32_e64 v8, v2
	s_cbranch_execz .LBB14_53
; %bb.51:                               ;   in Loop: Header=BB14_49 Depth=2
	v_subrev_nc_u32_e32 v8, s36, v8
	v_subrev_nc_u32_e32 v2, s36, v2
	s_mov_b32 s44, 0
	s_delay_alu instid0(VALU_DEP_2) | instskip(NEXT) | instid1(VALU_DEP_1)
	v_ashrrev_i32_e32 v9, 31, v8
	v_lshlrev_b64 v[11:12], 3, v[8:9]
	s_delay_alu instid0(VALU_DEP_1) | instskip(NEXT) | instid1(VALU_DEP_2)
	v_add_co_u32 v9, vcc_lo, s30, v11
	v_add_co_ci_u32_e32 v10, vcc_lo, s31, v12, vcc_lo
	v_add_co_u32 v11, vcc_lo, s10, v11
	v_add_co_ci_u32_e32 v12, vcc_lo, s11, v12, vcc_lo
.LBB14_52:                              ;   Parent Loop BB14_3 Depth=1
                                        ;     Parent Loop BB14_49 Depth=2
                                        ; =>    This Inner Loop Header: Depth=3
	global_load_b64 v[13:14], v[9:10], off
	v_add_nc_u32_e32 v8, 1, v8
	v_add_co_u32 v9, vcc_lo, v9, 8
	v_add_co_ci_u32_e32 v10, vcc_lo, 0, v10, vcc_lo
	s_delay_alu instid0(VALU_DEP_3) | instskip(SKIP_4) | instid1(VALU_DEP_1)
	v_cmp_ge_i32_e32 vcc_lo, v8, v2
	s_or_b32 s44, vcc_lo, s44
	s_waitcnt vmcnt(0)
	global_store_b64 v[11:12], v[13:14], off
	v_add_co_u32 v11, s3, v11, 8
	v_add_co_ci_u32_e64 v12, s3, 0, v12, s3
	s_and_not1_b32 exec_lo, exec_lo, s44
	s_cbranch_execnz .LBB14_52
.LBB14_53:                              ;   in Loop: Header=BB14_49 Depth=2
	s_or_b32 exec_lo, exec_lo, s43
	v_add_co_u32 v8, vcc_lo, s20, v6
	v_add_co_ci_u32_e32 v9, vcc_lo, s21, v7, vcc_lo
	v_add_co_u32 v10, vcc_lo, s22, v6
	v_add_co_ci_u32_e32 v11, vcc_lo, s23, v7, vcc_lo
	s_mov_b32 s43, exec_lo
	global_load_b32 v6, v[8:9], off
	global_load_b32 v2, v[10:11], off
	s_waitcnt vmcnt(0)
	v_cmpx_lt_i32_e64 v6, v2
	s_cbranch_execz .LBB14_47
; %bb.54:                               ;   in Loop: Header=BB14_49 Depth=2
	v_subrev_nc_u32_e32 v6, s39, v6
	v_subrev_nc_u32_e32 v2, s39, v2
	s_mov_b32 s44, 0
	s_delay_alu instid0(VALU_DEP_2) | instskip(NEXT) | instid1(VALU_DEP_1)
	v_ashrrev_i32_e32 v7, 31, v6
	v_lshlrev_b64 v[9:10], 3, v[6:7]
	s_delay_alu instid0(VALU_DEP_1) | instskip(NEXT) | instid1(VALU_DEP_2)
	v_add_co_u32 v7, vcc_lo, s34, v9
	v_add_co_ci_u32_e32 v8, vcc_lo, s35, v10, vcc_lo
	v_add_co_u32 v9, vcc_lo, s26, v9
	v_add_co_ci_u32_e32 v10, vcc_lo, s27, v10, vcc_lo
	.p2align	6
.LBB14_55:                              ;   Parent Loop BB14_3 Depth=1
                                        ;     Parent Loop BB14_49 Depth=2
                                        ; =>    This Inner Loop Header: Depth=3
	global_load_b64 v[11:12], v[7:8], off
	v_add_nc_u32_e32 v6, 1, v6
	v_add_co_u32 v7, vcc_lo, v7, 8
	v_add_co_ci_u32_e32 v8, vcc_lo, 0, v8, vcc_lo
	s_delay_alu instid0(VALU_DEP_3) | instskip(SKIP_4) | instid1(VALU_DEP_1)
	v_cmp_ge_i32_e32 vcc_lo, v6, v2
	s_or_b32 s44, vcc_lo, s44
	s_waitcnt vmcnt(0)
	global_store_b64 v[9:10], v[11:12], off
	v_add_co_u32 v9, s3, v9, 8
	v_add_co_ci_u32_e64 v10, s3, 0, v10, s3
	s_and_not1_b32 exec_lo, exec_lo, s44
	s_cbranch_execnz .LBB14_55
	s_branch .LBB14_47
.LBB14_56:
	s_nop 0
	s_sendmsg sendmsg(MSG_DEALLOC_VGPRS)
	s_endpgm
	.section	.rodata,"a",@progbits
	.p2align	6, 0x0
	.amdhsa_kernel _ZN9rocsparseL14kernel_freerunILi1024ELi1EdiiEEvT3_S1_T2_PKS2_S4_PKS1_PKT1_21rocsparse_index_base_S4_S4_S6_PS7_SB_SA_S4_S4_S6_SB_SB_SA_SB_SB_
		.amdhsa_group_segment_fixed_size 0
		.amdhsa_private_segment_fixed_size 0
		.amdhsa_kernarg_size 168
		.amdhsa_user_sgpr_count 15
		.amdhsa_user_sgpr_dispatch_ptr 0
		.amdhsa_user_sgpr_queue_ptr 0
		.amdhsa_user_sgpr_kernarg_segment_ptr 1
		.amdhsa_user_sgpr_dispatch_id 0
		.amdhsa_user_sgpr_private_segment_size 0
		.amdhsa_wavefront_size32 1
		.amdhsa_uses_dynamic_stack 0
		.amdhsa_enable_private_segment 0
		.amdhsa_system_sgpr_workgroup_id_x 1
		.amdhsa_system_sgpr_workgroup_id_y 0
		.amdhsa_system_sgpr_workgroup_id_z 0
		.amdhsa_system_sgpr_workgroup_info 0
		.amdhsa_system_vgpr_workitem_id 0
		.amdhsa_next_free_vgpr 31
		.amdhsa_next_free_sgpr 52
		.amdhsa_reserve_vcc 1
		.amdhsa_float_round_mode_32 0
		.amdhsa_float_round_mode_16_64 0
		.amdhsa_float_denorm_mode_32 3
		.amdhsa_float_denorm_mode_16_64 3
		.amdhsa_dx10_clamp 1
		.amdhsa_ieee_mode 1
		.amdhsa_fp16_overflow 0
		.amdhsa_workgroup_processor_mode 1
		.amdhsa_memory_ordered 1
		.amdhsa_forward_progress 0
		.amdhsa_shared_vgpr_count 0
		.amdhsa_exception_fp_ieee_invalid_op 0
		.amdhsa_exception_fp_denorm_src 0
		.amdhsa_exception_fp_ieee_div_zero 0
		.amdhsa_exception_fp_ieee_overflow 0
		.amdhsa_exception_fp_ieee_underflow 0
		.amdhsa_exception_fp_ieee_inexact 0
		.amdhsa_exception_int_div_zero 0
	.end_amdhsa_kernel
	.section	.text._ZN9rocsparseL14kernel_freerunILi1024ELi1EdiiEEvT3_S1_T2_PKS2_S4_PKS1_PKT1_21rocsparse_index_base_S4_S4_S6_PS7_SB_SA_S4_S4_S6_SB_SB_SA_SB_SB_,"axG",@progbits,_ZN9rocsparseL14kernel_freerunILi1024ELi1EdiiEEvT3_S1_T2_PKS2_S4_PKS1_PKT1_21rocsparse_index_base_S4_S4_S6_PS7_SB_SA_S4_S4_S6_SB_SB_SA_SB_SB_,comdat
.Lfunc_end14:
	.size	_ZN9rocsparseL14kernel_freerunILi1024ELi1EdiiEEvT3_S1_T2_PKS2_S4_PKS1_PKT1_21rocsparse_index_base_S4_S4_S6_PS7_SB_SA_S4_S4_S6_SB_SB_SA_SB_SB_, .Lfunc_end14-_ZN9rocsparseL14kernel_freerunILi1024ELi1EdiiEEvT3_S1_T2_PKS2_S4_PKS1_PKT1_21rocsparse_index_base_S4_S4_S6_PS7_SB_SA_S4_S4_S6_SB_SB_SA_SB_SB_
                                        ; -- End function
	.section	.AMDGPU.csdata,"",@progbits
; Kernel info:
; codeLenInByte = 2472
; NumSgprs: 54
; NumVgprs: 31
; ScratchSize: 0
; MemoryBound: 1
; FloatMode: 240
; IeeeMode: 1
; LDSByteSize: 0 bytes/workgroup (compile time only)
; SGPRBlocks: 6
; VGPRBlocks: 3
; NumSGPRsForWavesPerEU: 54
; NumVGPRsForWavesPerEU: 31
; Occupancy: 16
; WaveLimiterHint : 1
; COMPUTE_PGM_RSRC2:SCRATCH_EN: 0
; COMPUTE_PGM_RSRC2:USER_SGPR: 15
; COMPUTE_PGM_RSRC2:TRAP_HANDLER: 0
; COMPUTE_PGM_RSRC2:TGID_X_EN: 1
; COMPUTE_PGM_RSRC2:TGID_Y_EN: 0
; COMPUTE_PGM_RSRC2:TGID_Z_EN: 0
; COMPUTE_PGM_RSRC2:TIDIG_COMP_CNT: 0
	.section	.text._ZN9rocsparseL14kernel_freerunILi1024ELi2EdiiEEvT3_S1_T2_PKS2_S4_PKS1_PKT1_21rocsparse_index_base_S4_S4_S6_PS7_SB_SA_S4_S4_S6_SB_SB_SA_SB_SB_,"axG",@progbits,_ZN9rocsparseL14kernel_freerunILi1024ELi2EdiiEEvT3_S1_T2_PKS2_S4_PKS1_PKT1_21rocsparse_index_base_S4_S4_S6_PS7_SB_SA_S4_S4_S6_SB_SB_SA_SB_SB_,comdat
	.globl	_ZN9rocsparseL14kernel_freerunILi1024ELi2EdiiEEvT3_S1_T2_PKS2_S4_PKS1_PKT1_21rocsparse_index_base_S4_S4_S6_PS7_SB_SA_S4_S4_S6_SB_SB_SA_SB_SB_ ; -- Begin function _ZN9rocsparseL14kernel_freerunILi1024ELi2EdiiEEvT3_S1_T2_PKS2_S4_PKS1_PKT1_21rocsparse_index_base_S4_S4_S6_PS7_SB_SA_S4_S4_S6_SB_SB_SA_SB_SB_
	.p2align	8
	.type	_ZN9rocsparseL14kernel_freerunILi1024ELi2EdiiEEvT3_S1_T2_PKS2_S4_PKS1_PKT1_21rocsparse_index_base_S4_S4_S6_PS7_SB_SA_S4_S4_S6_SB_SB_SA_SB_SB_,@function
_ZN9rocsparseL14kernel_freerunILi1024ELi2EdiiEEvT3_S1_T2_PKS2_S4_PKS1_PKT1_21rocsparse_index_base_S4_S4_S6_PS7_SB_SA_S4_S4_S6_SB_SB_SA_SB_SB_: ; @_ZN9rocsparseL14kernel_freerunILi1024ELi2EdiiEEvT3_S1_T2_PKS2_S4_PKS1_PKT1_21rocsparse_index_base_S4_S4_S6_PS7_SB_SA_S4_S4_S6_SB_SB_SA_SB_SB_
; %bb.0:
	s_load_b64 s[34:35], s[0:1], 0x0
	v_lshrrev_b32_e32 v1, 1, v0
	s_lshl_b32 s42, s15, 10
	s_mov_b32 s7, 0
	s_delay_alu instid0(VALU_DEP_1) | instskip(SKIP_1) | instid1(VALU_DEP_1)
	v_or_b32_e32 v1, s42, v1
	s_waitcnt lgkmcnt(0)
	v_cmp_gt_i32_e32 vcc_lo, s35, v1
	s_cmp_gt_i32 s34, 0
	s_cselect_b32 s2, -1, 0
	s_delay_alu instid0(SALU_CYCLE_1) | instskip(NEXT) | instid1(SALU_CYCLE_1)
	s_and_b32 s2, vcc_lo, s2
	s_and_saveexec_b32 s3, s2
	s_cbranch_execz .LBB15_100
; %bb.1:
	s_clause 0x1
	s_load_b256 s[8:15], s[0:1], 0x38
	s_load_b256 s[16:23], s[0:1], 0x10
	v_ashrrev_i32_e32 v2, 31, v1
	v_and_b32_e32 v16, 1, v0
	s_load_b256 s[24:31], s[0:1], 0x68
	v_or_b32_e32 v0, 0x200, v1
	s_addk_i32 s42, 0x400
	v_lshlrev_b64 v[8:9], 2, v[1:2]
	s_delay_alu instid0(VALU_DEP_2) | instskip(SKIP_1) | instid1(VALU_DEP_2)
	v_cmp_gt_i32_e64 s2, s35, v0
	s_waitcnt lgkmcnt(0)
	v_add_co_u32 v2, vcc_lo, s8, v8
	s_delay_alu instid0(VALU_DEP_3)
	v_add_co_ci_u32_e32 v3, vcc_lo, s9, v9, vcc_lo
	v_add_co_u32 v4, vcc_lo, s16, v8
	v_add_co_ci_u32_e32 v5, vcc_lo, s17, v9, vcc_lo
	global_load_b32 v12, v[2:3], off
	v_add_co_u32 v6, vcc_lo, s18, v8
	v_add_co_ci_u32_e32 v7, vcc_lo, s19, v9, vcc_lo
	v_add_co_u32 v8, vcc_lo, s10, v8
	v_add_co_ci_u32_e32 v9, vcc_lo, s11, v9, vcc_lo
	global_load_b32 v13, v[4:5], off
	global_load_b32 v14, v[6:7], off
	;; [unrolled: 1-line block ×3, first 2 shown]
	s_clause 0x5
	s_load_b32 s33, s[0:1], 0x60
	s_load_b32 s40, s[0:1], 0x30
	;; [unrolled: 1-line block ×3, first 2 shown]
	s_load_b64 s[36:37], s[0:1], 0x58
	s_load_b64 s[38:39], s[0:1], 0x88
	s_load_b128 s[16:19], s[0:1], 0x98
	v_cmp_gt_u32_e64 s0, s42, v1
	v_cmp_eq_u32_e64 s1, 0, v16
	s_waitcnt lgkmcnt(0)
	v_subrev_nc_u32_e32 v30, s33, v16
	v_subrev_nc_u32_e32 v26, s40, v16
	;; [unrolled: 1-line block ×3, first 2 shown]
	s_waitcnt vmcnt(3)
	v_subrev_nc_u32_e32 v10, s33, v12
	s_delay_alu instid0(VALU_DEP_1)
	v_ashrrev_i32_e32 v11, 31, v10
	s_waitcnt vmcnt(2)
	v_add_nc_u32_e32 v27, v26, v13
	s_waitcnt vmcnt(1)
	v_subrev_nc_u32_e32 v28, s40, v14
	s_waitcnt vmcnt(0)
	v_sub_nc_u32_e32 v29, v15, v12
	v_lshlrev_b64 v[12:13], 2, v[10:11]
	v_lshlrev_b64 v[14:15], 3, v[10:11]
	s_delay_alu instid0(VALU_DEP_3) | instskip(NEXT) | instid1(VALU_DEP_3)
	v_cmp_lt_i32_e64 s4, 0, v29
	v_add_co_u32 v32, vcc_lo, s12, v12
	v_mov_b32_e32 v12, 0
	v_add_co_ci_u32_e32 v33, vcc_lo, s13, v13, vcc_lo
	v_add_co_u32 v34, vcc_lo, s14, v14
	v_cmp_lt_i32_e64 s3, v27, v28
	v_add_co_ci_u32_e32 v35, vcc_lo, s15, v15, vcc_lo
	s_branch .LBB15_3
.LBB15_2:                               ;   in Loop: Header=BB15_3 Depth=1
	s_or_b32 exec_lo, exec_lo, s6
	s_add_i32 s7, s7, 1
	s_delay_alu instid0(SALU_CYCLE_1)
	s_cmp_eq_u32 s7, s34
	s_cbranch_scc1 .LBB15_100
.LBB15_3:                               ; =>This Loop Header: Depth=1
                                        ;     Child Loop BB15_6 Depth 2
                                        ;       Child Loop BB15_10 Depth 3
                                        ;       Child Loop BB15_28 Depth 3
	;; [unrolled: 1-line block ×3, first 2 shown]
                                        ;     Child Loop BB15_49 Depth 2
                                        ;       Child Loop BB15_53 Depth 3
                                        ;       Child Loop BB15_71 Depth 3
	;; [unrolled: 1-line block ×3, first 2 shown]
                                        ;     Child Loop BB15_91 Depth 2
                                        ;       Child Loop BB15_94 Depth 3
                                        ;       Child Loop BB15_97 Depth 3
	s_delay_alu instid0(VALU_DEP_2)
	s_and_saveexec_b32 s6, s3
	s_cbranch_execz .LBB15_45
; %bb.4:                                ;   in Loop: Header=BB15_3 Depth=1
	v_mov_b32_e32 v13, v27
	s_mov_b32 s43, 0
	s_branch .LBB15_6
.LBB15_5:                               ;   in Loop: Header=BB15_6 Depth=2
	s_or_b32 exec_lo, exec_lo, s44
	v_add_nc_u32_e32 v13, 2, v13
	s_delay_alu instid0(VALU_DEP_1) | instskip(SKIP_1) | instid1(SALU_CYCLE_1)
	v_cmp_ge_i32_e32 vcc_lo, v13, v28
	s_or_b32 s43, vcc_lo, s43
	s_and_not1_b32 exec_lo, exec_lo, s43
	s_cbranch_execz .LBB15_45
.LBB15_6:                               ;   Parent Loop BB15_3 Depth=1
                                        ; =>  This Loop Header: Depth=2
                                        ;       Child Loop BB15_10 Depth 3
                                        ;       Child Loop BB15_28 Depth 3
	;; [unrolled: 1-line block ×3, first 2 shown]
	s_delay_alu instid0(VALU_DEP_1) | instskip(NEXT) | instid1(VALU_DEP_1)
	v_ashrrev_i32_e32 v14, 31, v13
	v_lshlrev_b64 v[15:16], 2, v[13:14]
	s_delay_alu instid0(VALU_DEP_1) | instskip(NEXT) | instid1(VALU_DEP_2)
	v_add_co_u32 v15, vcc_lo, s20, v15
	v_add_co_ci_u32_e32 v16, vcc_lo, s21, v16, vcc_lo
	global_load_b32 v11, v[15:16], off
	s_waitcnt vmcnt(0)
	v_subrev_nc_u32_e32 v16, s40, v11
	s_delay_alu instid0(VALU_DEP_1) | instskip(NEXT) | instid1(VALU_DEP_1)
	v_ashrrev_i32_e32 v17, 31, v16
	v_lshlrev_b64 v[18:19], 2, v[16:17]
	s_delay_alu instid0(VALU_DEP_1) | instskip(NEXT) | instid1(VALU_DEP_2)
	v_add_co_u32 v20, vcc_lo, s24, v18
	v_add_co_ci_u32_e32 v21, vcc_lo, s25, v19, vcc_lo
	v_add_co_u32 v18, vcc_lo, s26, v18
	v_add_co_ci_u32_e32 v19, vcc_lo, s27, v19, vcc_lo
	global_load_b32 v11, v[20:21], off
	global_load_b32 v15, v[18:19], off
	v_mov_b32_e32 v21, 0
	v_dual_mov_b32 v22, 0 :: v_dual_mov_b32 v19, 0
	s_waitcnt vmcnt(1)
	v_subrev_nc_u32_e32 v18, s41, v11
	s_waitcnt vmcnt(0)
	v_sub_nc_u32_e32 v24, v15, v11
	v_mov_b32_e32 v11, 0
	s_and_saveexec_b32 s44, s4
	s_cbranch_execz .LBB15_14
; %bb.7:                                ;   in Loop: Header=BB15_6 Depth=2
	v_ashrrev_i32_e32 v19, 31, v18
	v_mov_b32_e32 v11, 0
	s_mov_b32 s45, 0
                                        ; implicit-def: $sgpr46
	s_delay_alu instid0(VALU_DEP_2) | instskip(SKIP_1) | instid1(VALU_DEP_2)
	v_lshlrev_b64 v[20:21], 2, v[18:19]
	v_lshlrev_b64 v[36:37], 3, v[18:19]
	v_add_co_u32 v15, vcc_lo, s28, v20
	s_delay_alu instid0(VALU_DEP_3) | instskip(NEXT) | instid1(VALU_DEP_3)
	v_add_co_ci_u32_e32 v23, vcc_lo, s29, v21, vcc_lo
	v_add_co_u32 v25, vcc_lo, s30, v36
	v_mov_b32_e32 v21, 0
	v_mov_b32_e32 v22, 0
	v_add_co_ci_u32_e32 v36, vcc_lo, s31, v37, vcc_lo
	v_mov_b32_e32 v19, v11
	s_branch .LBB15_10
.LBB15_8:                               ;   in Loop: Header=BB15_10 Depth=3
	s_or_b32 exec_lo, exec_lo, s5
	v_cmp_le_i32_e32 vcc_lo, v37, v38
	v_cmp_ge_i32_e64 s5, v37, v38
	v_add_co_ci_u32_e32 v11, vcc_lo, 0, v11, vcc_lo
	s_delay_alu instid0(VALU_DEP_2) | instskip(SKIP_1) | instid1(VALU_DEP_2)
	v_add_co_ci_u32_e64 v19, s5, 0, v19, s5
	s_and_not1_b32 s5, s46, exec_lo
	v_cmp_ge_i32_e32 vcc_lo, v11, v29
	s_and_b32 s46, vcc_lo, exec_lo
	s_delay_alu instid0(SALU_CYCLE_1)
	s_or_b32 s46, s5, s46
.LBB15_9:                               ;   in Loop: Header=BB15_10 Depth=3
	s_or_b32 exec_lo, exec_lo, s47
	s_delay_alu instid0(SALU_CYCLE_1) | instskip(NEXT) | instid1(SALU_CYCLE_1)
	s_and_b32 s5, exec_lo, s46
	s_or_b32 s45, s5, s45
	s_delay_alu instid0(SALU_CYCLE_1)
	s_and_not1_b32 exec_lo, exec_lo, s45
	s_cbranch_execz .LBB15_13
.LBB15_10:                              ;   Parent Loop BB15_3 Depth=1
                                        ;     Parent Loop BB15_6 Depth=2
                                        ; =>    This Inner Loop Header: Depth=3
	s_or_b32 s46, s46, exec_lo
	s_mov_b32 s47, exec_lo
	s_delay_alu instid0(VALU_DEP_1)
	v_cmpx_lt_i32_e64 v19, v24
	s_cbranch_execz .LBB15_9
; %bb.11:                               ;   in Loop: Header=BB15_10 Depth=3
	v_mov_b32_e32 v20, v12
	v_lshlrev_b64 v[37:38], 2, v[11:12]
	s_mov_b32 s5, exec_lo
	s_delay_alu instid0(VALU_DEP_2) | instskip(NEXT) | instid1(VALU_DEP_2)
	v_lshlrev_b64 v[39:40], 2, v[19:20]
	v_add_co_u32 v37, vcc_lo, v32, v37
	s_delay_alu instid0(VALU_DEP_3) | instskip(NEXT) | instid1(VALU_DEP_3)
	v_add_co_ci_u32_e32 v38, vcc_lo, v33, v38, vcc_lo
	v_add_co_u32 v39, vcc_lo, v15, v39
	s_delay_alu instid0(VALU_DEP_4)
	v_add_co_ci_u32_e32 v40, vcc_lo, v23, v40, vcc_lo
	global_load_b32 v37, v[37:38], off
	global_load_b32 v38, v[39:40], off
	s_waitcnt vmcnt(1)
	v_subrev_nc_u32_e32 v37, s33, v37
	s_waitcnt vmcnt(0)
	v_subrev_nc_u32_e32 v38, s41, v38
	s_delay_alu instid0(VALU_DEP_1)
	v_cmpx_eq_u32_e64 v37, v38
	s_cbranch_execz .LBB15_8
; %bb.12:                               ;   in Loop: Header=BB15_10 Depth=3
	v_lshlrev_b64 v[39:40], 3, v[11:12]
	v_lshlrev_b64 v[41:42], 3, v[19:20]
	s_delay_alu instid0(VALU_DEP_2) | instskip(NEXT) | instid1(VALU_DEP_3)
	v_add_co_u32 v39, vcc_lo, v34, v39
	v_add_co_ci_u32_e32 v40, vcc_lo, v35, v40, vcc_lo
	s_delay_alu instid0(VALU_DEP_3) | instskip(NEXT) | instid1(VALU_DEP_4)
	v_add_co_u32 v41, vcc_lo, v25, v41
	v_add_co_ci_u32_e32 v42, vcc_lo, v36, v42, vcc_lo
	global_load_b64 v[39:40], v[39:40], off
	global_load_b64 v[41:42], v[41:42], off
	s_waitcnt vmcnt(0)
	v_fma_f64 v[21:22], v[39:40], v[41:42], v[21:22]
	s_branch .LBB15_8
.LBB15_13:                              ;   in Loop: Header=BB15_6 Depth=2
	s_or_b32 exec_lo, exec_lo, s45
.LBB15_14:                              ;   in Loop: Header=BB15_6 Depth=2
	s_delay_alu instid0(SALU_CYCLE_1) | instskip(SKIP_3) | instid1(VALU_DEP_2)
	s_or_b32 exec_lo, exec_lo, s44
	v_lshlrev_b64 v[14:15], 3, v[13:14]
	v_cmp_le_i32_e64 s5, v1, v16
	s_mov_b32 s44, exec_lo
	v_add_co_u32 v14, vcc_lo, s22, v14
	s_delay_alu instid0(VALU_DEP_3)
	v_add_co_ci_u32_e32 v15, vcc_lo, s23, v15, vcc_lo
	global_load_b64 v[14:15], v[14:15], off
	s_waitcnt vmcnt(0)
	v_add_f64 v[14:15], v[14:15], -v[21:22]
	v_cmpx_gt_i32_e64 v1, v16
	s_cbranch_execz .LBB15_18
; %bb.15:                               ;   in Loop: Header=BB15_6 Depth=2
	v_lshlrev_b64 v[20:21], 3, v[16:17]
	v_mov_b32_e32 v22, 0
	v_mov_b32_e32 v23, 0
	s_mov_b32 s45, exec_lo
	s_delay_alu instid0(VALU_DEP_3) | instskip(NEXT) | instid1(VALU_DEP_4)
	v_add_co_u32 v20, vcc_lo, s16, v20
	v_add_co_ci_u32_e32 v21, vcc_lo, s17, v21, vcc_lo
	global_load_b64 v[20:21], v[20:21], off
	s_waitcnt vmcnt(0)
	v_cmpx_lg_f64_e32 0, v[20:21]
; %bb.16:                               ;   in Loop: Header=BB15_6 Depth=2
	v_div_scale_f64 v[22:23], null, v[20:21], v[20:21], v[14:15]
	s_delay_alu instid0(VALU_DEP_1) | instskip(SKIP_2) | instid1(VALU_DEP_1)
	v_rcp_f64_e32 v[36:37], v[22:23]
	s_waitcnt_depctr 0xfff
	v_fma_f64 v[38:39], -v[22:23], v[36:37], 1.0
	v_fma_f64 v[36:37], v[36:37], v[38:39], v[36:37]
	s_delay_alu instid0(VALU_DEP_1) | instskip(NEXT) | instid1(VALU_DEP_1)
	v_fma_f64 v[38:39], -v[22:23], v[36:37], 1.0
	v_fma_f64 v[36:37], v[36:37], v[38:39], v[36:37]
	v_div_scale_f64 v[38:39], vcc_lo, v[14:15], v[20:21], v[14:15]
	s_delay_alu instid0(VALU_DEP_1) | instskip(NEXT) | instid1(VALU_DEP_1)
	v_mul_f64 v[40:41], v[38:39], v[36:37]
	v_fma_f64 v[22:23], -v[22:23], v[40:41], v[38:39]
	s_delay_alu instid0(VALU_DEP_1) | instskip(NEXT) | instid1(VALU_DEP_1)
	v_div_fmas_f64 v[22:23], v[22:23], v[36:37], v[40:41]
	v_div_fixup_f64 v[22:23], v[22:23], v[20:21], v[14:15]
; %bb.17:                               ;   in Loop: Header=BB15_6 Depth=2
	s_or_b32 exec_lo, exec_lo, s45
	s_delay_alu instid0(VALU_DEP_1)
	v_dual_mov_b32 v14, v22 :: v_dual_mov_b32 v15, v23
.LBB15_18:                              ;   in Loop: Header=BB15_6 Depth=2
	s_or_b32 exec_lo, exec_lo, s44
	s_delay_alu instid0(VALU_DEP_1) | instskip(NEXT) | instid1(VALU_DEP_1)
	v_cmp_class_f64_e64 s45, v[14:15], 0x1f8
	s_and_saveexec_b32 s44, s45
	s_cbranch_execz .LBB15_5
; %bb.19:                               ;   in Loop: Header=BB15_6 Depth=2
	s_mov_b32 s45, 0
                                        ; implicit-def: $vgpr20_vgpr21
	s_and_saveexec_b32 s46, s5
	s_delay_alu instid0(SALU_CYCLE_1)
	s_xor_b32 s5, exec_lo, s46
	s_cbranch_execnz .LBB15_22
; %bb.20:                               ;   in Loop: Header=BB15_6 Depth=2
	s_and_not1_saveexec_b32 s5, s5
	s_cbranch_execnz .LBB15_35
.LBB15_21:                              ;   in Loop: Header=BB15_6 Depth=2
	s_or_b32 exec_lo, exec_lo, s5
	s_delay_alu instid0(SALU_CYCLE_1)
	s_and_b32 exec_lo, exec_lo, s45
	s_cbranch_execz .LBB15_5
	s_branch .LBB15_44
.LBB15_22:                              ;   in Loop: Header=BB15_6 Depth=2
	s_mov_b32 s46, exec_lo
                                        ; implicit-def: $vgpr20_vgpr21
	v_cmpx_ge_i32_e64 v1, v16
	s_xor_b32 s46, exec_lo, s46
; %bb.23:                               ;   in Loop: Header=BB15_6 Depth=2
	v_lshlrev_b64 v[16:17], 3, v[16:17]
	s_mov_b32 s45, exec_lo
                                        ; implicit-def: $vgpr19
                                        ; implicit-def: $vgpr24
                                        ; implicit-def: $vgpr18
	s_delay_alu instid0(VALU_DEP_1) | instskip(NEXT) | instid1(VALU_DEP_2)
	v_add_co_u32 v20, vcc_lo, s18, v16
	v_add_co_ci_u32_e32 v21, vcc_lo, s19, v17, vcc_lo
; %bb.24:                               ;   in Loop: Header=BB15_6 Depth=2
	s_and_not1_saveexec_b32 s46, s46
	s_cbranch_execz .LBB15_34
; %bb.25:                               ;   in Loop: Header=BB15_6 Depth=2
	s_mov_b32 s48, s45
	s_mov_b32 s47, exec_lo
                                        ; implicit-def: $vgpr20_vgpr21
	v_cmpx_lt_i32_e64 v19, v24
	s_cbranch_execz .LBB15_33
; %bb.26:                               ;   in Loop: Header=BB15_6 Depth=2
	s_mov_b32 s49, 0
                                        ; implicit-def: $sgpr48
                                        ; implicit-def: $sgpr51
                                        ; implicit-def: $sgpr50
	s_set_inst_prefetch_distance 0x1
	s_branch .LBB15_28
	.p2align	6
.LBB15_27:                              ;   in Loop: Header=BB15_28 Depth=3
	s_or_b32 exec_lo, exec_lo, s52
	s_delay_alu instid0(SALU_CYCLE_1) | instskip(NEXT) | instid1(SALU_CYCLE_1)
	s_and_b32 s52, exec_lo, s51
	s_or_b32 s49, s52, s49
	s_and_not1_b32 s48, s48, exec_lo
	s_and_b32 s52, s50, exec_lo
	s_delay_alu instid0(SALU_CYCLE_1)
	s_or_b32 s48, s48, s52
	s_and_not1_b32 exec_lo, exec_lo, s49
	s_cbranch_execz .LBB15_30
.LBB15_28:                              ;   Parent Loop BB15_3 Depth=1
                                        ;     Parent Loop BB15_6 Depth=2
                                        ; =>    This Inner Loop Header: Depth=3
	v_add_nc_u32_e32 v16, v18, v19
	s_or_b32 s50, s50, exec_lo
	s_or_b32 s51, s51, exec_lo
	s_mov_b32 s52, exec_lo
	s_delay_alu instid0(VALU_DEP_1) | instskip(NEXT) | instid1(VALU_DEP_1)
	v_ashrrev_i32_e32 v17, 31, v16
	v_lshlrev_b64 v[20:21], 2, v[16:17]
	s_delay_alu instid0(VALU_DEP_1) | instskip(NEXT) | instid1(VALU_DEP_2)
	v_add_co_u32 v20, vcc_lo, s28, v20
	v_add_co_ci_u32_e32 v21, vcc_lo, s29, v21, vcc_lo
	global_load_b32 v11, v[20:21], off
	s_waitcnt vmcnt(0)
	v_subrev_nc_u32_e32 v11, s41, v11
	s_delay_alu instid0(VALU_DEP_1)
	v_cmpx_ne_u32_e64 v11, v1
	s_cbranch_execz .LBB15_27
; %bb.29:                               ;   in Loop: Header=BB15_28 Depth=3
	v_add_nc_u32_e32 v19, 1, v19
	s_and_not1_b32 s51, s51, exec_lo
	s_and_not1_b32 s50, s50, exec_lo
	s_delay_alu instid0(VALU_DEP_1) | instskip(SKIP_1) | instid1(SALU_CYCLE_1)
	v_cmp_ge_i32_e32 vcc_lo, v19, v24
	s_and_b32 s53, vcc_lo, exec_lo
	s_or_b32 s51, s51, s53
	s_branch .LBB15_27
.LBB15_30:                              ;   in Loop: Header=BB15_6 Depth=2
	s_set_inst_prefetch_distance 0x2
	s_or_b32 exec_lo, exec_lo, s49
	s_mov_b32 s49, s45
                                        ; implicit-def: $vgpr20_vgpr21
	s_and_saveexec_b32 s50, s48
	s_delay_alu instid0(SALU_CYCLE_1)
	s_xor_b32 s48, exec_lo, s50
; %bb.31:                               ;   in Loop: Header=BB15_6 Depth=2
	v_lshlrev_b64 v[16:17], 3, v[16:17]
	s_or_b32 s49, s45, exec_lo
	s_delay_alu instid0(VALU_DEP_1) | instskip(NEXT) | instid1(VALU_DEP_2)
	v_add_co_u32 v20, vcc_lo, s38, v16
	v_add_co_ci_u32_e32 v21, vcc_lo, s39, v17, vcc_lo
; %bb.32:                               ;   in Loop: Header=BB15_6 Depth=2
	s_or_b32 exec_lo, exec_lo, s48
	s_delay_alu instid0(SALU_CYCLE_1) | instskip(SKIP_1) | instid1(SALU_CYCLE_1)
	s_and_not1_b32 s48, s45, exec_lo
	s_and_b32 s49, s49, exec_lo
	s_or_b32 s48, s48, s49
.LBB15_33:                              ;   in Loop: Header=BB15_6 Depth=2
	s_or_b32 exec_lo, exec_lo, s47
	s_delay_alu instid0(SALU_CYCLE_1) | instskip(SKIP_1) | instid1(SALU_CYCLE_1)
	s_and_not1_b32 s45, s45, exec_lo
	s_and_b32 s47, s48, exec_lo
	s_or_b32 s45, s45, s47
.LBB15_34:                              ;   in Loop: Header=BB15_6 Depth=2
	s_or_b32 exec_lo, exec_lo, s46
	s_delay_alu instid0(SALU_CYCLE_1)
	s_and_b32 s45, s45, exec_lo
                                        ; implicit-def: $vgpr16_vgpr17
	s_and_not1_saveexec_b32 s5, s5
	s_cbranch_execz .LBB15_21
.LBB15_35:                              ;   in Loop: Header=BB15_6 Depth=2
	s_mov_b32 s47, s45
	s_mov_b32 s46, exec_lo
                                        ; implicit-def: $vgpr20_vgpr21
	v_cmpx_lt_i32_e64 v11, v29
	s_cbranch_execz .LBB15_43
; %bb.36:                               ;   in Loop: Header=BB15_6 Depth=2
	s_mov_b32 s48, 0
                                        ; implicit-def: $sgpr47
                                        ; implicit-def: $sgpr50
                                        ; implicit-def: $sgpr49
	s_set_inst_prefetch_distance 0x1
	s_branch .LBB15_38
	.p2align	6
.LBB15_37:                              ;   in Loop: Header=BB15_38 Depth=3
	s_or_b32 exec_lo, exec_lo, s51
	s_delay_alu instid0(SALU_CYCLE_1) | instskip(NEXT) | instid1(SALU_CYCLE_1)
	s_and_b32 s51, exec_lo, s50
	s_or_b32 s48, s51, s48
	s_and_not1_b32 s47, s47, exec_lo
	s_and_b32 s51, s49, exec_lo
	s_delay_alu instid0(SALU_CYCLE_1)
	s_or_b32 s47, s47, s51
	s_and_not1_b32 exec_lo, exec_lo, s48
	s_cbranch_execz .LBB15_40
.LBB15_38:                              ;   Parent Loop BB15_3 Depth=1
                                        ;     Parent Loop BB15_6 Depth=2
                                        ; =>    This Inner Loop Header: Depth=3
	v_add_nc_u32_e32 v17, v10, v11
	s_or_b32 s49, s49, exec_lo
	s_or_b32 s50, s50, exec_lo
	s_mov_b32 s51, exec_lo
	s_delay_alu instid0(VALU_DEP_1) | instskip(NEXT) | instid1(VALU_DEP_1)
	v_ashrrev_i32_e32 v18, 31, v17
	v_lshlrev_b64 v[19:20], 2, v[17:18]
	s_delay_alu instid0(VALU_DEP_1) | instskip(NEXT) | instid1(VALU_DEP_2)
	v_add_co_u32 v19, vcc_lo, s12, v19
	v_add_co_ci_u32_e32 v20, vcc_lo, s13, v20, vcc_lo
	global_load_b32 v19, v[19:20], off
	s_waitcnt vmcnt(0)
	v_subrev_nc_u32_e32 v19, s33, v19
	s_delay_alu instid0(VALU_DEP_1)
	v_cmpx_ne_u32_e64 v19, v16
	s_cbranch_execz .LBB15_37
; %bb.39:                               ;   in Loop: Header=BB15_38 Depth=3
	v_add_nc_u32_e32 v11, 1, v11
	s_and_not1_b32 s50, s50, exec_lo
	s_and_not1_b32 s49, s49, exec_lo
	s_delay_alu instid0(VALU_DEP_1) | instskip(SKIP_1) | instid1(SALU_CYCLE_1)
	v_cmp_ge_i32_e32 vcc_lo, v11, v29
	s_and_b32 s52, vcc_lo, exec_lo
	s_or_b32 s50, s50, s52
	s_branch .LBB15_37
.LBB15_40:                              ;   in Loop: Header=BB15_6 Depth=2
	s_set_inst_prefetch_distance 0x2
	s_or_b32 exec_lo, exec_lo, s48
	s_mov_b32 s48, s45
                                        ; implicit-def: $vgpr20_vgpr21
	s_and_saveexec_b32 s49, s47
	s_delay_alu instid0(SALU_CYCLE_1)
	s_xor_b32 s47, exec_lo, s49
; %bb.41:                               ;   in Loop: Header=BB15_6 Depth=2
	v_lshlrev_b64 v[16:17], 3, v[17:18]
	s_or_b32 s48, s45, exec_lo
	s_delay_alu instid0(VALU_DEP_1) | instskip(NEXT) | instid1(VALU_DEP_2)
	v_add_co_u32 v20, vcc_lo, s36, v16
	v_add_co_ci_u32_e32 v21, vcc_lo, s37, v17, vcc_lo
; %bb.42:                               ;   in Loop: Header=BB15_6 Depth=2
	s_or_b32 exec_lo, exec_lo, s47
	s_delay_alu instid0(SALU_CYCLE_1) | instskip(SKIP_1) | instid1(SALU_CYCLE_1)
	s_and_not1_b32 s47, s45, exec_lo
	s_and_b32 s48, s48, exec_lo
	s_or_b32 s47, s47, s48
.LBB15_43:                              ;   in Loop: Header=BB15_6 Depth=2
	s_or_b32 exec_lo, exec_lo, s46
	s_delay_alu instid0(SALU_CYCLE_1) | instskip(SKIP_1) | instid1(SALU_CYCLE_1)
	s_and_not1_b32 s45, s45, exec_lo
	s_and_b32 s46, s47, exec_lo
	s_or_b32 s45, s45, s46
	s_or_b32 exec_lo, exec_lo, s5
	s_delay_alu instid0(SALU_CYCLE_1)
	s_and_b32 exec_lo, exec_lo, s45
	s_cbranch_execz .LBB15_5
.LBB15_44:                              ;   in Loop: Header=BB15_6 Depth=2
	global_store_b64 v[20:21], v[14:15], off
	s_branch .LBB15_5
.LBB15_45:                              ;   in Loop: Header=BB15_3 Depth=1
	s_or_b32 exec_lo, exec_lo, s6
	s_and_saveexec_b32 s43, s2
	s_cbranch_execz .LBB15_88
; %bb.46:                               ;   in Loop: Header=BB15_3 Depth=1
	global_load_b32 v11, v[4:5], off offset:2048
	global_load_b32 v14, v[6:7], off offset:2048
	s_waitcnt vmcnt(1)
	v_add_nc_u32_e32 v13, v26, v11
	s_waitcnt vmcnt(0)
	v_subrev_nc_u32_e32 v36, s40, v14
	s_delay_alu instid0(VALU_DEP_1)
	v_cmp_lt_i32_e32 vcc_lo, v13, v36
	s_and_b32 exec_lo, exec_lo, vcc_lo
	s_cbranch_execz .LBB15_88
; %bb.47:                               ;   in Loop: Header=BB15_3 Depth=1
	global_load_b32 v11, v[2:3], off offset:2048
	global_load_b32 v14, v[8:9], off offset:2048
	s_mov_b32 s44, 0
	s_waitcnt vmcnt(1)
	v_subrev_nc_u32_e32 v15, s33, v11
	s_waitcnt vmcnt(0)
	v_sub_nc_u32_e32 v37, v14, v11
	s_delay_alu instid0(VALU_DEP_2) | instskip(NEXT) | instid1(VALU_DEP_2)
	v_ashrrev_i32_e32 v16, 31, v15
	v_cmp_lt_i32_e64 s5, 0, v37
	s_delay_alu instid0(VALU_DEP_2) | instskip(SKIP_1) | instid1(VALU_DEP_2)
	v_lshlrev_b64 v[17:18], 2, v[15:16]
	v_lshlrev_b64 v[19:20], 3, v[15:16]
	v_add_co_u32 v38, vcc_lo, s12, v17
	s_delay_alu instid0(VALU_DEP_3) | instskip(NEXT) | instid1(VALU_DEP_3)
	v_add_co_ci_u32_e32 v39, vcc_lo, s13, v18, vcc_lo
	v_add_co_u32 v40, vcc_lo, s14, v19
	s_delay_alu instid0(VALU_DEP_4)
	v_add_co_ci_u32_e32 v41, vcc_lo, s15, v20, vcc_lo
	s_branch .LBB15_49
.LBB15_48:                              ;   in Loop: Header=BB15_49 Depth=2
	s_or_b32 exec_lo, exec_lo, s45
	v_add_nc_u32_e32 v13, 2, v13
	s_delay_alu instid0(VALU_DEP_1) | instskip(SKIP_1) | instid1(SALU_CYCLE_1)
	v_cmp_ge_i32_e32 vcc_lo, v13, v36
	s_or_b32 s44, vcc_lo, s44
	s_and_not1_b32 exec_lo, exec_lo, s44
	s_cbranch_execz .LBB15_88
.LBB15_49:                              ;   Parent Loop BB15_3 Depth=1
                                        ; =>  This Loop Header: Depth=2
                                        ;       Child Loop BB15_53 Depth 3
                                        ;       Child Loop BB15_71 Depth 3
	;; [unrolled: 1-line block ×3, first 2 shown]
	v_ashrrev_i32_e32 v14, 31, v13
	s_delay_alu instid0(VALU_DEP_1) | instskip(NEXT) | instid1(VALU_DEP_1)
	v_lshlrev_b64 v[16:17], 2, v[13:14]
	v_add_co_u32 v16, vcc_lo, s20, v16
	s_delay_alu instid0(VALU_DEP_2) | instskip(SKIP_3) | instid1(VALU_DEP_1)
	v_add_co_ci_u32_e32 v17, vcc_lo, s21, v17, vcc_lo
	global_load_b32 v11, v[16:17], off
	s_waitcnt vmcnt(0)
	v_subrev_nc_u32_e32 v18, s40, v11
	v_ashrrev_i32_e32 v19, 31, v18
	s_delay_alu instid0(VALU_DEP_1) | instskip(NEXT) | instid1(VALU_DEP_1)
	v_lshlrev_b64 v[16:17], 2, v[18:19]
	v_add_co_u32 v20, vcc_lo, s24, v16
	s_delay_alu instid0(VALU_DEP_2)
	v_add_co_ci_u32_e32 v21, vcc_lo, s25, v17, vcc_lo
	v_add_co_u32 v16, vcc_lo, s26, v16
	v_add_co_ci_u32_e32 v17, vcc_lo, s27, v17, vcc_lo
	global_load_b32 v11, v[20:21], off
	global_load_b32 v22, v[16:17], off
	v_dual_mov_b32 v16, 0 :: v_dual_mov_b32 v21, 0
	v_mov_b32_e32 v17, 0
	s_waitcnt vmcnt(1)
	v_subrev_nc_u32_e32 v20, s41, v11
	s_waitcnt vmcnt(0)
	v_sub_nc_u32_e32 v42, v22, v11
	v_mov_b32_e32 v11, 0
	s_and_saveexec_b32 s45, s5
	s_cbranch_execz .LBB15_57
; %bb.50:                               ;   in Loop: Header=BB15_49 Depth=2
	v_ashrrev_i32_e32 v21, 31, v20
	v_mov_b32_e32 v11, 0
	s_mov_b32 s46, 0
                                        ; implicit-def: $sgpr47
	s_delay_alu instid0(VALU_DEP_2) | instskip(SKIP_1) | instid1(VALU_DEP_2)
	v_lshlrev_b64 v[16:17], 2, v[20:21]
	v_lshlrev_b64 v[21:22], 3, v[20:21]
	v_add_co_u32 v23, vcc_lo, s28, v16
	s_delay_alu instid0(VALU_DEP_3) | instskip(SKIP_1) | instid1(VALU_DEP_4)
	v_add_co_ci_u32_e32 v24, vcc_lo, s29, v17, vcc_lo
	v_mov_b32_e32 v16, 0
	v_add_co_u32 v25, vcc_lo, s30, v21
	v_add_co_ci_u32_e32 v43, vcc_lo, s31, v22, vcc_lo
	v_mov_b32_e32 v17, 0
	v_mov_b32_e32 v21, v11
	s_branch .LBB15_53
.LBB15_51:                              ;   in Loop: Header=BB15_53 Depth=3
	s_or_b32 exec_lo, exec_lo, s6
	v_cmp_le_i32_e32 vcc_lo, v44, v45
	v_cmp_ge_i32_e64 s6, v44, v45
	v_add_co_ci_u32_e32 v11, vcc_lo, 0, v11, vcc_lo
	s_delay_alu instid0(VALU_DEP_2) | instskip(SKIP_1) | instid1(VALU_DEP_2)
	v_add_co_ci_u32_e64 v21, s6, 0, v21, s6
	s_and_not1_b32 s6, s47, exec_lo
	v_cmp_ge_i32_e32 vcc_lo, v11, v37
	s_and_b32 s47, vcc_lo, exec_lo
	s_delay_alu instid0(SALU_CYCLE_1)
	s_or_b32 s47, s6, s47
.LBB15_52:                              ;   in Loop: Header=BB15_53 Depth=3
	s_or_b32 exec_lo, exec_lo, s48
	s_delay_alu instid0(SALU_CYCLE_1) | instskip(NEXT) | instid1(SALU_CYCLE_1)
	s_and_b32 s6, exec_lo, s47
	s_or_b32 s46, s6, s46
	s_delay_alu instid0(SALU_CYCLE_1)
	s_and_not1_b32 exec_lo, exec_lo, s46
	s_cbranch_execz .LBB15_56
.LBB15_53:                              ;   Parent Loop BB15_3 Depth=1
                                        ;     Parent Loop BB15_49 Depth=2
                                        ; =>    This Inner Loop Header: Depth=3
	s_or_b32 s47, s47, exec_lo
	s_mov_b32 s48, exec_lo
	s_delay_alu instid0(VALU_DEP_1)
	v_cmpx_lt_i32_e64 v21, v42
	s_cbranch_execz .LBB15_52
; %bb.54:                               ;   in Loop: Header=BB15_53 Depth=3
	v_mov_b32_e32 v22, v12
	v_lshlrev_b64 v[44:45], 2, v[11:12]
	s_mov_b32 s6, exec_lo
	s_delay_alu instid0(VALU_DEP_2) | instskip(NEXT) | instid1(VALU_DEP_2)
	v_lshlrev_b64 v[46:47], 2, v[21:22]
	v_add_co_u32 v44, vcc_lo, v38, v44
	s_delay_alu instid0(VALU_DEP_3) | instskip(NEXT) | instid1(VALU_DEP_3)
	v_add_co_ci_u32_e32 v45, vcc_lo, v39, v45, vcc_lo
	v_add_co_u32 v46, vcc_lo, v23, v46
	s_delay_alu instid0(VALU_DEP_4)
	v_add_co_ci_u32_e32 v47, vcc_lo, v24, v47, vcc_lo
	global_load_b32 v44, v[44:45], off
	global_load_b32 v45, v[46:47], off
	s_waitcnt vmcnt(1)
	v_subrev_nc_u32_e32 v44, s33, v44
	s_waitcnt vmcnt(0)
	v_subrev_nc_u32_e32 v45, s41, v45
	s_delay_alu instid0(VALU_DEP_1)
	v_cmpx_eq_u32_e64 v44, v45
	s_cbranch_execz .LBB15_51
; %bb.55:                               ;   in Loop: Header=BB15_53 Depth=3
	v_lshlrev_b64 v[46:47], 3, v[11:12]
	v_lshlrev_b64 v[48:49], 3, v[21:22]
	s_delay_alu instid0(VALU_DEP_2) | instskip(NEXT) | instid1(VALU_DEP_3)
	v_add_co_u32 v46, vcc_lo, v40, v46
	v_add_co_ci_u32_e32 v47, vcc_lo, v41, v47, vcc_lo
	s_delay_alu instid0(VALU_DEP_3) | instskip(NEXT) | instid1(VALU_DEP_4)
	v_add_co_u32 v48, vcc_lo, v25, v48
	v_add_co_ci_u32_e32 v49, vcc_lo, v43, v49, vcc_lo
	global_load_b64 v[46:47], v[46:47], off
	global_load_b64 v[48:49], v[48:49], off
	s_waitcnt vmcnt(0)
	v_fma_f64 v[16:17], v[46:47], v[48:49], v[16:17]
	s_branch .LBB15_51
.LBB15_56:                              ;   in Loop: Header=BB15_49 Depth=2
	s_or_b32 exec_lo, exec_lo, s46
.LBB15_57:                              ;   in Loop: Header=BB15_49 Depth=2
	s_delay_alu instid0(SALU_CYCLE_1) | instskip(SKIP_3) | instid1(VALU_DEP_2)
	s_or_b32 exec_lo, exec_lo, s45
	v_lshlrev_b64 v[22:23], 3, v[13:14]
	v_cmp_le_i32_e64 s6, v0, v18
	s_mov_b32 s45, exec_lo
	v_add_co_u32 v22, vcc_lo, s22, v22
	s_delay_alu instid0(VALU_DEP_3)
	v_add_co_ci_u32_e32 v23, vcc_lo, s23, v23, vcc_lo
	global_load_b64 v[22:23], v[22:23], off
	s_waitcnt vmcnt(0)
	v_add_f64 v[16:17], v[22:23], -v[16:17]
	v_cmpx_gt_i32_e64 v0, v18
	s_cbranch_execz .LBB15_61
; %bb.58:                               ;   in Loop: Header=BB15_49 Depth=2
	v_lshlrev_b64 v[22:23], 3, v[18:19]
	v_mov_b32_e32 v24, 0
	v_mov_b32_e32 v25, 0
	s_mov_b32 s46, exec_lo
	s_delay_alu instid0(VALU_DEP_3) | instskip(NEXT) | instid1(VALU_DEP_4)
	v_add_co_u32 v22, vcc_lo, s16, v22
	v_add_co_ci_u32_e32 v23, vcc_lo, s17, v23, vcc_lo
	global_load_b64 v[22:23], v[22:23], off
	s_waitcnt vmcnt(0)
	v_cmpx_lg_f64_e32 0, v[22:23]
; %bb.59:                               ;   in Loop: Header=BB15_49 Depth=2
	v_div_scale_f64 v[24:25], null, v[22:23], v[22:23], v[16:17]
	s_delay_alu instid0(VALU_DEP_1) | instskip(SKIP_2) | instid1(VALU_DEP_1)
	v_rcp_f64_e32 v[43:44], v[24:25]
	s_waitcnt_depctr 0xfff
	v_fma_f64 v[45:46], -v[24:25], v[43:44], 1.0
	v_fma_f64 v[43:44], v[43:44], v[45:46], v[43:44]
	s_delay_alu instid0(VALU_DEP_1) | instskip(NEXT) | instid1(VALU_DEP_1)
	v_fma_f64 v[45:46], -v[24:25], v[43:44], 1.0
	v_fma_f64 v[43:44], v[43:44], v[45:46], v[43:44]
	v_div_scale_f64 v[45:46], vcc_lo, v[16:17], v[22:23], v[16:17]
	s_delay_alu instid0(VALU_DEP_1) | instskip(NEXT) | instid1(VALU_DEP_1)
	v_mul_f64 v[47:48], v[45:46], v[43:44]
	v_fma_f64 v[24:25], -v[24:25], v[47:48], v[45:46]
	s_delay_alu instid0(VALU_DEP_1) | instskip(NEXT) | instid1(VALU_DEP_1)
	v_div_fmas_f64 v[24:25], v[24:25], v[43:44], v[47:48]
	v_div_fixup_f64 v[24:25], v[24:25], v[22:23], v[16:17]
; %bb.60:                               ;   in Loop: Header=BB15_49 Depth=2
	s_or_b32 exec_lo, exec_lo, s46
	s_delay_alu instid0(VALU_DEP_1)
	v_dual_mov_b32 v16, v24 :: v_dual_mov_b32 v17, v25
.LBB15_61:                              ;   in Loop: Header=BB15_49 Depth=2
	s_or_b32 exec_lo, exec_lo, s45
	s_delay_alu instid0(VALU_DEP_1) | instskip(NEXT) | instid1(VALU_DEP_1)
	v_cmp_class_f64_e64 s46, v[16:17], 0x1f8
	s_and_saveexec_b32 s45, s46
	s_cbranch_execz .LBB15_48
; %bb.62:                               ;   in Loop: Header=BB15_49 Depth=2
	s_mov_b32 s46, 0
                                        ; implicit-def: $vgpr22_vgpr23
	s_and_saveexec_b32 s47, s6
	s_delay_alu instid0(SALU_CYCLE_1)
	s_xor_b32 s6, exec_lo, s47
	s_cbranch_execnz .LBB15_65
; %bb.63:                               ;   in Loop: Header=BB15_49 Depth=2
	s_and_not1_saveexec_b32 s6, s6
	s_cbranch_execnz .LBB15_78
.LBB15_64:                              ;   in Loop: Header=BB15_49 Depth=2
	s_or_b32 exec_lo, exec_lo, s6
	s_delay_alu instid0(SALU_CYCLE_1)
	s_and_b32 exec_lo, exec_lo, s46
	s_cbranch_execz .LBB15_48
	s_branch .LBB15_87
.LBB15_65:                              ;   in Loop: Header=BB15_49 Depth=2
	s_mov_b32 s47, exec_lo
                                        ; implicit-def: $vgpr22_vgpr23
	v_cmpx_ge_i32_e64 v0, v18
	s_xor_b32 s47, exec_lo, s47
; %bb.66:                               ;   in Loop: Header=BB15_49 Depth=2
	v_lshlrev_b64 v[18:19], 3, v[18:19]
	s_mov_b32 s46, exec_lo
                                        ; implicit-def: $vgpr21
                                        ; implicit-def: $vgpr42
                                        ; implicit-def: $vgpr20
	s_delay_alu instid0(VALU_DEP_1) | instskip(NEXT) | instid1(VALU_DEP_2)
	v_add_co_u32 v22, vcc_lo, s18, v18
	v_add_co_ci_u32_e32 v23, vcc_lo, s19, v19, vcc_lo
; %bb.67:                               ;   in Loop: Header=BB15_49 Depth=2
	s_and_not1_saveexec_b32 s47, s47
	s_cbranch_execz .LBB15_77
; %bb.68:                               ;   in Loop: Header=BB15_49 Depth=2
	s_mov_b32 s49, s46
	s_mov_b32 s48, exec_lo
                                        ; implicit-def: $vgpr22_vgpr23
	v_cmpx_lt_i32_e64 v21, v42
	s_cbranch_execz .LBB15_76
; %bb.69:                               ;   in Loop: Header=BB15_49 Depth=2
	s_mov_b32 s50, 0
                                        ; implicit-def: $sgpr49
                                        ; implicit-def: $sgpr52
                                        ; implicit-def: $sgpr51
	s_set_inst_prefetch_distance 0x1
	s_branch .LBB15_71
	.p2align	6
.LBB15_70:                              ;   in Loop: Header=BB15_71 Depth=3
	s_or_b32 exec_lo, exec_lo, s53
	s_delay_alu instid0(SALU_CYCLE_1) | instskip(NEXT) | instid1(SALU_CYCLE_1)
	s_and_b32 s53, exec_lo, s52
	s_or_b32 s50, s53, s50
	s_and_not1_b32 s49, s49, exec_lo
	s_and_b32 s53, s51, exec_lo
	s_delay_alu instid0(SALU_CYCLE_1)
	s_or_b32 s49, s49, s53
	s_and_not1_b32 exec_lo, exec_lo, s50
	s_cbranch_execz .LBB15_73
.LBB15_71:                              ;   Parent Loop BB15_3 Depth=1
                                        ;     Parent Loop BB15_49 Depth=2
                                        ; =>    This Inner Loop Header: Depth=3
	v_add_nc_u32_e32 v18, v20, v21
	s_or_b32 s51, s51, exec_lo
	s_or_b32 s52, s52, exec_lo
	s_mov_b32 s53, exec_lo
	s_delay_alu instid0(VALU_DEP_1) | instskip(NEXT) | instid1(VALU_DEP_1)
	v_ashrrev_i32_e32 v19, 31, v18
	v_lshlrev_b64 v[22:23], 2, v[18:19]
	s_delay_alu instid0(VALU_DEP_1) | instskip(NEXT) | instid1(VALU_DEP_2)
	v_add_co_u32 v22, vcc_lo, s28, v22
	v_add_co_ci_u32_e32 v23, vcc_lo, s29, v23, vcc_lo
	global_load_b32 v11, v[22:23], off
	s_waitcnt vmcnt(0)
	v_subrev_nc_u32_e32 v11, s41, v11
	s_delay_alu instid0(VALU_DEP_1)
	v_cmpx_ne_u32_e64 v11, v0
	s_cbranch_execz .LBB15_70
; %bb.72:                               ;   in Loop: Header=BB15_71 Depth=3
	v_add_nc_u32_e32 v21, 1, v21
	s_and_not1_b32 s52, s52, exec_lo
	s_and_not1_b32 s51, s51, exec_lo
	s_delay_alu instid0(VALU_DEP_1) | instskip(SKIP_1) | instid1(SALU_CYCLE_1)
	v_cmp_ge_i32_e32 vcc_lo, v21, v42
	s_and_b32 s54, vcc_lo, exec_lo
	s_or_b32 s52, s52, s54
	s_branch .LBB15_70
.LBB15_73:                              ;   in Loop: Header=BB15_49 Depth=2
	s_set_inst_prefetch_distance 0x2
	s_or_b32 exec_lo, exec_lo, s50
	s_mov_b32 s50, s46
                                        ; implicit-def: $vgpr22_vgpr23
	s_and_saveexec_b32 s51, s49
	s_delay_alu instid0(SALU_CYCLE_1)
	s_xor_b32 s49, exec_lo, s51
; %bb.74:                               ;   in Loop: Header=BB15_49 Depth=2
	v_lshlrev_b64 v[18:19], 3, v[18:19]
	s_or_b32 s50, s46, exec_lo
	s_delay_alu instid0(VALU_DEP_1) | instskip(NEXT) | instid1(VALU_DEP_2)
	v_add_co_u32 v22, vcc_lo, s38, v18
	v_add_co_ci_u32_e32 v23, vcc_lo, s39, v19, vcc_lo
; %bb.75:                               ;   in Loop: Header=BB15_49 Depth=2
	s_or_b32 exec_lo, exec_lo, s49
	s_delay_alu instid0(SALU_CYCLE_1) | instskip(SKIP_1) | instid1(SALU_CYCLE_1)
	s_and_not1_b32 s49, s46, exec_lo
	s_and_b32 s50, s50, exec_lo
	s_or_b32 s49, s49, s50
.LBB15_76:                              ;   in Loop: Header=BB15_49 Depth=2
	s_or_b32 exec_lo, exec_lo, s48
	s_delay_alu instid0(SALU_CYCLE_1) | instskip(SKIP_1) | instid1(SALU_CYCLE_1)
	s_and_not1_b32 s46, s46, exec_lo
	s_and_b32 s48, s49, exec_lo
	s_or_b32 s46, s46, s48
.LBB15_77:                              ;   in Loop: Header=BB15_49 Depth=2
	s_or_b32 exec_lo, exec_lo, s47
	s_delay_alu instid0(SALU_CYCLE_1)
	s_and_b32 s46, s46, exec_lo
                                        ; implicit-def: $vgpr18_vgpr19
	s_and_not1_saveexec_b32 s6, s6
	s_cbranch_execz .LBB15_64
.LBB15_78:                              ;   in Loop: Header=BB15_49 Depth=2
	s_mov_b32 s48, s46
	s_mov_b32 s47, exec_lo
                                        ; implicit-def: $vgpr22_vgpr23
	v_cmpx_lt_i32_e64 v11, v37
	s_cbranch_execz .LBB15_86
; %bb.79:                               ;   in Loop: Header=BB15_49 Depth=2
	s_mov_b32 s49, 0
                                        ; implicit-def: $sgpr48
                                        ; implicit-def: $sgpr51
                                        ; implicit-def: $sgpr50
	s_set_inst_prefetch_distance 0x1
	s_branch .LBB15_81
	.p2align	6
.LBB15_80:                              ;   in Loop: Header=BB15_81 Depth=3
	s_or_b32 exec_lo, exec_lo, s52
	s_delay_alu instid0(SALU_CYCLE_1) | instskip(NEXT) | instid1(SALU_CYCLE_1)
	s_and_b32 s52, exec_lo, s51
	s_or_b32 s49, s52, s49
	s_and_not1_b32 s48, s48, exec_lo
	s_and_b32 s52, s50, exec_lo
	s_delay_alu instid0(SALU_CYCLE_1)
	s_or_b32 s48, s48, s52
	s_and_not1_b32 exec_lo, exec_lo, s49
	s_cbranch_execz .LBB15_83
.LBB15_81:                              ;   Parent Loop BB15_3 Depth=1
                                        ;     Parent Loop BB15_49 Depth=2
                                        ; =>    This Inner Loop Header: Depth=3
	v_add_nc_u32_e32 v19, v15, v11
	s_or_b32 s50, s50, exec_lo
	s_or_b32 s51, s51, exec_lo
	s_mov_b32 s52, exec_lo
	s_delay_alu instid0(VALU_DEP_1) | instskip(NEXT) | instid1(VALU_DEP_1)
	v_ashrrev_i32_e32 v20, 31, v19
	v_lshlrev_b64 v[21:22], 2, v[19:20]
	s_delay_alu instid0(VALU_DEP_1) | instskip(NEXT) | instid1(VALU_DEP_2)
	v_add_co_u32 v21, vcc_lo, s12, v21
	v_add_co_ci_u32_e32 v22, vcc_lo, s13, v22, vcc_lo
	global_load_b32 v14, v[21:22], off
	s_waitcnt vmcnt(0)
	v_subrev_nc_u32_e32 v14, s33, v14
	s_delay_alu instid0(VALU_DEP_1)
	v_cmpx_ne_u32_e64 v14, v18
	s_cbranch_execz .LBB15_80
; %bb.82:                               ;   in Loop: Header=BB15_81 Depth=3
	v_add_nc_u32_e32 v11, 1, v11
	s_and_not1_b32 s51, s51, exec_lo
	s_and_not1_b32 s50, s50, exec_lo
	s_delay_alu instid0(VALU_DEP_1) | instskip(SKIP_1) | instid1(SALU_CYCLE_1)
	v_cmp_ge_i32_e32 vcc_lo, v11, v37
	s_and_b32 s53, vcc_lo, exec_lo
	s_or_b32 s51, s51, s53
	s_branch .LBB15_80
.LBB15_83:                              ;   in Loop: Header=BB15_49 Depth=2
	s_set_inst_prefetch_distance 0x2
	s_or_b32 exec_lo, exec_lo, s49
	s_mov_b32 s49, s46
                                        ; implicit-def: $vgpr22_vgpr23
	s_and_saveexec_b32 s50, s48
	s_delay_alu instid0(SALU_CYCLE_1)
	s_xor_b32 s48, exec_lo, s50
; %bb.84:                               ;   in Loop: Header=BB15_49 Depth=2
	v_lshlrev_b64 v[18:19], 3, v[19:20]
	s_or_b32 s49, s46, exec_lo
	s_delay_alu instid0(VALU_DEP_1) | instskip(NEXT) | instid1(VALU_DEP_2)
	v_add_co_u32 v22, vcc_lo, s36, v18
	v_add_co_ci_u32_e32 v23, vcc_lo, s37, v19, vcc_lo
; %bb.85:                               ;   in Loop: Header=BB15_49 Depth=2
	s_or_b32 exec_lo, exec_lo, s48
	s_delay_alu instid0(SALU_CYCLE_1) | instskip(SKIP_1) | instid1(SALU_CYCLE_1)
	s_and_not1_b32 s48, s46, exec_lo
	s_and_b32 s49, s49, exec_lo
	s_or_b32 s48, s48, s49
.LBB15_86:                              ;   in Loop: Header=BB15_49 Depth=2
	s_or_b32 exec_lo, exec_lo, s47
	s_delay_alu instid0(SALU_CYCLE_1) | instskip(SKIP_1) | instid1(SALU_CYCLE_1)
	s_and_not1_b32 s46, s46, exec_lo
	s_and_b32 s47, s48, exec_lo
	s_or_b32 s46, s46, s47
	s_or_b32 exec_lo, exec_lo, s6
	s_delay_alu instid0(SALU_CYCLE_1)
	s_and_b32 exec_lo, exec_lo, s46
	s_cbranch_execz .LBB15_48
.LBB15_87:                              ;   in Loop: Header=BB15_49 Depth=2
	global_store_b64 v[22:23], v[16:17], off
	s_branch .LBB15_48
.LBB15_88:                              ;   in Loop: Header=BB15_3 Depth=1
	s_or_b32 exec_lo, exec_lo, s43
	s_and_saveexec_b32 s6, s0
	s_cbranch_execz .LBB15_2
; %bb.89:                               ;   in Loop: Header=BB15_3 Depth=1
	v_mov_b32_e32 v13, v1
	s_mov_b32 s43, 0
	s_branch .LBB15_91
.LBB15_90:                              ;   in Loop: Header=BB15_91 Depth=2
	s_or_b32 exec_lo, exec_lo, s44
	v_add_nc_u32_e32 v13, 0x200, v13
	s_delay_alu instid0(VALU_DEP_1) | instskip(SKIP_1) | instid1(SALU_CYCLE_1)
	v_cmp_le_u32_e32 vcc_lo, s42, v13
	s_or_b32 s43, vcc_lo, s43
	s_and_not1_b32 exec_lo, exec_lo, s43
	s_cbranch_execz .LBB15_2
.LBB15_91:                              ;   Parent Loop BB15_3 Depth=1
                                        ; =>  This Loop Header: Depth=2
                                        ;       Child Loop BB15_94 Depth 3
                                        ;       Child Loop BB15_97 Depth 3
	s_mov_b32 s44, exec_lo
	s_delay_alu instid0(VALU_DEP_1)
	v_cmpx_gt_i32_e64 s35, v13
	s_cbranch_execz .LBB15_90
; %bb.92:                               ;   in Loop: Header=BB15_91 Depth=2
	v_ashrrev_i32_e32 v14, 31, v13
	s_mov_b32 s45, exec_lo
	s_delay_alu instid0(VALU_DEP_1) | instskip(NEXT) | instid1(VALU_DEP_1)
	v_lshlrev_b64 v[15:16], 2, v[13:14]
	v_add_co_u32 v17, vcc_lo, s8, v15
	s_delay_alu instid0(VALU_DEP_2)
	v_add_co_ci_u32_e32 v18, vcc_lo, s9, v16, vcc_lo
	v_add_co_u32 v19, vcc_lo, s10, v15
	v_add_co_ci_u32_e32 v20, vcc_lo, s11, v16, vcc_lo
	global_load_b32 v11, v[17:18], off
	global_load_b32 v18, v[19:20], off
	s_waitcnt vmcnt(1)
	v_add_nc_u32_e32 v17, v30, v11
	s_waitcnt vmcnt(0)
	v_subrev_nc_u32_e32 v11, s33, v18
	s_delay_alu instid0(VALU_DEP_1)
	v_cmpx_lt_i32_e64 v17, v11
	s_cbranch_execz .LBB15_95
; %bb.93:                               ;   in Loop: Header=BB15_91 Depth=2
	v_ashrrev_i32_e32 v18, 31, v17
	s_mov_b32 s46, 0
	s_delay_alu instid0(VALU_DEP_1) | instskip(NEXT) | instid1(VALU_DEP_1)
	v_lshlrev_b64 v[20:21], 3, v[17:18]
	v_add_co_u32 v18, vcc_lo, s36, v20
	s_delay_alu instid0(VALU_DEP_2)
	v_add_co_ci_u32_e32 v19, vcc_lo, s37, v21, vcc_lo
	v_add_co_u32 v20, vcc_lo, s14, v20
	v_add_co_ci_u32_e32 v21, vcc_lo, s15, v21, vcc_lo
.LBB15_94:                              ;   Parent Loop BB15_3 Depth=1
                                        ;     Parent Loop BB15_91 Depth=2
                                        ; =>    This Inner Loop Header: Depth=3
	global_load_b64 v[22:23], v[18:19], off
	v_add_nc_u32_e32 v17, 2, v17
	v_add_co_u32 v18, vcc_lo, v18, 16
	v_add_co_ci_u32_e32 v19, vcc_lo, 0, v19, vcc_lo
	s_delay_alu instid0(VALU_DEP_3) | instskip(SKIP_4) | instid1(VALU_DEP_1)
	v_cmp_ge_i32_e32 vcc_lo, v17, v11
	s_or_b32 s46, vcc_lo, s46
	s_waitcnt vmcnt(0)
	global_store_b64 v[20:21], v[22:23], off
	v_add_co_u32 v20, s5, v20, 16
	v_add_co_ci_u32_e64 v21, s5, 0, v21, s5
	s_and_not1_b32 exec_lo, exec_lo, s46
	s_cbranch_execnz .LBB15_94
.LBB15_95:                              ;   in Loop: Header=BB15_91 Depth=2
	s_or_b32 exec_lo, exec_lo, s45
	v_add_co_u32 v17, vcc_lo, s24, v15
	v_add_co_ci_u32_e32 v18, vcc_lo, s25, v16, vcc_lo
	v_add_co_u32 v15, vcc_lo, s26, v15
	v_add_co_ci_u32_e32 v16, vcc_lo, s27, v16, vcc_lo
	s_mov_b32 s45, exec_lo
	global_load_b32 v11, v[17:18], off
	global_load_b32 v16, v[15:16], off
	s_waitcnt vmcnt(1)
	v_add_nc_u32_e32 v15, v31, v11
	s_waitcnt vmcnt(0)
	v_subrev_nc_u32_e32 v11, s41, v16
	s_delay_alu instid0(VALU_DEP_1)
	v_cmpx_lt_i32_e64 v15, v11
	s_cbranch_execz .LBB15_98
; %bb.96:                               ;   in Loop: Header=BB15_91 Depth=2
	v_ashrrev_i32_e32 v16, 31, v15
	s_mov_b32 s46, 0
	s_delay_alu instid0(VALU_DEP_1) | instskip(NEXT) | instid1(VALU_DEP_1)
	v_lshlrev_b64 v[18:19], 3, v[15:16]
	v_add_co_u32 v16, vcc_lo, s38, v18
	s_delay_alu instid0(VALU_DEP_2)
	v_add_co_ci_u32_e32 v17, vcc_lo, s39, v19, vcc_lo
	v_add_co_u32 v18, vcc_lo, s30, v18
	v_add_co_ci_u32_e32 v19, vcc_lo, s31, v19, vcc_lo
.LBB15_97:                              ;   Parent Loop BB15_3 Depth=1
                                        ;     Parent Loop BB15_91 Depth=2
                                        ; =>    This Inner Loop Header: Depth=3
	global_load_b64 v[20:21], v[16:17], off
	v_add_nc_u32_e32 v15, 2, v15
	v_add_co_u32 v16, vcc_lo, v16, 16
	v_add_co_ci_u32_e32 v17, vcc_lo, 0, v17, vcc_lo
	s_delay_alu instid0(VALU_DEP_3) | instskip(SKIP_4) | instid1(VALU_DEP_1)
	v_cmp_ge_i32_e32 vcc_lo, v15, v11
	s_or_b32 s46, vcc_lo, s46
	s_waitcnt vmcnt(0)
	global_store_b64 v[18:19], v[20:21], off
	v_add_co_u32 v18, s5, v18, 16
	v_add_co_ci_u32_e64 v19, s5, 0, v19, s5
	s_and_not1_b32 exec_lo, exec_lo, s46
	s_cbranch_execnz .LBB15_97
.LBB15_98:                              ;   in Loop: Header=BB15_91 Depth=2
	s_or_b32 exec_lo, exec_lo, s45
	s_delay_alu instid0(SALU_CYCLE_1)
	s_and_b32 exec_lo, exec_lo, s1
	s_cbranch_execz .LBB15_90
; %bb.99:                               ;   in Loop: Header=BB15_91 Depth=2
	v_lshlrev_b64 v[14:15], 3, v[13:14]
	s_delay_alu instid0(VALU_DEP_1) | instskip(NEXT) | instid1(VALU_DEP_2)
	v_add_co_u32 v16, vcc_lo, s18, v14
	v_add_co_ci_u32_e32 v17, vcc_lo, s19, v15, vcc_lo
	v_add_co_u32 v14, vcc_lo, s16, v14
	v_add_co_ci_u32_e32 v15, vcc_lo, s17, v15, vcc_lo
	global_load_b64 v[16:17], v[16:17], off
	s_waitcnt vmcnt(0)
	global_store_b64 v[14:15], v[16:17], off
	s_branch .LBB15_90
.LBB15_100:
	s_nop 0
	s_sendmsg sendmsg(MSG_DEALLOC_VGPRS)
	s_endpgm
	.section	.rodata,"a",@progbits
	.p2align	6, 0x0
	.amdhsa_kernel _ZN9rocsparseL14kernel_freerunILi1024ELi2EdiiEEvT3_S1_T2_PKS2_S4_PKS1_PKT1_21rocsparse_index_base_S4_S4_S6_PS7_SB_SA_S4_S4_S6_SB_SB_SA_SB_SB_
		.amdhsa_group_segment_fixed_size 0
		.amdhsa_private_segment_fixed_size 0
		.amdhsa_kernarg_size 168
		.amdhsa_user_sgpr_count 15
		.amdhsa_user_sgpr_dispatch_ptr 0
		.amdhsa_user_sgpr_queue_ptr 0
		.amdhsa_user_sgpr_kernarg_segment_ptr 1
		.amdhsa_user_sgpr_dispatch_id 0
		.amdhsa_user_sgpr_private_segment_size 0
		.amdhsa_wavefront_size32 1
		.amdhsa_uses_dynamic_stack 0
		.amdhsa_enable_private_segment 0
		.amdhsa_system_sgpr_workgroup_id_x 1
		.amdhsa_system_sgpr_workgroup_id_y 0
		.amdhsa_system_sgpr_workgroup_id_z 0
		.amdhsa_system_sgpr_workgroup_info 0
		.amdhsa_system_vgpr_workitem_id 0
		.amdhsa_next_free_vgpr 50
		.amdhsa_next_free_sgpr 55
		.amdhsa_reserve_vcc 1
		.amdhsa_float_round_mode_32 0
		.amdhsa_float_round_mode_16_64 0
		.amdhsa_float_denorm_mode_32 3
		.amdhsa_float_denorm_mode_16_64 3
		.amdhsa_dx10_clamp 1
		.amdhsa_ieee_mode 1
		.amdhsa_fp16_overflow 0
		.amdhsa_workgroup_processor_mode 1
		.amdhsa_memory_ordered 1
		.amdhsa_forward_progress 0
		.amdhsa_shared_vgpr_count 0
		.amdhsa_exception_fp_ieee_invalid_op 0
		.amdhsa_exception_fp_denorm_src 0
		.amdhsa_exception_fp_ieee_div_zero 0
		.amdhsa_exception_fp_ieee_overflow 0
		.amdhsa_exception_fp_ieee_underflow 0
		.amdhsa_exception_fp_ieee_inexact 0
		.amdhsa_exception_int_div_zero 0
	.end_amdhsa_kernel
	.section	.text._ZN9rocsparseL14kernel_freerunILi1024ELi2EdiiEEvT3_S1_T2_PKS2_S4_PKS1_PKT1_21rocsparse_index_base_S4_S4_S6_PS7_SB_SA_S4_S4_S6_SB_SB_SA_SB_SB_,"axG",@progbits,_ZN9rocsparseL14kernel_freerunILi1024ELi2EdiiEEvT3_S1_T2_PKS2_S4_PKS1_PKT1_21rocsparse_index_base_S4_S4_S6_PS7_SB_SA_S4_S4_S6_SB_SB_SA_SB_SB_,comdat
.Lfunc_end15:
	.size	_ZN9rocsparseL14kernel_freerunILi1024ELi2EdiiEEvT3_S1_T2_PKS2_S4_PKS1_PKT1_21rocsparse_index_base_S4_S4_S6_PS7_SB_SA_S4_S4_S6_SB_SB_SA_SB_SB_, .Lfunc_end15-_ZN9rocsparseL14kernel_freerunILi1024ELi2EdiiEEvT3_S1_T2_PKS2_S4_PKS1_PKT1_21rocsparse_index_base_S4_S4_S6_PS7_SB_SA_S4_S4_S6_SB_SB_SA_SB_SB_
                                        ; -- End function
	.section	.AMDGPU.csdata,"",@progbits
; Kernel info:
; codeLenInByte = 4248
; NumSgprs: 57
; NumVgprs: 50
; ScratchSize: 0
; MemoryBound: 1
; FloatMode: 240
; IeeeMode: 1
; LDSByteSize: 0 bytes/workgroup (compile time only)
; SGPRBlocks: 7
; VGPRBlocks: 6
; NumSGPRsForWavesPerEU: 57
; NumVGPRsForWavesPerEU: 50
; Occupancy: 16
; WaveLimiterHint : 1
; COMPUTE_PGM_RSRC2:SCRATCH_EN: 0
; COMPUTE_PGM_RSRC2:USER_SGPR: 15
; COMPUTE_PGM_RSRC2:TRAP_HANDLER: 0
; COMPUTE_PGM_RSRC2:TGID_X_EN: 1
; COMPUTE_PGM_RSRC2:TGID_Y_EN: 0
; COMPUTE_PGM_RSRC2:TGID_Z_EN: 0
; COMPUTE_PGM_RSRC2:TIDIG_COMP_CNT: 0
	.section	.text._ZN9rocsparseL14kernel_freerunILi1024ELi4EdiiEEvT3_S1_T2_PKS2_S4_PKS1_PKT1_21rocsparse_index_base_S4_S4_S6_PS7_SB_SA_S4_S4_S6_SB_SB_SA_SB_SB_,"axG",@progbits,_ZN9rocsparseL14kernel_freerunILi1024ELi4EdiiEEvT3_S1_T2_PKS2_S4_PKS1_PKT1_21rocsparse_index_base_S4_S4_S6_PS7_SB_SA_S4_S4_S6_SB_SB_SA_SB_SB_,comdat
	.globl	_ZN9rocsparseL14kernel_freerunILi1024ELi4EdiiEEvT3_S1_T2_PKS2_S4_PKS1_PKT1_21rocsparse_index_base_S4_S4_S6_PS7_SB_SA_S4_S4_S6_SB_SB_SA_SB_SB_ ; -- Begin function _ZN9rocsparseL14kernel_freerunILi1024ELi4EdiiEEvT3_S1_T2_PKS2_S4_PKS1_PKT1_21rocsparse_index_base_S4_S4_S6_PS7_SB_SA_S4_S4_S6_SB_SB_SA_SB_SB_
	.p2align	8
	.type	_ZN9rocsparseL14kernel_freerunILi1024ELi4EdiiEEvT3_S1_T2_PKS2_S4_PKS1_PKT1_21rocsparse_index_base_S4_S4_S6_PS7_SB_SA_S4_S4_S6_SB_SB_SA_SB_SB_,@function
_ZN9rocsparseL14kernel_freerunILi1024ELi4EdiiEEvT3_S1_T2_PKS2_S4_PKS1_PKT1_21rocsparse_index_base_S4_S4_S6_PS7_SB_SA_S4_S4_S6_SB_SB_SA_SB_SB_: ; @_ZN9rocsparseL14kernel_freerunILi1024ELi4EdiiEEvT3_S1_T2_PKS2_S4_PKS1_PKT1_21rocsparse_index_base_S4_S4_S6_PS7_SB_SA_S4_S4_S6_SB_SB_SA_SB_SB_
; %bb.0:
	s_load_b64 s[34:35], s[0:1], 0x0
	v_lshrrev_b32_e32 v1, 2, v0
	s_lshl_b32 s43, s15, 10
	s_mov_b32 s33, 0
	s_delay_alu instid0(VALU_DEP_1) | instskip(SKIP_1) | instid1(VALU_DEP_1)
	v_or_b32_e32 v16, s43, v1
	s_waitcnt lgkmcnt(0)
	v_cmp_gt_i32_e32 vcc_lo, s35, v16
	s_cmp_gt_i32 s34, 0
	s_cselect_b32 s2, -1, 0
	s_delay_alu instid0(SALU_CYCLE_1) | instskip(NEXT) | instid1(SALU_CYCLE_1)
	s_and_b32 s2, vcc_lo, s2
	s_and_saveexec_b32 s3, s2
	s_cbranch_execz .LBB16_60
; %bb.1:
	s_clause 0x8
	s_load_b32 s40, s[0:1], 0x30
	s_load_b32 s41, s[0:1], 0x60
	;; [unrolled: 1-line block ×3, first 2 shown]
	s_load_b64 s[36:37], s[0:1], 0x88
	s_load_b64 s[38:39], s[0:1], 0x58
	s_load_b128 s[28:31], s[0:1], 0x98
	s_load_b256 s[4:11], s[0:1], 0x68
	s_load_b256 s[12:19], s[0:1], 0x38
	;; [unrolled: 1-line block ×3, first 2 shown]
	v_dual_mov_b32 v1, 0 :: v_dual_and_b32 v0, 3, v0
	s_addk_i32 s43, 0x400
	s_delay_alu instid0(SALU_CYCLE_1) | instskip(NEXT) | instid1(VALU_DEP_2)
	v_cmp_gt_u32_e64 s0, s43, v16
	v_cmp_eq_u32_e64 s1, 0, v0
	s_waitcnt lgkmcnt(0)
	v_subrev_nc_u32_e32 v17, s40, v0
	v_subrev_nc_u32_e32 v18, s41, v0
	;; [unrolled: 1-line block ×3, first 2 shown]
	s_branch .LBB16_3
.LBB16_2:                               ;   in Loop: Header=BB16_3 Depth=1
	s_or_b32 exec_lo, exec_lo, s3
	s_add_i32 s33, s33, 1
	s_delay_alu instid0(SALU_CYCLE_1)
	s_cmp_eq_u32 s33, s34
	s_cbranch_scc1 .LBB16_60
.LBB16_3:                               ; =>This Loop Header: Depth=1
                                        ;     Child Loop BB16_5 Depth 2
                                        ;       Child Loop BB16_9 Depth 3
                                        ;         Child Loop BB16_13 Depth 4
                                        ;         Child Loop BB16_31 Depth 4
	;; [unrolled: 1-line block ×3, first 2 shown]
                                        ;     Child Loop BB16_51 Depth 2
                                        ;       Child Loop BB16_54 Depth 3
                                        ;       Child Loop BB16_57 Depth 3
	s_mov_b32 s44, 0
	s_branch .LBB16_5
.LBB16_4:                               ;   in Loop: Header=BB16_5 Depth=2
	s_or_b32 exec_lo, exec_lo, s45
	s_add_i32 s44, s44, 1
	s_delay_alu instid0(SALU_CYCLE_1)
	s_cmp_eq_u32 s44, 4
	s_cbranch_scc1 .LBB16_48
.LBB16_5:                               ;   Parent Loop BB16_3 Depth=1
                                        ; =>  This Loop Header: Depth=2
                                        ;       Child Loop BB16_9 Depth 3
                                        ;         Child Loop BB16_13 Depth 4
                                        ;         Child Loop BB16_31 Depth 4
	;; [unrolled: 1-line block ×3, first 2 shown]
	v_lshl_add_u32 v2, s44, 8, v16
	s_mov_b32 s45, exec_lo
	s_delay_alu instid0(VALU_DEP_1)
	v_cmpx_gt_i32_e64 s35, v2
	s_cbranch_execz .LBB16_4
; %bb.6:                                ;   in Loop: Header=BB16_5 Depth=2
	v_ashrrev_i32_e32 v3, 31, v2
	s_delay_alu instid0(VALU_DEP_1) | instskip(NEXT) | instid1(VALU_DEP_1)
	v_lshlrev_b64 v[4:5], 2, v[2:3]
	v_add_co_u32 v6, vcc_lo, s20, v4
	s_delay_alu instid0(VALU_DEP_2)
	v_add_co_ci_u32_e32 v7, vcc_lo, s21, v5, vcc_lo
	v_add_co_u32 v8, vcc_lo, s22, v4
	v_add_co_ci_u32_e32 v9, vcc_lo, s23, v5, vcc_lo
	global_load_b32 v0, v[6:7], off
	global_load_b32 v6, v[8:9], off
	s_waitcnt vmcnt(1)
	v_add_nc_u32_e32 v3, v17, v0
	s_waitcnt vmcnt(0)
	v_subrev_nc_u32_e32 v20, s40, v6
	s_delay_alu instid0(VALU_DEP_1)
	v_cmp_lt_i32_e32 vcc_lo, v3, v20
	s_and_b32 exec_lo, exec_lo, vcc_lo
	s_cbranch_execz .LBB16_4
; %bb.7:                                ;   in Loop: Header=BB16_5 Depth=2
	v_add_co_u32 v6, vcc_lo, s12, v4
	v_add_co_ci_u32_e32 v7, vcc_lo, s13, v5, vcc_lo
	v_add_co_u32 v4, vcc_lo, s14, v4
	v_add_co_ci_u32_e32 v5, vcc_lo, s15, v5, vcc_lo
	global_load_b32 v0, v[6:7], off
	s_mov_b32 s46, 0
	global_load_b32 v4, v[4:5], off
	s_waitcnt vmcnt(1)
	v_subrev_nc_u32_e32 v5, s41, v0
	s_waitcnt vmcnt(0)
	v_sub_nc_u32_e32 v21, v4, v0
	s_delay_alu instid0(VALU_DEP_2) | instskip(NEXT) | instid1(VALU_DEP_2)
	v_ashrrev_i32_e32 v6, 31, v5
	v_cmp_lt_i32_e64 s2, 0, v21
	s_delay_alu instid0(VALU_DEP_2) | instskip(SKIP_1) | instid1(VALU_DEP_2)
	v_lshlrev_b64 v[7:8], 2, v[5:6]
	v_lshlrev_b64 v[9:10], 3, v[5:6]
	v_add_co_u32 v22, vcc_lo, s16, v7
	s_delay_alu instid0(VALU_DEP_3) | instskip(NEXT) | instid1(VALU_DEP_3)
	v_add_co_ci_u32_e32 v23, vcc_lo, s17, v8, vcc_lo
	v_add_co_u32 v24, vcc_lo, s18, v9
	s_delay_alu instid0(VALU_DEP_4)
	v_add_co_ci_u32_e32 v25, vcc_lo, s19, v10, vcc_lo
	s_branch .LBB16_9
.LBB16_8:                               ;   in Loop: Header=BB16_9 Depth=3
	s_or_b32 exec_lo, exec_lo, s47
	v_add_nc_u32_e32 v3, 4, v3
	s_delay_alu instid0(VALU_DEP_1) | instskip(SKIP_1) | instid1(SALU_CYCLE_1)
	v_cmp_ge_i32_e32 vcc_lo, v3, v20
	s_or_b32 s46, vcc_lo, s46
	s_and_not1_b32 exec_lo, exec_lo, s46
	s_cbranch_execz .LBB16_4
.LBB16_9:                               ;   Parent Loop BB16_3 Depth=1
                                        ;     Parent Loop BB16_5 Depth=2
                                        ; =>    This Loop Header: Depth=3
                                        ;         Child Loop BB16_13 Depth 4
                                        ;         Child Loop BB16_31 Depth 4
	;; [unrolled: 1-line block ×3, first 2 shown]
	v_ashrrev_i32_e32 v4, 31, v3
	s_delay_alu instid0(VALU_DEP_1) | instskip(NEXT) | instid1(VALU_DEP_1)
	v_lshlrev_b64 v[6:7], 2, v[3:4]
	v_add_co_u32 v6, vcc_lo, s24, v6
	s_delay_alu instid0(VALU_DEP_2) | instskip(SKIP_3) | instid1(VALU_DEP_1)
	v_add_co_ci_u32_e32 v7, vcc_lo, s25, v7, vcc_lo
	global_load_b32 v0, v[6:7], off
	s_waitcnt vmcnt(0)
	v_subrev_nc_u32_e32 v8, s40, v0
	v_ashrrev_i32_e32 v9, 31, v8
	s_delay_alu instid0(VALU_DEP_1) | instskip(NEXT) | instid1(VALU_DEP_1)
	v_lshlrev_b64 v[6:7], 2, v[8:9]
	v_add_co_u32 v10, vcc_lo, s4, v6
	s_delay_alu instid0(VALU_DEP_2)
	v_add_co_ci_u32_e32 v11, vcc_lo, s5, v7, vcc_lo
	v_add_co_u32 v6, vcc_lo, s6, v6
	v_add_co_ci_u32_e32 v7, vcc_lo, s7, v7, vcc_lo
	global_load_b32 v0, v[10:11], off
	global_load_b32 v12, v[6:7], off
	v_dual_mov_b32 v6, 0 :: v_dual_mov_b32 v11, 0
	v_mov_b32_e32 v7, 0
	s_waitcnt vmcnt(1)
	v_subrev_nc_u32_e32 v10, s42, v0
	s_waitcnt vmcnt(0)
	v_sub_nc_u32_e32 v26, v12, v0
	v_mov_b32_e32 v0, 0
	s_and_saveexec_b32 s47, s2
	s_cbranch_execz .LBB16_17
; %bb.10:                               ;   in Loop: Header=BB16_9 Depth=3
	v_ashrrev_i32_e32 v11, 31, v10
	v_mov_b32_e32 v0, 0
	s_mov_b32 s48, 0
                                        ; implicit-def: $sgpr49
	s_delay_alu instid0(VALU_DEP_2) | instskip(SKIP_1) | instid1(VALU_DEP_2)
	v_lshlrev_b64 v[6:7], 2, v[10:11]
	v_lshlrev_b64 v[11:12], 3, v[10:11]
	v_add_co_u32 v13, vcc_lo, s8, v6
	s_delay_alu instid0(VALU_DEP_3) | instskip(NEXT) | instid1(VALU_DEP_3)
	v_add_co_ci_u32_e32 v14, vcc_lo, s9, v7, vcc_lo
	v_add_co_u32 v15, vcc_lo, s10, v11
	v_mov_b32_e32 v6, 0
	v_add_co_ci_u32_e32 v27, vcc_lo, s11, v12, vcc_lo
	v_mov_b32_e32 v7, 0
	v_mov_b32_e32 v11, v0
	s_branch .LBB16_13
.LBB16_11:                              ;   in Loop: Header=BB16_13 Depth=4
	s_or_b32 exec_lo, exec_lo, s3
	v_cmp_le_i32_e32 vcc_lo, v28, v29
	v_cmp_ge_i32_e64 s3, v28, v29
	v_add_co_ci_u32_e32 v0, vcc_lo, 0, v0, vcc_lo
	s_delay_alu instid0(VALU_DEP_2) | instskip(SKIP_1) | instid1(VALU_DEP_2)
	v_add_co_ci_u32_e64 v11, s3, 0, v11, s3
	s_and_not1_b32 s3, s49, exec_lo
	v_cmp_ge_i32_e32 vcc_lo, v0, v21
	s_and_b32 s49, vcc_lo, exec_lo
	s_delay_alu instid0(SALU_CYCLE_1)
	s_or_b32 s49, s3, s49
.LBB16_12:                              ;   in Loop: Header=BB16_13 Depth=4
	s_or_b32 exec_lo, exec_lo, s50
	s_delay_alu instid0(SALU_CYCLE_1) | instskip(NEXT) | instid1(SALU_CYCLE_1)
	s_and_b32 s3, exec_lo, s49
	s_or_b32 s48, s3, s48
	s_delay_alu instid0(SALU_CYCLE_1)
	s_and_not1_b32 exec_lo, exec_lo, s48
	s_cbranch_execz .LBB16_16
.LBB16_13:                              ;   Parent Loop BB16_3 Depth=1
                                        ;     Parent Loop BB16_5 Depth=2
                                        ;       Parent Loop BB16_9 Depth=3
                                        ; =>      This Inner Loop Header: Depth=4
	s_or_b32 s49, s49, exec_lo
	s_mov_b32 s50, exec_lo
	s_delay_alu instid0(VALU_DEP_1)
	v_cmpx_lt_i32_e64 v11, v26
	s_cbranch_execz .LBB16_12
; %bb.14:                               ;   in Loop: Header=BB16_13 Depth=4
	v_mov_b32_e32 v12, v1
	v_lshlrev_b64 v[28:29], 2, v[0:1]
	s_mov_b32 s3, exec_lo
	s_delay_alu instid0(VALU_DEP_2) | instskip(NEXT) | instid1(VALU_DEP_2)
	v_lshlrev_b64 v[30:31], 2, v[11:12]
	v_add_co_u32 v28, vcc_lo, v22, v28
	s_delay_alu instid0(VALU_DEP_3) | instskip(NEXT) | instid1(VALU_DEP_3)
	v_add_co_ci_u32_e32 v29, vcc_lo, v23, v29, vcc_lo
	v_add_co_u32 v30, vcc_lo, v13, v30
	s_delay_alu instid0(VALU_DEP_4)
	v_add_co_ci_u32_e32 v31, vcc_lo, v14, v31, vcc_lo
	global_load_b32 v28, v[28:29], off
	global_load_b32 v29, v[30:31], off
	s_waitcnt vmcnt(1)
	v_subrev_nc_u32_e32 v28, s41, v28
	s_waitcnt vmcnt(0)
	v_subrev_nc_u32_e32 v29, s42, v29
	s_delay_alu instid0(VALU_DEP_1)
	v_cmpx_eq_u32_e64 v28, v29
	s_cbranch_execz .LBB16_11
; %bb.15:                               ;   in Loop: Header=BB16_13 Depth=4
	v_lshlrev_b64 v[30:31], 3, v[0:1]
	v_lshlrev_b64 v[32:33], 3, v[11:12]
	s_delay_alu instid0(VALU_DEP_2) | instskip(NEXT) | instid1(VALU_DEP_3)
	v_add_co_u32 v30, vcc_lo, v24, v30
	v_add_co_ci_u32_e32 v31, vcc_lo, v25, v31, vcc_lo
	s_delay_alu instid0(VALU_DEP_3) | instskip(NEXT) | instid1(VALU_DEP_4)
	v_add_co_u32 v32, vcc_lo, v15, v32
	v_add_co_ci_u32_e32 v33, vcc_lo, v27, v33, vcc_lo
	global_load_b64 v[30:31], v[30:31], off
	global_load_b64 v[32:33], v[32:33], off
	s_waitcnt vmcnt(0)
	v_fma_f64 v[6:7], v[30:31], v[32:33], v[6:7]
	s_branch .LBB16_11
.LBB16_16:                              ;   in Loop: Header=BB16_9 Depth=3
	s_or_b32 exec_lo, exec_lo, s48
.LBB16_17:                              ;   in Loop: Header=BB16_9 Depth=3
	s_delay_alu instid0(SALU_CYCLE_1) | instskip(SKIP_3) | instid1(VALU_DEP_2)
	s_or_b32 exec_lo, exec_lo, s47
	v_lshlrev_b64 v[12:13], 3, v[3:4]
	v_cmp_le_i32_e64 s3, v2, v8
	s_mov_b32 s47, exec_lo
	v_add_co_u32 v12, vcc_lo, s26, v12
	s_delay_alu instid0(VALU_DEP_3)
	v_add_co_ci_u32_e32 v13, vcc_lo, s27, v13, vcc_lo
	global_load_b64 v[12:13], v[12:13], off
	s_waitcnt vmcnt(0)
	v_add_f64 v[6:7], v[12:13], -v[6:7]
	v_cmpx_gt_i32_e64 v2, v8
	s_cbranch_execz .LBB16_21
; %bb.18:                               ;   in Loop: Header=BB16_9 Depth=3
	v_lshlrev_b64 v[12:13], 3, v[8:9]
	v_mov_b32_e32 v14, 0
	v_mov_b32_e32 v15, 0
	s_mov_b32 s48, exec_lo
	s_delay_alu instid0(VALU_DEP_3) | instskip(NEXT) | instid1(VALU_DEP_4)
	v_add_co_u32 v12, vcc_lo, s28, v12
	v_add_co_ci_u32_e32 v13, vcc_lo, s29, v13, vcc_lo
	global_load_b64 v[12:13], v[12:13], off
	s_waitcnt vmcnt(0)
	v_cmpx_lg_f64_e32 0, v[12:13]
; %bb.19:                               ;   in Loop: Header=BB16_9 Depth=3
	v_div_scale_f64 v[14:15], null, v[12:13], v[12:13], v[6:7]
	s_delay_alu instid0(VALU_DEP_1) | instskip(SKIP_2) | instid1(VALU_DEP_1)
	v_rcp_f64_e32 v[27:28], v[14:15]
	s_waitcnt_depctr 0xfff
	v_fma_f64 v[29:30], -v[14:15], v[27:28], 1.0
	v_fma_f64 v[27:28], v[27:28], v[29:30], v[27:28]
	s_delay_alu instid0(VALU_DEP_1) | instskip(NEXT) | instid1(VALU_DEP_1)
	v_fma_f64 v[29:30], -v[14:15], v[27:28], 1.0
	v_fma_f64 v[27:28], v[27:28], v[29:30], v[27:28]
	v_div_scale_f64 v[29:30], vcc_lo, v[6:7], v[12:13], v[6:7]
	s_delay_alu instid0(VALU_DEP_1) | instskip(NEXT) | instid1(VALU_DEP_1)
	v_mul_f64 v[31:32], v[29:30], v[27:28]
	v_fma_f64 v[14:15], -v[14:15], v[31:32], v[29:30]
	s_delay_alu instid0(VALU_DEP_1) | instskip(NEXT) | instid1(VALU_DEP_1)
	v_div_fmas_f64 v[14:15], v[14:15], v[27:28], v[31:32]
	v_div_fixup_f64 v[14:15], v[14:15], v[12:13], v[6:7]
; %bb.20:                               ;   in Loop: Header=BB16_9 Depth=3
	s_or_b32 exec_lo, exec_lo, s48
	s_delay_alu instid0(VALU_DEP_1)
	v_dual_mov_b32 v6, v14 :: v_dual_mov_b32 v7, v15
.LBB16_21:                              ;   in Loop: Header=BB16_9 Depth=3
	s_or_b32 exec_lo, exec_lo, s47
	s_delay_alu instid0(VALU_DEP_1) | instskip(NEXT) | instid1(VALU_DEP_1)
	v_cmp_class_f64_e64 s48, v[6:7], 0x1f8
	s_and_saveexec_b32 s47, s48
	s_cbranch_execz .LBB16_8
; %bb.22:                               ;   in Loop: Header=BB16_9 Depth=3
	s_mov_b32 s48, 0
                                        ; implicit-def: $vgpr12_vgpr13
	s_and_saveexec_b32 s49, s3
	s_delay_alu instid0(SALU_CYCLE_1)
	s_xor_b32 s3, exec_lo, s49
	s_cbranch_execnz .LBB16_25
; %bb.23:                               ;   in Loop: Header=BB16_9 Depth=3
	s_and_not1_saveexec_b32 s3, s3
	s_cbranch_execnz .LBB16_38
.LBB16_24:                              ;   in Loop: Header=BB16_9 Depth=3
	s_or_b32 exec_lo, exec_lo, s3
	s_delay_alu instid0(SALU_CYCLE_1)
	s_and_b32 exec_lo, exec_lo, s48
	s_cbranch_execz .LBB16_8
	s_branch .LBB16_47
.LBB16_25:                              ;   in Loop: Header=BB16_9 Depth=3
	s_mov_b32 s49, exec_lo
                                        ; implicit-def: $vgpr12_vgpr13
	v_cmpx_ge_i32_e64 v2, v8
	s_xor_b32 s49, exec_lo, s49
; %bb.26:                               ;   in Loop: Header=BB16_9 Depth=3
	v_lshlrev_b64 v[8:9], 3, v[8:9]
	s_mov_b32 s48, exec_lo
                                        ; implicit-def: $vgpr11
                                        ; implicit-def: $vgpr26
                                        ; implicit-def: $vgpr10
	s_delay_alu instid0(VALU_DEP_1) | instskip(NEXT) | instid1(VALU_DEP_2)
	v_add_co_u32 v12, vcc_lo, s30, v8
	v_add_co_ci_u32_e32 v13, vcc_lo, s31, v9, vcc_lo
; %bb.27:                               ;   in Loop: Header=BB16_9 Depth=3
	s_and_not1_saveexec_b32 s49, s49
	s_cbranch_execz .LBB16_37
; %bb.28:                               ;   in Loop: Header=BB16_9 Depth=3
	s_mov_b32 s51, s48
	s_mov_b32 s50, exec_lo
                                        ; implicit-def: $vgpr12_vgpr13
	v_cmpx_lt_i32_e64 v11, v26
	s_cbranch_execz .LBB16_36
; %bb.29:                               ;   in Loop: Header=BB16_9 Depth=3
	s_mov_b32 s52, 0
                                        ; implicit-def: $sgpr51
                                        ; implicit-def: $sgpr54
                                        ; implicit-def: $sgpr53
	s_set_inst_prefetch_distance 0x1
	s_branch .LBB16_31
	.p2align	6
.LBB16_30:                              ;   in Loop: Header=BB16_31 Depth=4
	s_or_b32 exec_lo, exec_lo, s55
	s_delay_alu instid0(SALU_CYCLE_1) | instskip(NEXT) | instid1(SALU_CYCLE_1)
	s_and_b32 s55, exec_lo, s54
	s_or_b32 s52, s55, s52
	s_and_not1_b32 s51, s51, exec_lo
	s_and_b32 s55, s53, exec_lo
	s_delay_alu instid0(SALU_CYCLE_1)
	s_or_b32 s51, s51, s55
	s_and_not1_b32 exec_lo, exec_lo, s52
	s_cbranch_execz .LBB16_33
.LBB16_31:                              ;   Parent Loop BB16_3 Depth=1
                                        ;     Parent Loop BB16_5 Depth=2
                                        ;       Parent Loop BB16_9 Depth=3
                                        ; =>      This Inner Loop Header: Depth=4
	v_add_nc_u32_e32 v8, v10, v11
	s_or_b32 s53, s53, exec_lo
	s_or_b32 s54, s54, exec_lo
	s_mov_b32 s55, exec_lo
	s_delay_alu instid0(VALU_DEP_1) | instskip(NEXT) | instid1(VALU_DEP_1)
	v_ashrrev_i32_e32 v9, 31, v8
	v_lshlrev_b64 v[12:13], 2, v[8:9]
	s_delay_alu instid0(VALU_DEP_1) | instskip(NEXT) | instid1(VALU_DEP_2)
	v_add_co_u32 v12, vcc_lo, s8, v12
	v_add_co_ci_u32_e32 v13, vcc_lo, s9, v13, vcc_lo
	global_load_b32 v0, v[12:13], off
	s_waitcnt vmcnt(0)
	v_subrev_nc_u32_e32 v0, s42, v0
	s_delay_alu instid0(VALU_DEP_1)
	v_cmpx_ne_u32_e64 v0, v2
	s_cbranch_execz .LBB16_30
; %bb.32:                               ;   in Loop: Header=BB16_31 Depth=4
	v_add_nc_u32_e32 v11, 1, v11
	s_and_not1_b32 s54, s54, exec_lo
	s_and_not1_b32 s53, s53, exec_lo
	s_delay_alu instid0(VALU_DEP_1) | instskip(SKIP_1) | instid1(SALU_CYCLE_1)
	v_cmp_ge_i32_e32 vcc_lo, v11, v26
	s_and_b32 s56, vcc_lo, exec_lo
	s_or_b32 s54, s54, s56
	s_branch .LBB16_30
.LBB16_33:                              ;   in Loop: Header=BB16_9 Depth=3
	s_set_inst_prefetch_distance 0x2
	s_or_b32 exec_lo, exec_lo, s52
	s_mov_b32 s52, s48
                                        ; implicit-def: $vgpr12_vgpr13
	s_and_saveexec_b32 s53, s51
	s_delay_alu instid0(SALU_CYCLE_1)
	s_xor_b32 s51, exec_lo, s53
; %bb.34:                               ;   in Loop: Header=BB16_9 Depth=3
	v_lshlrev_b64 v[8:9], 3, v[8:9]
	s_or_b32 s52, s48, exec_lo
	s_delay_alu instid0(VALU_DEP_1) | instskip(NEXT) | instid1(VALU_DEP_2)
	v_add_co_u32 v12, vcc_lo, s36, v8
	v_add_co_ci_u32_e32 v13, vcc_lo, s37, v9, vcc_lo
; %bb.35:                               ;   in Loop: Header=BB16_9 Depth=3
	s_or_b32 exec_lo, exec_lo, s51
	s_delay_alu instid0(SALU_CYCLE_1) | instskip(SKIP_1) | instid1(SALU_CYCLE_1)
	s_and_not1_b32 s51, s48, exec_lo
	s_and_b32 s52, s52, exec_lo
	s_or_b32 s51, s51, s52
.LBB16_36:                              ;   in Loop: Header=BB16_9 Depth=3
	s_or_b32 exec_lo, exec_lo, s50
	s_delay_alu instid0(SALU_CYCLE_1) | instskip(SKIP_1) | instid1(SALU_CYCLE_1)
	s_and_not1_b32 s48, s48, exec_lo
	s_and_b32 s50, s51, exec_lo
	s_or_b32 s48, s48, s50
.LBB16_37:                              ;   in Loop: Header=BB16_9 Depth=3
	s_or_b32 exec_lo, exec_lo, s49
	s_delay_alu instid0(SALU_CYCLE_1)
	s_and_b32 s48, s48, exec_lo
                                        ; implicit-def: $vgpr8_vgpr9
	s_and_not1_saveexec_b32 s3, s3
	s_cbranch_execz .LBB16_24
.LBB16_38:                              ;   in Loop: Header=BB16_9 Depth=3
	s_mov_b32 s50, s48
	s_mov_b32 s49, exec_lo
                                        ; implicit-def: $vgpr12_vgpr13
	v_cmpx_lt_i32_e64 v0, v21
	s_cbranch_execz .LBB16_46
; %bb.39:                               ;   in Loop: Header=BB16_9 Depth=3
	s_mov_b32 s51, 0
                                        ; implicit-def: $sgpr50
                                        ; implicit-def: $sgpr53
                                        ; implicit-def: $sgpr52
	s_set_inst_prefetch_distance 0x1
	s_branch .LBB16_41
	.p2align	6
.LBB16_40:                              ;   in Loop: Header=BB16_41 Depth=4
	s_or_b32 exec_lo, exec_lo, s54
	s_delay_alu instid0(SALU_CYCLE_1) | instskip(NEXT) | instid1(SALU_CYCLE_1)
	s_and_b32 s54, exec_lo, s53
	s_or_b32 s51, s54, s51
	s_and_not1_b32 s50, s50, exec_lo
	s_and_b32 s54, s52, exec_lo
	s_delay_alu instid0(SALU_CYCLE_1)
	s_or_b32 s50, s50, s54
	s_and_not1_b32 exec_lo, exec_lo, s51
	s_cbranch_execz .LBB16_43
.LBB16_41:                              ;   Parent Loop BB16_3 Depth=1
                                        ;     Parent Loop BB16_5 Depth=2
                                        ;       Parent Loop BB16_9 Depth=3
                                        ; =>      This Inner Loop Header: Depth=4
	v_add_nc_u32_e32 v9, v5, v0
	s_or_b32 s52, s52, exec_lo
	s_or_b32 s53, s53, exec_lo
	s_mov_b32 s54, exec_lo
	s_delay_alu instid0(VALU_DEP_1) | instskip(NEXT) | instid1(VALU_DEP_1)
	v_ashrrev_i32_e32 v10, 31, v9
	v_lshlrev_b64 v[11:12], 2, v[9:10]
	s_delay_alu instid0(VALU_DEP_1) | instskip(NEXT) | instid1(VALU_DEP_2)
	v_add_co_u32 v11, vcc_lo, s16, v11
	v_add_co_ci_u32_e32 v12, vcc_lo, s17, v12, vcc_lo
	global_load_b32 v4, v[11:12], off
	s_waitcnt vmcnt(0)
	v_subrev_nc_u32_e32 v4, s41, v4
	s_delay_alu instid0(VALU_DEP_1)
	v_cmpx_ne_u32_e64 v4, v8
	s_cbranch_execz .LBB16_40
; %bb.42:                               ;   in Loop: Header=BB16_41 Depth=4
	v_add_nc_u32_e32 v0, 1, v0
	s_and_not1_b32 s53, s53, exec_lo
	s_and_not1_b32 s52, s52, exec_lo
	s_delay_alu instid0(VALU_DEP_1) | instskip(SKIP_1) | instid1(SALU_CYCLE_1)
	v_cmp_ge_i32_e32 vcc_lo, v0, v21
	s_and_b32 s55, vcc_lo, exec_lo
	s_or_b32 s53, s53, s55
	s_branch .LBB16_40
.LBB16_43:                              ;   in Loop: Header=BB16_9 Depth=3
	s_set_inst_prefetch_distance 0x2
	s_or_b32 exec_lo, exec_lo, s51
	s_mov_b32 s51, s48
                                        ; implicit-def: $vgpr12_vgpr13
	s_and_saveexec_b32 s52, s50
	s_delay_alu instid0(SALU_CYCLE_1)
	s_xor_b32 s50, exec_lo, s52
; %bb.44:                               ;   in Loop: Header=BB16_9 Depth=3
	v_lshlrev_b64 v[8:9], 3, v[9:10]
	s_or_b32 s51, s48, exec_lo
	s_delay_alu instid0(VALU_DEP_1) | instskip(NEXT) | instid1(VALU_DEP_2)
	v_add_co_u32 v12, vcc_lo, s38, v8
	v_add_co_ci_u32_e32 v13, vcc_lo, s39, v9, vcc_lo
; %bb.45:                               ;   in Loop: Header=BB16_9 Depth=3
	s_or_b32 exec_lo, exec_lo, s50
	s_delay_alu instid0(SALU_CYCLE_1) | instskip(SKIP_1) | instid1(SALU_CYCLE_1)
	s_and_not1_b32 s50, s48, exec_lo
	s_and_b32 s51, s51, exec_lo
	s_or_b32 s50, s50, s51
.LBB16_46:                              ;   in Loop: Header=BB16_9 Depth=3
	s_or_b32 exec_lo, exec_lo, s49
	s_delay_alu instid0(SALU_CYCLE_1) | instskip(SKIP_1) | instid1(SALU_CYCLE_1)
	s_and_not1_b32 s48, s48, exec_lo
	s_and_b32 s49, s50, exec_lo
	s_or_b32 s48, s48, s49
	s_or_b32 exec_lo, exec_lo, s3
	s_delay_alu instid0(SALU_CYCLE_1)
	s_and_b32 exec_lo, exec_lo, s48
	s_cbranch_execz .LBB16_8
.LBB16_47:                              ;   in Loop: Header=BB16_9 Depth=3
	global_store_b64 v[12:13], v[6:7], off
	s_branch .LBB16_8
.LBB16_48:                              ;   in Loop: Header=BB16_3 Depth=1
	s_and_saveexec_b32 s3, s0
	s_cbranch_execz .LBB16_2
; %bb.49:                               ;   in Loop: Header=BB16_3 Depth=1
	v_mov_b32_e32 v2, v16
	s_mov_b32 s44, 0
	s_branch .LBB16_51
.LBB16_50:                              ;   in Loop: Header=BB16_51 Depth=2
	s_or_b32 exec_lo, exec_lo, s45
	v_add_nc_u32_e32 v2, 0x100, v2
	s_delay_alu instid0(VALU_DEP_1) | instskip(SKIP_1) | instid1(SALU_CYCLE_1)
	v_cmp_le_u32_e32 vcc_lo, s43, v2
	s_or_b32 s44, vcc_lo, s44
	s_and_not1_b32 exec_lo, exec_lo, s44
	s_cbranch_execz .LBB16_2
.LBB16_51:                              ;   Parent Loop BB16_3 Depth=1
                                        ; =>  This Loop Header: Depth=2
                                        ;       Child Loop BB16_54 Depth 3
                                        ;       Child Loop BB16_57 Depth 3
	s_mov_b32 s45, exec_lo
	s_delay_alu instid0(VALU_DEP_1)
	v_cmpx_gt_i32_e64 s35, v2
	s_cbranch_execz .LBB16_50
; %bb.52:                               ;   in Loop: Header=BB16_51 Depth=2
	v_ashrrev_i32_e32 v3, 31, v2
	s_mov_b32 s46, exec_lo
	s_delay_alu instid0(VALU_DEP_1) | instskip(NEXT) | instid1(VALU_DEP_1)
	v_lshlrev_b64 v[4:5], 2, v[2:3]
	v_add_co_u32 v6, vcc_lo, s12, v4
	s_delay_alu instid0(VALU_DEP_2)
	v_add_co_ci_u32_e32 v7, vcc_lo, s13, v5, vcc_lo
	v_add_co_u32 v8, vcc_lo, s14, v4
	v_add_co_ci_u32_e32 v9, vcc_lo, s15, v5, vcc_lo
	global_load_b32 v0, v[6:7], off
	global_load_b32 v7, v[8:9], off
	s_waitcnt vmcnt(1)
	v_add_nc_u32_e32 v6, v18, v0
	s_waitcnt vmcnt(0)
	v_subrev_nc_u32_e32 v0, s41, v7
	s_delay_alu instid0(VALU_DEP_1)
	v_cmpx_lt_i32_e64 v6, v0
	s_cbranch_execz .LBB16_55
; %bb.53:                               ;   in Loop: Header=BB16_51 Depth=2
	v_ashrrev_i32_e32 v7, 31, v6
	s_mov_b32 s47, 0
	s_delay_alu instid0(VALU_DEP_1) | instskip(NEXT) | instid1(VALU_DEP_1)
	v_lshlrev_b64 v[9:10], 3, v[6:7]
	v_add_co_u32 v7, vcc_lo, s38, v9
	s_delay_alu instid0(VALU_DEP_2)
	v_add_co_ci_u32_e32 v8, vcc_lo, s39, v10, vcc_lo
	v_add_co_u32 v9, vcc_lo, s18, v9
	v_add_co_ci_u32_e32 v10, vcc_lo, s19, v10, vcc_lo
.LBB16_54:                              ;   Parent Loop BB16_3 Depth=1
                                        ;     Parent Loop BB16_51 Depth=2
                                        ; =>    This Inner Loop Header: Depth=3
	global_load_b64 v[11:12], v[7:8], off
	v_add_nc_u32_e32 v6, 4, v6
	v_add_co_u32 v7, vcc_lo, v7, 32
	v_add_co_ci_u32_e32 v8, vcc_lo, 0, v8, vcc_lo
	s_delay_alu instid0(VALU_DEP_3) | instskip(SKIP_4) | instid1(VALU_DEP_1)
	v_cmp_ge_i32_e32 vcc_lo, v6, v0
	s_or_b32 s47, vcc_lo, s47
	s_waitcnt vmcnt(0)
	global_store_b64 v[9:10], v[11:12], off
	v_add_co_u32 v9, s2, v9, 32
	v_add_co_ci_u32_e64 v10, s2, 0, v10, s2
	s_and_not1_b32 exec_lo, exec_lo, s47
	s_cbranch_execnz .LBB16_54
.LBB16_55:                              ;   in Loop: Header=BB16_51 Depth=2
	s_or_b32 exec_lo, exec_lo, s46
	v_add_co_u32 v6, vcc_lo, s4, v4
	v_add_co_ci_u32_e32 v7, vcc_lo, s5, v5, vcc_lo
	v_add_co_u32 v4, vcc_lo, s6, v4
	v_add_co_ci_u32_e32 v5, vcc_lo, s7, v5, vcc_lo
	s_mov_b32 s46, exec_lo
	global_load_b32 v0, v[6:7], off
	global_load_b32 v5, v[4:5], off
	s_waitcnt vmcnt(1)
	v_add_nc_u32_e32 v4, v19, v0
	s_waitcnt vmcnt(0)
	v_subrev_nc_u32_e32 v0, s42, v5
	s_delay_alu instid0(VALU_DEP_1)
	v_cmpx_lt_i32_e64 v4, v0
	s_cbranch_execz .LBB16_58
; %bb.56:                               ;   in Loop: Header=BB16_51 Depth=2
	v_ashrrev_i32_e32 v5, 31, v4
	s_mov_b32 s47, 0
	s_delay_alu instid0(VALU_DEP_1) | instskip(NEXT) | instid1(VALU_DEP_1)
	v_lshlrev_b64 v[7:8], 3, v[4:5]
	v_add_co_u32 v5, vcc_lo, s36, v7
	s_delay_alu instid0(VALU_DEP_2)
	v_add_co_ci_u32_e32 v6, vcc_lo, s37, v8, vcc_lo
	v_add_co_u32 v7, vcc_lo, s10, v7
	v_add_co_ci_u32_e32 v8, vcc_lo, s11, v8, vcc_lo
.LBB16_57:                              ;   Parent Loop BB16_3 Depth=1
                                        ;     Parent Loop BB16_51 Depth=2
                                        ; =>    This Inner Loop Header: Depth=3
	global_load_b64 v[9:10], v[5:6], off
	v_add_nc_u32_e32 v4, 4, v4
	v_add_co_u32 v5, vcc_lo, v5, 32
	v_add_co_ci_u32_e32 v6, vcc_lo, 0, v6, vcc_lo
	s_delay_alu instid0(VALU_DEP_3) | instskip(SKIP_4) | instid1(VALU_DEP_1)
	v_cmp_ge_i32_e32 vcc_lo, v4, v0
	s_or_b32 s47, vcc_lo, s47
	s_waitcnt vmcnt(0)
	global_store_b64 v[7:8], v[9:10], off
	v_add_co_u32 v7, s2, v7, 32
	v_add_co_ci_u32_e64 v8, s2, 0, v8, s2
	s_and_not1_b32 exec_lo, exec_lo, s47
	s_cbranch_execnz .LBB16_57
.LBB16_58:                              ;   in Loop: Header=BB16_51 Depth=2
	s_or_b32 exec_lo, exec_lo, s46
	s_delay_alu instid0(SALU_CYCLE_1)
	s_and_b32 exec_lo, exec_lo, s1
	s_cbranch_execz .LBB16_50
; %bb.59:                               ;   in Loop: Header=BB16_51 Depth=2
	v_lshlrev_b64 v[3:4], 3, v[2:3]
	s_delay_alu instid0(VALU_DEP_1) | instskip(NEXT) | instid1(VALU_DEP_2)
	v_add_co_u32 v5, vcc_lo, s30, v3
	v_add_co_ci_u32_e32 v6, vcc_lo, s31, v4, vcc_lo
	v_add_co_u32 v3, vcc_lo, s28, v3
	v_add_co_ci_u32_e32 v4, vcc_lo, s29, v4, vcc_lo
	global_load_b64 v[5:6], v[5:6], off
	s_waitcnt vmcnt(0)
	global_store_b64 v[3:4], v[5:6], off
	s_branch .LBB16_50
.LBB16_60:
	s_nop 0
	s_sendmsg sendmsg(MSG_DEALLOC_VGPRS)
	s_endpgm
	.section	.rodata,"a",@progbits
	.p2align	6, 0x0
	.amdhsa_kernel _ZN9rocsparseL14kernel_freerunILi1024ELi4EdiiEEvT3_S1_T2_PKS2_S4_PKS1_PKT1_21rocsparse_index_base_S4_S4_S6_PS7_SB_SA_S4_S4_S6_SB_SB_SA_SB_SB_
		.amdhsa_group_segment_fixed_size 0
		.amdhsa_private_segment_fixed_size 0
		.amdhsa_kernarg_size 168
		.amdhsa_user_sgpr_count 15
		.amdhsa_user_sgpr_dispatch_ptr 0
		.amdhsa_user_sgpr_queue_ptr 0
		.amdhsa_user_sgpr_kernarg_segment_ptr 1
		.amdhsa_user_sgpr_dispatch_id 0
		.amdhsa_user_sgpr_private_segment_size 0
		.amdhsa_wavefront_size32 1
		.amdhsa_uses_dynamic_stack 0
		.amdhsa_enable_private_segment 0
		.amdhsa_system_sgpr_workgroup_id_x 1
		.amdhsa_system_sgpr_workgroup_id_y 0
		.amdhsa_system_sgpr_workgroup_id_z 0
		.amdhsa_system_sgpr_workgroup_info 0
		.amdhsa_system_vgpr_workitem_id 0
		.amdhsa_next_free_vgpr 34
		.amdhsa_next_free_sgpr 57
		.amdhsa_reserve_vcc 1
		.amdhsa_float_round_mode_32 0
		.amdhsa_float_round_mode_16_64 0
		.amdhsa_float_denorm_mode_32 3
		.amdhsa_float_denorm_mode_16_64 3
		.amdhsa_dx10_clamp 1
		.amdhsa_ieee_mode 1
		.amdhsa_fp16_overflow 0
		.amdhsa_workgroup_processor_mode 1
		.amdhsa_memory_ordered 1
		.amdhsa_forward_progress 0
		.amdhsa_shared_vgpr_count 0
		.amdhsa_exception_fp_ieee_invalid_op 0
		.amdhsa_exception_fp_denorm_src 0
		.amdhsa_exception_fp_ieee_div_zero 0
		.amdhsa_exception_fp_ieee_overflow 0
		.amdhsa_exception_fp_ieee_underflow 0
		.amdhsa_exception_fp_ieee_inexact 0
		.amdhsa_exception_int_div_zero 0
	.end_amdhsa_kernel
	.section	.text._ZN9rocsparseL14kernel_freerunILi1024ELi4EdiiEEvT3_S1_T2_PKS2_S4_PKS1_PKT1_21rocsparse_index_base_S4_S4_S6_PS7_SB_SA_S4_S4_S6_SB_SB_SA_SB_SB_,"axG",@progbits,_ZN9rocsparseL14kernel_freerunILi1024ELi4EdiiEEvT3_S1_T2_PKS2_S4_PKS1_PKT1_21rocsparse_index_base_S4_S4_S6_PS7_SB_SA_S4_S4_S6_SB_SB_SA_SB_SB_,comdat
.Lfunc_end16:
	.size	_ZN9rocsparseL14kernel_freerunILi1024ELi4EdiiEEvT3_S1_T2_PKS2_S4_PKS1_PKT1_21rocsparse_index_base_S4_S4_S6_PS7_SB_SA_S4_S4_S6_SB_SB_SA_SB_SB_, .Lfunc_end16-_ZN9rocsparseL14kernel_freerunILi1024ELi4EdiiEEvT3_S1_T2_PKS2_S4_PKS1_PKT1_21rocsparse_index_base_S4_S4_S6_PS7_SB_SA_S4_S4_S6_SB_SB_SA_SB_SB_
                                        ; -- End function
	.section	.AMDGPU.csdata,"",@progbits
; Kernel info:
; codeLenInByte = 2588
; NumSgprs: 59
; NumVgprs: 34
; ScratchSize: 0
; MemoryBound: 1
; FloatMode: 240
; IeeeMode: 1
; LDSByteSize: 0 bytes/workgroup (compile time only)
; SGPRBlocks: 7
; VGPRBlocks: 4
; NumSGPRsForWavesPerEU: 59
; NumVGPRsForWavesPerEU: 34
; Occupancy: 16
; WaveLimiterHint : 1
; COMPUTE_PGM_RSRC2:SCRATCH_EN: 0
; COMPUTE_PGM_RSRC2:USER_SGPR: 15
; COMPUTE_PGM_RSRC2:TRAP_HANDLER: 0
; COMPUTE_PGM_RSRC2:TGID_X_EN: 1
; COMPUTE_PGM_RSRC2:TGID_Y_EN: 0
; COMPUTE_PGM_RSRC2:TGID_Z_EN: 0
; COMPUTE_PGM_RSRC2:TIDIG_COMP_CNT: 0
	.section	.text._ZN9rocsparseL14kernel_freerunILi1024ELi8EdiiEEvT3_S1_T2_PKS2_S4_PKS1_PKT1_21rocsparse_index_base_S4_S4_S6_PS7_SB_SA_S4_S4_S6_SB_SB_SA_SB_SB_,"axG",@progbits,_ZN9rocsparseL14kernel_freerunILi1024ELi8EdiiEEvT3_S1_T2_PKS2_S4_PKS1_PKT1_21rocsparse_index_base_S4_S4_S6_PS7_SB_SA_S4_S4_S6_SB_SB_SA_SB_SB_,comdat
	.globl	_ZN9rocsparseL14kernel_freerunILi1024ELi8EdiiEEvT3_S1_T2_PKS2_S4_PKS1_PKT1_21rocsparse_index_base_S4_S4_S6_PS7_SB_SA_S4_S4_S6_SB_SB_SA_SB_SB_ ; -- Begin function _ZN9rocsparseL14kernel_freerunILi1024ELi8EdiiEEvT3_S1_T2_PKS2_S4_PKS1_PKT1_21rocsparse_index_base_S4_S4_S6_PS7_SB_SA_S4_S4_S6_SB_SB_SA_SB_SB_
	.p2align	8
	.type	_ZN9rocsparseL14kernel_freerunILi1024ELi8EdiiEEvT3_S1_T2_PKS2_S4_PKS1_PKT1_21rocsparse_index_base_S4_S4_S6_PS7_SB_SA_S4_S4_S6_SB_SB_SA_SB_SB_,@function
_ZN9rocsparseL14kernel_freerunILi1024ELi8EdiiEEvT3_S1_T2_PKS2_S4_PKS1_PKT1_21rocsparse_index_base_S4_S4_S6_PS7_SB_SA_S4_S4_S6_SB_SB_SA_SB_SB_: ; @_ZN9rocsparseL14kernel_freerunILi1024ELi8EdiiEEvT3_S1_T2_PKS2_S4_PKS1_PKT1_21rocsparse_index_base_S4_S4_S6_PS7_SB_SA_S4_S4_S6_SB_SB_SA_SB_SB_
; %bb.0:
	s_load_b64 s[34:35], s[0:1], 0x0
	v_lshrrev_b32_e32 v1, 3, v0
	s_lshl_b32 s43, s15, 10
	s_mov_b32 s33, 0
	s_delay_alu instid0(VALU_DEP_1) | instskip(SKIP_1) | instid1(VALU_DEP_1)
	v_or_b32_e32 v16, s43, v1
	s_waitcnt lgkmcnt(0)
	v_cmp_gt_i32_e32 vcc_lo, s35, v16
	s_cmp_gt_i32 s34, 0
	s_cselect_b32 s2, -1, 0
	s_delay_alu instid0(SALU_CYCLE_1) | instskip(NEXT) | instid1(SALU_CYCLE_1)
	s_and_b32 s2, vcc_lo, s2
	s_and_saveexec_b32 s3, s2
	s_cbranch_execz .LBB17_60
; %bb.1:
	s_clause 0x8
	s_load_b32 s40, s[0:1], 0x30
	s_load_b32 s41, s[0:1], 0x60
	;; [unrolled: 1-line block ×3, first 2 shown]
	s_load_b64 s[36:37], s[0:1], 0x88
	s_load_b64 s[38:39], s[0:1], 0x58
	s_load_b128 s[28:31], s[0:1], 0x98
	s_load_b256 s[4:11], s[0:1], 0x68
	s_load_b256 s[12:19], s[0:1], 0x38
	;; [unrolled: 1-line block ×3, first 2 shown]
	v_dual_mov_b32 v1, 0 :: v_dual_and_b32 v0, 7, v0
	s_addk_i32 s43, 0x400
	s_delay_alu instid0(SALU_CYCLE_1) | instskip(NEXT) | instid1(VALU_DEP_2)
	v_cmp_gt_u32_e64 s0, s43, v16
	v_cmp_eq_u32_e64 s1, 0, v0
	s_waitcnt lgkmcnt(0)
	v_subrev_nc_u32_e32 v17, s40, v0
	v_subrev_nc_u32_e32 v18, s41, v0
	;; [unrolled: 1-line block ×3, first 2 shown]
	s_branch .LBB17_3
.LBB17_2:                               ;   in Loop: Header=BB17_3 Depth=1
	s_or_b32 exec_lo, exec_lo, s3
	s_add_i32 s33, s33, 1
	s_delay_alu instid0(SALU_CYCLE_1)
	s_cmp_eq_u32 s33, s34
	s_cbranch_scc1 .LBB17_60
.LBB17_3:                               ; =>This Loop Header: Depth=1
                                        ;     Child Loop BB17_5 Depth 2
                                        ;       Child Loop BB17_9 Depth 3
                                        ;         Child Loop BB17_13 Depth 4
                                        ;         Child Loop BB17_31 Depth 4
	;; [unrolled: 1-line block ×3, first 2 shown]
                                        ;     Child Loop BB17_51 Depth 2
                                        ;       Child Loop BB17_54 Depth 3
                                        ;       Child Loop BB17_57 Depth 3
	s_mov_b32 s44, 0
	s_branch .LBB17_5
.LBB17_4:                               ;   in Loop: Header=BB17_5 Depth=2
	s_or_b32 exec_lo, exec_lo, s45
	s_add_i32 s44, s44, 1
	s_delay_alu instid0(SALU_CYCLE_1)
	s_cmp_eq_u32 s44, 8
	s_cbranch_scc1 .LBB17_48
.LBB17_5:                               ;   Parent Loop BB17_3 Depth=1
                                        ; =>  This Loop Header: Depth=2
                                        ;       Child Loop BB17_9 Depth 3
                                        ;         Child Loop BB17_13 Depth 4
                                        ;         Child Loop BB17_31 Depth 4
	;; [unrolled: 1-line block ×3, first 2 shown]
	v_lshl_add_u32 v2, s44, 7, v16
	s_mov_b32 s45, exec_lo
	s_delay_alu instid0(VALU_DEP_1)
	v_cmpx_gt_i32_e64 s35, v2
	s_cbranch_execz .LBB17_4
; %bb.6:                                ;   in Loop: Header=BB17_5 Depth=2
	v_ashrrev_i32_e32 v3, 31, v2
	s_delay_alu instid0(VALU_DEP_1) | instskip(NEXT) | instid1(VALU_DEP_1)
	v_lshlrev_b64 v[4:5], 2, v[2:3]
	v_add_co_u32 v6, vcc_lo, s20, v4
	s_delay_alu instid0(VALU_DEP_2)
	v_add_co_ci_u32_e32 v7, vcc_lo, s21, v5, vcc_lo
	v_add_co_u32 v8, vcc_lo, s22, v4
	v_add_co_ci_u32_e32 v9, vcc_lo, s23, v5, vcc_lo
	global_load_b32 v0, v[6:7], off
	global_load_b32 v6, v[8:9], off
	s_waitcnt vmcnt(1)
	v_add_nc_u32_e32 v3, v17, v0
	s_waitcnt vmcnt(0)
	v_subrev_nc_u32_e32 v20, s40, v6
	s_delay_alu instid0(VALU_DEP_1)
	v_cmp_lt_i32_e32 vcc_lo, v3, v20
	s_and_b32 exec_lo, exec_lo, vcc_lo
	s_cbranch_execz .LBB17_4
; %bb.7:                                ;   in Loop: Header=BB17_5 Depth=2
	v_add_co_u32 v6, vcc_lo, s12, v4
	v_add_co_ci_u32_e32 v7, vcc_lo, s13, v5, vcc_lo
	v_add_co_u32 v4, vcc_lo, s14, v4
	v_add_co_ci_u32_e32 v5, vcc_lo, s15, v5, vcc_lo
	global_load_b32 v0, v[6:7], off
	s_mov_b32 s46, 0
	global_load_b32 v4, v[4:5], off
	s_waitcnt vmcnt(1)
	v_subrev_nc_u32_e32 v5, s41, v0
	s_waitcnt vmcnt(0)
	v_sub_nc_u32_e32 v21, v4, v0
	s_delay_alu instid0(VALU_DEP_2) | instskip(NEXT) | instid1(VALU_DEP_2)
	v_ashrrev_i32_e32 v6, 31, v5
	v_cmp_lt_i32_e64 s2, 0, v21
	s_delay_alu instid0(VALU_DEP_2) | instskip(SKIP_1) | instid1(VALU_DEP_2)
	v_lshlrev_b64 v[7:8], 2, v[5:6]
	v_lshlrev_b64 v[9:10], 3, v[5:6]
	v_add_co_u32 v22, vcc_lo, s16, v7
	s_delay_alu instid0(VALU_DEP_3) | instskip(NEXT) | instid1(VALU_DEP_3)
	v_add_co_ci_u32_e32 v23, vcc_lo, s17, v8, vcc_lo
	v_add_co_u32 v24, vcc_lo, s18, v9
	s_delay_alu instid0(VALU_DEP_4)
	v_add_co_ci_u32_e32 v25, vcc_lo, s19, v10, vcc_lo
	s_branch .LBB17_9
.LBB17_8:                               ;   in Loop: Header=BB17_9 Depth=3
	s_or_b32 exec_lo, exec_lo, s47
	v_add_nc_u32_e32 v3, 8, v3
	s_delay_alu instid0(VALU_DEP_1) | instskip(SKIP_1) | instid1(SALU_CYCLE_1)
	v_cmp_ge_i32_e32 vcc_lo, v3, v20
	s_or_b32 s46, vcc_lo, s46
	s_and_not1_b32 exec_lo, exec_lo, s46
	s_cbranch_execz .LBB17_4
.LBB17_9:                               ;   Parent Loop BB17_3 Depth=1
                                        ;     Parent Loop BB17_5 Depth=2
                                        ; =>    This Loop Header: Depth=3
                                        ;         Child Loop BB17_13 Depth 4
                                        ;         Child Loop BB17_31 Depth 4
	;; [unrolled: 1-line block ×3, first 2 shown]
	v_ashrrev_i32_e32 v4, 31, v3
	s_delay_alu instid0(VALU_DEP_1) | instskip(NEXT) | instid1(VALU_DEP_1)
	v_lshlrev_b64 v[6:7], 2, v[3:4]
	v_add_co_u32 v6, vcc_lo, s24, v6
	s_delay_alu instid0(VALU_DEP_2) | instskip(SKIP_3) | instid1(VALU_DEP_1)
	v_add_co_ci_u32_e32 v7, vcc_lo, s25, v7, vcc_lo
	global_load_b32 v0, v[6:7], off
	s_waitcnt vmcnt(0)
	v_subrev_nc_u32_e32 v8, s40, v0
	v_ashrrev_i32_e32 v9, 31, v8
	s_delay_alu instid0(VALU_DEP_1) | instskip(NEXT) | instid1(VALU_DEP_1)
	v_lshlrev_b64 v[6:7], 2, v[8:9]
	v_add_co_u32 v10, vcc_lo, s4, v6
	s_delay_alu instid0(VALU_DEP_2)
	v_add_co_ci_u32_e32 v11, vcc_lo, s5, v7, vcc_lo
	v_add_co_u32 v6, vcc_lo, s6, v6
	v_add_co_ci_u32_e32 v7, vcc_lo, s7, v7, vcc_lo
	global_load_b32 v0, v[10:11], off
	global_load_b32 v12, v[6:7], off
	v_dual_mov_b32 v6, 0 :: v_dual_mov_b32 v11, 0
	v_mov_b32_e32 v7, 0
	s_waitcnt vmcnt(1)
	v_subrev_nc_u32_e32 v10, s42, v0
	s_waitcnt vmcnt(0)
	v_sub_nc_u32_e32 v26, v12, v0
	v_mov_b32_e32 v0, 0
	s_and_saveexec_b32 s47, s2
	s_cbranch_execz .LBB17_17
; %bb.10:                               ;   in Loop: Header=BB17_9 Depth=3
	v_ashrrev_i32_e32 v11, 31, v10
	v_mov_b32_e32 v0, 0
	s_mov_b32 s48, 0
                                        ; implicit-def: $sgpr49
	s_delay_alu instid0(VALU_DEP_2) | instskip(SKIP_1) | instid1(VALU_DEP_2)
	v_lshlrev_b64 v[6:7], 2, v[10:11]
	v_lshlrev_b64 v[11:12], 3, v[10:11]
	v_add_co_u32 v13, vcc_lo, s8, v6
	s_delay_alu instid0(VALU_DEP_3) | instskip(NEXT) | instid1(VALU_DEP_3)
	v_add_co_ci_u32_e32 v14, vcc_lo, s9, v7, vcc_lo
	v_add_co_u32 v15, vcc_lo, s10, v11
	v_mov_b32_e32 v6, 0
	v_add_co_ci_u32_e32 v27, vcc_lo, s11, v12, vcc_lo
	v_mov_b32_e32 v7, 0
	v_mov_b32_e32 v11, v0
	s_branch .LBB17_13
.LBB17_11:                              ;   in Loop: Header=BB17_13 Depth=4
	s_or_b32 exec_lo, exec_lo, s3
	v_cmp_le_i32_e32 vcc_lo, v28, v29
	v_cmp_ge_i32_e64 s3, v28, v29
	v_add_co_ci_u32_e32 v0, vcc_lo, 0, v0, vcc_lo
	s_delay_alu instid0(VALU_DEP_2) | instskip(SKIP_1) | instid1(VALU_DEP_2)
	v_add_co_ci_u32_e64 v11, s3, 0, v11, s3
	s_and_not1_b32 s3, s49, exec_lo
	v_cmp_ge_i32_e32 vcc_lo, v0, v21
	s_and_b32 s49, vcc_lo, exec_lo
	s_delay_alu instid0(SALU_CYCLE_1)
	s_or_b32 s49, s3, s49
.LBB17_12:                              ;   in Loop: Header=BB17_13 Depth=4
	s_or_b32 exec_lo, exec_lo, s50
	s_delay_alu instid0(SALU_CYCLE_1) | instskip(NEXT) | instid1(SALU_CYCLE_1)
	s_and_b32 s3, exec_lo, s49
	s_or_b32 s48, s3, s48
	s_delay_alu instid0(SALU_CYCLE_1)
	s_and_not1_b32 exec_lo, exec_lo, s48
	s_cbranch_execz .LBB17_16
.LBB17_13:                              ;   Parent Loop BB17_3 Depth=1
                                        ;     Parent Loop BB17_5 Depth=2
                                        ;       Parent Loop BB17_9 Depth=3
                                        ; =>      This Inner Loop Header: Depth=4
	s_or_b32 s49, s49, exec_lo
	s_mov_b32 s50, exec_lo
	s_delay_alu instid0(VALU_DEP_1)
	v_cmpx_lt_i32_e64 v11, v26
	s_cbranch_execz .LBB17_12
; %bb.14:                               ;   in Loop: Header=BB17_13 Depth=4
	v_mov_b32_e32 v12, v1
	v_lshlrev_b64 v[28:29], 2, v[0:1]
	s_mov_b32 s3, exec_lo
	s_delay_alu instid0(VALU_DEP_2) | instskip(NEXT) | instid1(VALU_DEP_2)
	v_lshlrev_b64 v[30:31], 2, v[11:12]
	v_add_co_u32 v28, vcc_lo, v22, v28
	s_delay_alu instid0(VALU_DEP_3) | instskip(NEXT) | instid1(VALU_DEP_3)
	v_add_co_ci_u32_e32 v29, vcc_lo, v23, v29, vcc_lo
	v_add_co_u32 v30, vcc_lo, v13, v30
	s_delay_alu instid0(VALU_DEP_4)
	v_add_co_ci_u32_e32 v31, vcc_lo, v14, v31, vcc_lo
	global_load_b32 v28, v[28:29], off
	global_load_b32 v29, v[30:31], off
	s_waitcnt vmcnt(1)
	v_subrev_nc_u32_e32 v28, s41, v28
	s_waitcnt vmcnt(0)
	v_subrev_nc_u32_e32 v29, s42, v29
	s_delay_alu instid0(VALU_DEP_1)
	v_cmpx_eq_u32_e64 v28, v29
	s_cbranch_execz .LBB17_11
; %bb.15:                               ;   in Loop: Header=BB17_13 Depth=4
	v_lshlrev_b64 v[30:31], 3, v[0:1]
	v_lshlrev_b64 v[32:33], 3, v[11:12]
	s_delay_alu instid0(VALU_DEP_2) | instskip(NEXT) | instid1(VALU_DEP_3)
	v_add_co_u32 v30, vcc_lo, v24, v30
	v_add_co_ci_u32_e32 v31, vcc_lo, v25, v31, vcc_lo
	s_delay_alu instid0(VALU_DEP_3) | instskip(NEXT) | instid1(VALU_DEP_4)
	v_add_co_u32 v32, vcc_lo, v15, v32
	v_add_co_ci_u32_e32 v33, vcc_lo, v27, v33, vcc_lo
	global_load_b64 v[30:31], v[30:31], off
	global_load_b64 v[32:33], v[32:33], off
	s_waitcnt vmcnt(0)
	v_fma_f64 v[6:7], v[30:31], v[32:33], v[6:7]
	s_branch .LBB17_11
.LBB17_16:                              ;   in Loop: Header=BB17_9 Depth=3
	s_or_b32 exec_lo, exec_lo, s48
.LBB17_17:                              ;   in Loop: Header=BB17_9 Depth=3
	s_delay_alu instid0(SALU_CYCLE_1) | instskip(SKIP_3) | instid1(VALU_DEP_2)
	s_or_b32 exec_lo, exec_lo, s47
	v_lshlrev_b64 v[12:13], 3, v[3:4]
	v_cmp_le_i32_e64 s3, v2, v8
	s_mov_b32 s47, exec_lo
	v_add_co_u32 v12, vcc_lo, s26, v12
	s_delay_alu instid0(VALU_DEP_3)
	v_add_co_ci_u32_e32 v13, vcc_lo, s27, v13, vcc_lo
	global_load_b64 v[12:13], v[12:13], off
	s_waitcnt vmcnt(0)
	v_add_f64 v[6:7], v[12:13], -v[6:7]
	v_cmpx_gt_i32_e64 v2, v8
	s_cbranch_execz .LBB17_21
; %bb.18:                               ;   in Loop: Header=BB17_9 Depth=3
	v_lshlrev_b64 v[12:13], 3, v[8:9]
	v_mov_b32_e32 v14, 0
	v_mov_b32_e32 v15, 0
	s_mov_b32 s48, exec_lo
	s_delay_alu instid0(VALU_DEP_3) | instskip(NEXT) | instid1(VALU_DEP_4)
	v_add_co_u32 v12, vcc_lo, s28, v12
	v_add_co_ci_u32_e32 v13, vcc_lo, s29, v13, vcc_lo
	global_load_b64 v[12:13], v[12:13], off
	s_waitcnt vmcnt(0)
	v_cmpx_lg_f64_e32 0, v[12:13]
; %bb.19:                               ;   in Loop: Header=BB17_9 Depth=3
	v_div_scale_f64 v[14:15], null, v[12:13], v[12:13], v[6:7]
	s_delay_alu instid0(VALU_DEP_1) | instskip(SKIP_2) | instid1(VALU_DEP_1)
	v_rcp_f64_e32 v[27:28], v[14:15]
	s_waitcnt_depctr 0xfff
	v_fma_f64 v[29:30], -v[14:15], v[27:28], 1.0
	v_fma_f64 v[27:28], v[27:28], v[29:30], v[27:28]
	s_delay_alu instid0(VALU_DEP_1) | instskip(NEXT) | instid1(VALU_DEP_1)
	v_fma_f64 v[29:30], -v[14:15], v[27:28], 1.0
	v_fma_f64 v[27:28], v[27:28], v[29:30], v[27:28]
	v_div_scale_f64 v[29:30], vcc_lo, v[6:7], v[12:13], v[6:7]
	s_delay_alu instid0(VALU_DEP_1) | instskip(NEXT) | instid1(VALU_DEP_1)
	v_mul_f64 v[31:32], v[29:30], v[27:28]
	v_fma_f64 v[14:15], -v[14:15], v[31:32], v[29:30]
	s_delay_alu instid0(VALU_DEP_1) | instskip(NEXT) | instid1(VALU_DEP_1)
	v_div_fmas_f64 v[14:15], v[14:15], v[27:28], v[31:32]
	v_div_fixup_f64 v[14:15], v[14:15], v[12:13], v[6:7]
; %bb.20:                               ;   in Loop: Header=BB17_9 Depth=3
	s_or_b32 exec_lo, exec_lo, s48
	s_delay_alu instid0(VALU_DEP_1)
	v_dual_mov_b32 v6, v14 :: v_dual_mov_b32 v7, v15
.LBB17_21:                              ;   in Loop: Header=BB17_9 Depth=3
	s_or_b32 exec_lo, exec_lo, s47
	s_delay_alu instid0(VALU_DEP_1) | instskip(NEXT) | instid1(VALU_DEP_1)
	v_cmp_class_f64_e64 s48, v[6:7], 0x1f8
	s_and_saveexec_b32 s47, s48
	s_cbranch_execz .LBB17_8
; %bb.22:                               ;   in Loop: Header=BB17_9 Depth=3
	s_mov_b32 s48, 0
                                        ; implicit-def: $vgpr12_vgpr13
	s_and_saveexec_b32 s49, s3
	s_delay_alu instid0(SALU_CYCLE_1)
	s_xor_b32 s3, exec_lo, s49
	s_cbranch_execnz .LBB17_25
; %bb.23:                               ;   in Loop: Header=BB17_9 Depth=3
	s_and_not1_saveexec_b32 s3, s3
	s_cbranch_execnz .LBB17_38
.LBB17_24:                              ;   in Loop: Header=BB17_9 Depth=3
	s_or_b32 exec_lo, exec_lo, s3
	s_delay_alu instid0(SALU_CYCLE_1)
	s_and_b32 exec_lo, exec_lo, s48
	s_cbranch_execz .LBB17_8
	s_branch .LBB17_47
.LBB17_25:                              ;   in Loop: Header=BB17_9 Depth=3
	s_mov_b32 s49, exec_lo
                                        ; implicit-def: $vgpr12_vgpr13
	v_cmpx_ge_i32_e64 v2, v8
	s_xor_b32 s49, exec_lo, s49
; %bb.26:                               ;   in Loop: Header=BB17_9 Depth=3
	v_lshlrev_b64 v[8:9], 3, v[8:9]
	s_mov_b32 s48, exec_lo
                                        ; implicit-def: $vgpr11
                                        ; implicit-def: $vgpr26
                                        ; implicit-def: $vgpr10
	s_delay_alu instid0(VALU_DEP_1) | instskip(NEXT) | instid1(VALU_DEP_2)
	v_add_co_u32 v12, vcc_lo, s30, v8
	v_add_co_ci_u32_e32 v13, vcc_lo, s31, v9, vcc_lo
; %bb.27:                               ;   in Loop: Header=BB17_9 Depth=3
	s_and_not1_saveexec_b32 s49, s49
	s_cbranch_execz .LBB17_37
; %bb.28:                               ;   in Loop: Header=BB17_9 Depth=3
	s_mov_b32 s51, s48
	s_mov_b32 s50, exec_lo
                                        ; implicit-def: $vgpr12_vgpr13
	v_cmpx_lt_i32_e64 v11, v26
	s_cbranch_execz .LBB17_36
; %bb.29:                               ;   in Loop: Header=BB17_9 Depth=3
	s_mov_b32 s52, 0
                                        ; implicit-def: $sgpr51
                                        ; implicit-def: $sgpr54
                                        ; implicit-def: $sgpr53
	s_set_inst_prefetch_distance 0x1
	s_branch .LBB17_31
	.p2align	6
.LBB17_30:                              ;   in Loop: Header=BB17_31 Depth=4
	s_or_b32 exec_lo, exec_lo, s55
	s_delay_alu instid0(SALU_CYCLE_1) | instskip(NEXT) | instid1(SALU_CYCLE_1)
	s_and_b32 s55, exec_lo, s54
	s_or_b32 s52, s55, s52
	s_and_not1_b32 s51, s51, exec_lo
	s_and_b32 s55, s53, exec_lo
	s_delay_alu instid0(SALU_CYCLE_1)
	s_or_b32 s51, s51, s55
	s_and_not1_b32 exec_lo, exec_lo, s52
	s_cbranch_execz .LBB17_33
.LBB17_31:                              ;   Parent Loop BB17_3 Depth=1
                                        ;     Parent Loop BB17_5 Depth=2
                                        ;       Parent Loop BB17_9 Depth=3
                                        ; =>      This Inner Loop Header: Depth=4
	v_add_nc_u32_e32 v8, v10, v11
	s_or_b32 s53, s53, exec_lo
	s_or_b32 s54, s54, exec_lo
	s_mov_b32 s55, exec_lo
	s_delay_alu instid0(VALU_DEP_1) | instskip(NEXT) | instid1(VALU_DEP_1)
	v_ashrrev_i32_e32 v9, 31, v8
	v_lshlrev_b64 v[12:13], 2, v[8:9]
	s_delay_alu instid0(VALU_DEP_1) | instskip(NEXT) | instid1(VALU_DEP_2)
	v_add_co_u32 v12, vcc_lo, s8, v12
	v_add_co_ci_u32_e32 v13, vcc_lo, s9, v13, vcc_lo
	global_load_b32 v0, v[12:13], off
	s_waitcnt vmcnt(0)
	v_subrev_nc_u32_e32 v0, s42, v0
	s_delay_alu instid0(VALU_DEP_1)
	v_cmpx_ne_u32_e64 v0, v2
	s_cbranch_execz .LBB17_30
; %bb.32:                               ;   in Loop: Header=BB17_31 Depth=4
	v_add_nc_u32_e32 v11, 1, v11
	s_and_not1_b32 s54, s54, exec_lo
	s_and_not1_b32 s53, s53, exec_lo
	s_delay_alu instid0(VALU_DEP_1) | instskip(SKIP_1) | instid1(SALU_CYCLE_1)
	v_cmp_ge_i32_e32 vcc_lo, v11, v26
	s_and_b32 s56, vcc_lo, exec_lo
	s_or_b32 s54, s54, s56
	s_branch .LBB17_30
.LBB17_33:                              ;   in Loop: Header=BB17_9 Depth=3
	s_set_inst_prefetch_distance 0x2
	s_or_b32 exec_lo, exec_lo, s52
	s_mov_b32 s52, s48
                                        ; implicit-def: $vgpr12_vgpr13
	s_and_saveexec_b32 s53, s51
	s_delay_alu instid0(SALU_CYCLE_1)
	s_xor_b32 s51, exec_lo, s53
; %bb.34:                               ;   in Loop: Header=BB17_9 Depth=3
	v_lshlrev_b64 v[8:9], 3, v[8:9]
	s_or_b32 s52, s48, exec_lo
	s_delay_alu instid0(VALU_DEP_1) | instskip(NEXT) | instid1(VALU_DEP_2)
	v_add_co_u32 v12, vcc_lo, s36, v8
	v_add_co_ci_u32_e32 v13, vcc_lo, s37, v9, vcc_lo
; %bb.35:                               ;   in Loop: Header=BB17_9 Depth=3
	s_or_b32 exec_lo, exec_lo, s51
	s_delay_alu instid0(SALU_CYCLE_1) | instskip(SKIP_1) | instid1(SALU_CYCLE_1)
	s_and_not1_b32 s51, s48, exec_lo
	s_and_b32 s52, s52, exec_lo
	s_or_b32 s51, s51, s52
.LBB17_36:                              ;   in Loop: Header=BB17_9 Depth=3
	s_or_b32 exec_lo, exec_lo, s50
	s_delay_alu instid0(SALU_CYCLE_1) | instskip(SKIP_1) | instid1(SALU_CYCLE_1)
	s_and_not1_b32 s48, s48, exec_lo
	s_and_b32 s50, s51, exec_lo
	s_or_b32 s48, s48, s50
.LBB17_37:                              ;   in Loop: Header=BB17_9 Depth=3
	s_or_b32 exec_lo, exec_lo, s49
	s_delay_alu instid0(SALU_CYCLE_1)
	s_and_b32 s48, s48, exec_lo
                                        ; implicit-def: $vgpr8_vgpr9
	s_and_not1_saveexec_b32 s3, s3
	s_cbranch_execz .LBB17_24
.LBB17_38:                              ;   in Loop: Header=BB17_9 Depth=3
	s_mov_b32 s50, s48
	s_mov_b32 s49, exec_lo
                                        ; implicit-def: $vgpr12_vgpr13
	v_cmpx_lt_i32_e64 v0, v21
	s_cbranch_execz .LBB17_46
; %bb.39:                               ;   in Loop: Header=BB17_9 Depth=3
	s_mov_b32 s51, 0
                                        ; implicit-def: $sgpr50
                                        ; implicit-def: $sgpr53
                                        ; implicit-def: $sgpr52
	s_set_inst_prefetch_distance 0x1
	s_branch .LBB17_41
	.p2align	6
.LBB17_40:                              ;   in Loop: Header=BB17_41 Depth=4
	s_or_b32 exec_lo, exec_lo, s54
	s_delay_alu instid0(SALU_CYCLE_1) | instskip(NEXT) | instid1(SALU_CYCLE_1)
	s_and_b32 s54, exec_lo, s53
	s_or_b32 s51, s54, s51
	s_and_not1_b32 s50, s50, exec_lo
	s_and_b32 s54, s52, exec_lo
	s_delay_alu instid0(SALU_CYCLE_1)
	s_or_b32 s50, s50, s54
	s_and_not1_b32 exec_lo, exec_lo, s51
	s_cbranch_execz .LBB17_43
.LBB17_41:                              ;   Parent Loop BB17_3 Depth=1
                                        ;     Parent Loop BB17_5 Depth=2
                                        ;       Parent Loop BB17_9 Depth=3
                                        ; =>      This Inner Loop Header: Depth=4
	v_add_nc_u32_e32 v9, v5, v0
	s_or_b32 s52, s52, exec_lo
	s_or_b32 s53, s53, exec_lo
	s_mov_b32 s54, exec_lo
	s_delay_alu instid0(VALU_DEP_1) | instskip(NEXT) | instid1(VALU_DEP_1)
	v_ashrrev_i32_e32 v10, 31, v9
	v_lshlrev_b64 v[11:12], 2, v[9:10]
	s_delay_alu instid0(VALU_DEP_1) | instskip(NEXT) | instid1(VALU_DEP_2)
	v_add_co_u32 v11, vcc_lo, s16, v11
	v_add_co_ci_u32_e32 v12, vcc_lo, s17, v12, vcc_lo
	global_load_b32 v4, v[11:12], off
	s_waitcnt vmcnt(0)
	v_subrev_nc_u32_e32 v4, s41, v4
	s_delay_alu instid0(VALU_DEP_1)
	v_cmpx_ne_u32_e64 v4, v8
	s_cbranch_execz .LBB17_40
; %bb.42:                               ;   in Loop: Header=BB17_41 Depth=4
	v_add_nc_u32_e32 v0, 1, v0
	s_and_not1_b32 s53, s53, exec_lo
	s_and_not1_b32 s52, s52, exec_lo
	s_delay_alu instid0(VALU_DEP_1) | instskip(SKIP_1) | instid1(SALU_CYCLE_1)
	v_cmp_ge_i32_e32 vcc_lo, v0, v21
	s_and_b32 s55, vcc_lo, exec_lo
	s_or_b32 s53, s53, s55
	s_branch .LBB17_40
.LBB17_43:                              ;   in Loop: Header=BB17_9 Depth=3
	s_set_inst_prefetch_distance 0x2
	s_or_b32 exec_lo, exec_lo, s51
	s_mov_b32 s51, s48
                                        ; implicit-def: $vgpr12_vgpr13
	s_and_saveexec_b32 s52, s50
	s_delay_alu instid0(SALU_CYCLE_1)
	s_xor_b32 s50, exec_lo, s52
; %bb.44:                               ;   in Loop: Header=BB17_9 Depth=3
	v_lshlrev_b64 v[8:9], 3, v[9:10]
	s_or_b32 s51, s48, exec_lo
	s_delay_alu instid0(VALU_DEP_1) | instskip(NEXT) | instid1(VALU_DEP_2)
	v_add_co_u32 v12, vcc_lo, s38, v8
	v_add_co_ci_u32_e32 v13, vcc_lo, s39, v9, vcc_lo
; %bb.45:                               ;   in Loop: Header=BB17_9 Depth=3
	s_or_b32 exec_lo, exec_lo, s50
	s_delay_alu instid0(SALU_CYCLE_1) | instskip(SKIP_1) | instid1(SALU_CYCLE_1)
	s_and_not1_b32 s50, s48, exec_lo
	s_and_b32 s51, s51, exec_lo
	s_or_b32 s50, s50, s51
.LBB17_46:                              ;   in Loop: Header=BB17_9 Depth=3
	s_or_b32 exec_lo, exec_lo, s49
	s_delay_alu instid0(SALU_CYCLE_1) | instskip(SKIP_1) | instid1(SALU_CYCLE_1)
	s_and_not1_b32 s48, s48, exec_lo
	s_and_b32 s49, s50, exec_lo
	s_or_b32 s48, s48, s49
	s_or_b32 exec_lo, exec_lo, s3
	s_delay_alu instid0(SALU_CYCLE_1)
	s_and_b32 exec_lo, exec_lo, s48
	s_cbranch_execz .LBB17_8
.LBB17_47:                              ;   in Loop: Header=BB17_9 Depth=3
	global_store_b64 v[12:13], v[6:7], off
	s_branch .LBB17_8
.LBB17_48:                              ;   in Loop: Header=BB17_3 Depth=1
	s_and_saveexec_b32 s3, s0
	s_cbranch_execz .LBB17_2
; %bb.49:                               ;   in Loop: Header=BB17_3 Depth=1
	v_mov_b32_e32 v2, v16
	s_mov_b32 s44, 0
	s_branch .LBB17_51
.LBB17_50:                              ;   in Loop: Header=BB17_51 Depth=2
	s_or_b32 exec_lo, exec_lo, s45
	v_add_nc_u32_e32 v2, 0x80, v2
	s_delay_alu instid0(VALU_DEP_1) | instskip(SKIP_1) | instid1(SALU_CYCLE_1)
	v_cmp_le_u32_e32 vcc_lo, s43, v2
	s_or_b32 s44, vcc_lo, s44
	s_and_not1_b32 exec_lo, exec_lo, s44
	s_cbranch_execz .LBB17_2
.LBB17_51:                              ;   Parent Loop BB17_3 Depth=1
                                        ; =>  This Loop Header: Depth=2
                                        ;       Child Loop BB17_54 Depth 3
                                        ;       Child Loop BB17_57 Depth 3
	s_mov_b32 s45, exec_lo
	s_delay_alu instid0(VALU_DEP_1)
	v_cmpx_gt_i32_e64 s35, v2
	s_cbranch_execz .LBB17_50
; %bb.52:                               ;   in Loop: Header=BB17_51 Depth=2
	v_ashrrev_i32_e32 v3, 31, v2
	s_mov_b32 s46, exec_lo
	s_delay_alu instid0(VALU_DEP_1) | instskip(NEXT) | instid1(VALU_DEP_1)
	v_lshlrev_b64 v[4:5], 2, v[2:3]
	v_add_co_u32 v6, vcc_lo, s12, v4
	s_delay_alu instid0(VALU_DEP_2)
	v_add_co_ci_u32_e32 v7, vcc_lo, s13, v5, vcc_lo
	v_add_co_u32 v8, vcc_lo, s14, v4
	v_add_co_ci_u32_e32 v9, vcc_lo, s15, v5, vcc_lo
	global_load_b32 v0, v[6:7], off
	global_load_b32 v7, v[8:9], off
	s_waitcnt vmcnt(1)
	v_add_nc_u32_e32 v6, v18, v0
	s_waitcnt vmcnt(0)
	v_subrev_nc_u32_e32 v0, s41, v7
	s_delay_alu instid0(VALU_DEP_1)
	v_cmpx_lt_i32_e64 v6, v0
	s_cbranch_execz .LBB17_55
; %bb.53:                               ;   in Loop: Header=BB17_51 Depth=2
	v_ashrrev_i32_e32 v7, 31, v6
	s_mov_b32 s47, 0
	s_delay_alu instid0(VALU_DEP_1) | instskip(NEXT) | instid1(VALU_DEP_1)
	v_lshlrev_b64 v[9:10], 3, v[6:7]
	v_add_co_u32 v7, vcc_lo, s38, v9
	s_delay_alu instid0(VALU_DEP_2)
	v_add_co_ci_u32_e32 v8, vcc_lo, s39, v10, vcc_lo
	v_add_co_u32 v9, vcc_lo, s18, v9
	v_add_co_ci_u32_e32 v10, vcc_lo, s19, v10, vcc_lo
.LBB17_54:                              ;   Parent Loop BB17_3 Depth=1
                                        ;     Parent Loop BB17_51 Depth=2
                                        ; =>    This Inner Loop Header: Depth=3
	global_load_b64 v[11:12], v[7:8], off
	v_add_nc_u32_e32 v6, 8, v6
	v_add_co_u32 v7, vcc_lo, v7, 64
	v_add_co_ci_u32_e32 v8, vcc_lo, 0, v8, vcc_lo
	s_delay_alu instid0(VALU_DEP_3) | instskip(SKIP_4) | instid1(VALU_DEP_1)
	v_cmp_ge_i32_e32 vcc_lo, v6, v0
	s_or_b32 s47, vcc_lo, s47
	s_waitcnt vmcnt(0)
	global_store_b64 v[9:10], v[11:12], off
	v_add_co_u32 v9, s2, v9, 64
	v_add_co_ci_u32_e64 v10, s2, 0, v10, s2
	s_and_not1_b32 exec_lo, exec_lo, s47
	s_cbranch_execnz .LBB17_54
.LBB17_55:                              ;   in Loop: Header=BB17_51 Depth=2
	s_or_b32 exec_lo, exec_lo, s46
	v_add_co_u32 v6, vcc_lo, s4, v4
	v_add_co_ci_u32_e32 v7, vcc_lo, s5, v5, vcc_lo
	v_add_co_u32 v4, vcc_lo, s6, v4
	v_add_co_ci_u32_e32 v5, vcc_lo, s7, v5, vcc_lo
	s_mov_b32 s46, exec_lo
	global_load_b32 v0, v[6:7], off
	global_load_b32 v5, v[4:5], off
	s_waitcnt vmcnt(1)
	v_add_nc_u32_e32 v4, v19, v0
	s_waitcnt vmcnt(0)
	v_subrev_nc_u32_e32 v0, s42, v5
	s_delay_alu instid0(VALU_DEP_1)
	v_cmpx_lt_i32_e64 v4, v0
	s_cbranch_execz .LBB17_58
; %bb.56:                               ;   in Loop: Header=BB17_51 Depth=2
	v_ashrrev_i32_e32 v5, 31, v4
	s_mov_b32 s47, 0
	s_delay_alu instid0(VALU_DEP_1) | instskip(NEXT) | instid1(VALU_DEP_1)
	v_lshlrev_b64 v[7:8], 3, v[4:5]
	v_add_co_u32 v5, vcc_lo, s36, v7
	s_delay_alu instid0(VALU_DEP_2)
	v_add_co_ci_u32_e32 v6, vcc_lo, s37, v8, vcc_lo
	v_add_co_u32 v7, vcc_lo, s10, v7
	v_add_co_ci_u32_e32 v8, vcc_lo, s11, v8, vcc_lo
.LBB17_57:                              ;   Parent Loop BB17_3 Depth=1
                                        ;     Parent Loop BB17_51 Depth=2
                                        ; =>    This Inner Loop Header: Depth=3
	global_load_b64 v[9:10], v[5:6], off
	v_add_nc_u32_e32 v4, 8, v4
	v_add_co_u32 v5, vcc_lo, v5, 64
	v_add_co_ci_u32_e32 v6, vcc_lo, 0, v6, vcc_lo
	s_delay_alu instid0(VALU_DEP_3) | instskip(SKIP_4) | instid1(VALU_DEP_1)
	v_cmp_ge_i32_e32 vcc_lo, v4, v0
	s_or_b32 s47, vcc_lo, s47
	s_waitcnt vmcnt(0)
	global_store_b64 v[7:8], v[9:10], off
	v_add_co_u32 v7, s2, v7, 64
	v_add_co_ci_u32_e64 v8, s2, 0, v8, s2
	s_and_not1_b32 exec_lo, exec_lo, s47
	s_cbranch_execnz .LBB17_57
.LBB17_58:                              ;   in Loop: Header=BB17_51 Depth=2
	s_or_b32 exec_lo, exec_lo, s46
	s_delay_alu instid0(SALU_CYCLE_1)
	s_and_b32 exec_lo, exec_lo, s1
	s_cbranch_execz .LBB17_50
; %bb.59:                               ;   in Loop: Header=BB17_51 Depth=2
	v_lshlrev_b64 v[3:4], 3, v[2:3]
	s_delay_alu instid0(VALU_DEP_1) | instskip(NEXT) | instid1(VALU_DEP_2)
	v_add_co_u32 v5, vcc_lo, s30, v3
	v_add_co_ci_u32_e32 v6, vcc_lo, s31, v4, vcc_lo
	v_add_co_u32 v3, vcc_lo, s28, v3
	v_add_co_ci_u32_e32 v4, vcc_lo, s29, v4, vcc_lo
	global_load_b64 v[5:6], v[5:6], off
	s_waitcnt vmcnt(0)
	global_store_b64 v[3:4], v[5:6], off
	s_branch .LBB17_50
.LBB17_60:
	s_nop 0
	s_sendmsg sendmsg(MSG_DEALLOC_VGPRS)
	s_endpgm
	.section	.rodata,"a",@progbits
	.p2align	6, 0x0
	.amdhsa_kernel _ZN9rocsparseL14kernel_freerunILi1024ELi8EdiiEEvT3_S1_T2_PKS2_S4_PKS1_PKT1_21rocsparse_index_base_S4_S4_S6_PS7_SB_SA_S4_S4_S6_SB_SB_SA_SB_SB_
		.amdhsa_group_segment_fixed_size 0
		.amdhsa_private_segment_fixed_size 0
		.amdhsa_kernarg_size 168
		.amdhsa_user_sgpr_count 15
		.amdhsa_user_sgpr_dispatch_ptr 0
		.amdhsa_user_sgpr_queue_ptr 0
		.amdhsa_user_sgpr_kernarg_segment_ptr 1
		.amdhsa_user_sgpr_dispatch_id 0
		.amdhsa_user_sgpr_private_segment_size 0
		.amdhsa_wavefront_size32 1
		.amdhsa_uses_dynamic_stack 0
		.amdhsa_enable_private_segment 0
		.amdhsa_system_sgpr_workgroup_id_x 1
		.amdhsa_system_sgpr_workgroup_id_y 0
		.amdhsa_system_sgpr_workgroup_id_z 0
		.amdhsa_system_sgpr_workgroup_info 0
		.amdhsa_system_vgpr_workitem_id 0
		.amdhsa_next_free_vgpr 34
		.amdhsa_next_free_sgpr 57
		.amdhsa_reserve_vcc 1
		.amdhsa_float_round_mode_32 0
		.amdhsa_float_round_mode_16_64 0
		.amdhsa_float_denorm_mode_32 3
		.amdhsa_float_denorm_mode_16_64 3
		.amdhsa_dx10_clamp 1
		.amdhsa_ieee_mode 1
		.amdhsa_fp16_overflow 0
		.amdhsa_workgroup_processor_mode 1
		.amdhsa_memory_ordered 1
		.amdhsa_forward_progress 0
		.amdhsa_shared_vgpr_count 0
		.amdhsa_exception_fp_ieee_invalid_op 0
		.amdhsa_exception_fp_denorm_src 0
		.amdhsa_exception_fp_ieee_div_zero 0
		.amdhsa_exception_fp_ieee_overflow 0
		.amdhsa_exception_fp_ieee_underflow 0
		.amdhsa_exception_fp_ieee_inexact 0
		.amdhsa_exception_int_div_zero 0
	.end_amdhsa_kernel
	.section	.text._ZN9rocsparseL14kernel_freerunILi1024ELi8EdiiEEvT3_S1_T2_PKS2_S4_PKS1_PKT1_21rocsparse_index_base_S4_S4_S6_PS7_SB_SA_S4_S4_S6_SB_SB_SA_SB_SB_,"axG",@progbits,_ZN9rocsparseL14kernel_freerunILi1024ELi8EdiiEEvT3_S1_T2_PKS2_S4_PKS1_PKT1_21rocsparse_index_base_S4_S4_S6_PS7_SB_SA_S4_S4_S6_SB_SB_SA_SB_SB_,comdat
.Lfunc_end17:
	.size	_ZN9rocsparseL14kernel_freerunILi1024ELi8EdiiEEvT3_S1_T2_PKS2_S4_PKS1_PKT1_21rocsparse_index_base_S4_S4_S6_PS7_SB_SA_S4_S4_S6_SB_SB_SA_SB_SB_, .Lfunc_end17-_ZN9rocsparseL14kernel_freerunILi1024ELi8EdiiEEvT3_S1_T2_PKS2_S4_PKS1_PKT1_21rocsparse_index_base_S4_S4_S6_PS7_SB_SA_S4_S4_S6_SB_SB_SA_SB_SB_
                                        ; -- End function
	.section	.AMDGPU.csdata,"",@progbits
; Kernel info:
; codeLenInByte = 2588
; NumSgprs: 59
; NumVgprs: 34
; ScratchSize: 0
; MemoryBound: 1
; FloatMode: 240
; IeeeMode: 1
; LDSByteSize: 0 bytes/workgroup (compile time only)
; SGPRBlocks: 7
; VGPRBlocks: 4
; NumSGPRsForWavesPerEU: 59
; NumVGPRsForWavesPerEU: 34
; Occupancy: 16
; WaveLimiterHint : 1
; COMPUTE_PGM_RSRC2:SCRATCH_EN: 0
; COMPUTE_PGM_RSRC2:USER_SGPR: 15
; COMPUTE_PGM_RSRC2:TRAP_HANDLER: 0
; COMPUTE_PGM_RSRC2:TGID_X_EN: 1
; COMPUTE_PGM_RSRC2:TGID_Y_EN: 0
; COMPUTE_PGM_RSRC2:TGID_Z_EN: 0
; COMPUTE_PGM_RSRC2:TIDIG_COMP_CNT: 0
	.section	.text._ZN9rocsparseL14kernel_freerunILi1024ELi16EdiiEEvT3_S1_T2_PKS2_S4_PKS1_PKT1_21rocsparse_index_base_S4_S4_S6_PS7_SB_SA_S4_S4_S6_SB_SB_SA_SB_SB_,"axG",@progbits,_ZN9rocsparseL14kernel_freerunILi1024ELi16EdiiEEvT3_S1_T2_PKS2_S4_PKS1_PKT1_21rocsparse_index_base_S4_S4_S6_PS7_SB_SA_S4_S4_S6_SB_SB_SA_SB_SB_,comdat
	.globl	_ZN9rocsparseL14kernel_freerunILi1024ELi16EdiiEEvT3_S1_T2_PKS2_S4_PKS1_PKT1_21rocsparse_index_base_S4_S4_S6_PS7_SB_SA_S4_S4_S6_SB_SB_SA_SB_SB_ ; -- Begin function _ZN9rocsparseL14kernel_freerunILi1024ELi16EdiiEEvT3_S1_T2_PKS2_S4_PKS1_PKT1_21rocsparse_index_base_S4_S4_S6_PS7_SB_SA_S4_S4_S6_SB_SB_SA_SB_SB_
	.p2align	8
	.type	_ZN9rocsparseL14kernel_freerunILi1024ELi16EdiiEEvT3_S1_T2_PKS2_S4_PKS1_PKT1_21rocsparse_index_base_S4_S4_S6_PS7_SB_SA_S4_S4_S6_SB_SB_SA_SB_SB_,@function
_ZN9rocsparseL14kernel_freerunILi1024ELi16EdiiEEvT3_S1_T2_PKS2_S4_PKS1_PKT1_21rocsparse_index_base_S4_S4_S6_PS7_SB_SA_S4_S4_S6_SB_SB_SA_SB_SB_: ; @_ZN9rocsparseL14kernel_freerunILi1024ELi16EdiiEEvT3_S1_T2_PKS2_S4_PKS1_PKT1_21rocsparse_index_base_S4_S4_S6_PS7_SB_SA_S4_S4_S6_SB_SB_SA_SB_SB_
; %bb.0:
	s_load_b64 s[34:35], s[0:1], 0x0
	v_lshrrev_b32_e32 v1, 4, v0
	s_lshl_b32 s43, s15, 10
	s_mov_b32 s33, 0
	s_delay_alu instid0(VALU_DEP_1) | instskip(SKIP_1) | instid1(VALU_DEP_1)
	v_or_b32_e32 v16, s43, v1
	s_waitcnt lgkmcnt(0)
	v_cmp_gt_i32_e32 vcc_lo, s35, v16
	s_cmp_gt_i32 s34, 0
	s_cselect_b32 s2, -1, 0
	s_delay_alu instid0(SALU_CYCLE_1) | instskip(NEXT) | instid1(SALU_CYCLE_1)
	s_and_b32 s2, vcc_lo, s2
	s_and_saveexec_b32 s3, s2
	s_cbranch_execz .LBB18_60
; %bb.1:
	s_clause 0x8
	s_load_b32 s40, s[0:1], 0x30
	s_load_b32 s41, s[0:1], 0x60
	;; [unrolled: 1-line block ×3, first 2 shown]
	s_load_b64 s[36:37], s[0:1], 0x88
	s_load_b64 s[38:39], s[0:1], 0x58
	s_load_b128 s[28:31], s[0:1], 0x98
	s_load_b256 s[4:11], s[0:1], 0x68
	s_load_b256 s[12:19], s[0:1], 0x38
	;; [unrolled: 1-line block ×3, first 2 shown]
	v_dual_mov_b32 v1, 0 :: v_dual_and_b32 v0, 15, v0
	s_addk_i32 s43, 0x400
	s_delay_alu instid0(SALU_CYCLE_1) | instskip(NEXT) | instid1(VALU_DEP_2)
	v_cmp_gt_u32_e64 s0, s43, v16
	v_cmp_eq_u32_e64 s1, 0, v0
	s_waitcnt lgkmcnt(0)
	v_subrev_nc_u32_e32 v17, s40, v0
	v_subrev_nc_u32_e32 v18, s41, v0
	;; [unrolled: 1-line block ×3, first 2 shown]
	s_branch .LBB18_3
.LBB18_2:                               ;   in Loop: Header=BB18_3 Depth=1
	s_or_b32 exec_lo, exec_lo, s3
	s_add_i32 s33, s33, 1
	s_delay_alu instid0(SALU_CYCLE_1)
	s_cmp_eq_u32 s33, s34
	s_cbranch_scc1 .LBB18_60
.LBB18_3:                               ; =>This Loop Header: Depth=1
                                        ;     Child Loop BB18_5 Depth 2
                                        ;       Child Loop BB18_9 Depth 3
                                        ;         Child Loop BB18_13 Depth 4
                                        ;         Child Loop BB18_31 Depth 4
	;; [unrolled: 1-line block ×3, first 2 shown]
                                        ;     Child Loop BB18_51 Depth 2
                                        ;       Child Loop BB18_54 Depth 3
                                        ;       Child Loop BB18_57 Depth 3
	s_mov_b32 s44, 0
	s_branch .LBB18_5
.LBB18_4:                               ;   in Loop: Header=BB18_5 Depth=2
	s_or_b32 exec_lo, exec_lo, s45
	s_add_i32 s44, s44, 1
	s_delay_alu instid0(SALU_CYCLE_1)
	s_cmp_eq_u32 s44, 16
	s_cbranch_scc1 .LBB18_48
.LBB18_5:                               ;   Parent Loop BB18_3 Depth=1
                                        ; =>  This Loop Header: Depth=2
                                        ;       Child Loop BB18_9 Depth 3
                                        ;         Child Loop BB18_13 Depth 4
                                        ;         Child Loop BB18_31 Depth 4
	;; [unrolled: 1-line block ×3, first 2 shown]
	v_lshl_add_u32 v2, s44, 6, v16
	s_mov_b32 s45, exec_lo
	s_delay_alu instid0(VALU_DEP_1)
	v_cmpx_gt_i32_e64 s35, v2
	s_cbranch_execz .LBB18_4
; %bb.6:                                ;   in Loop: Header=BB18_5 Depth=2
	v_ashrrev_i32_e32 v3, 31, v2
	s_delay_alu instid0(VALU_DEP_1) | instskip(NEXT) | instid1(VALU_DEP_1)
	v_lshlrev_b64 v[4:5], 2, v[2:3]
	v_add_co_u32 v6, vcc_lo, s20, v4
	s_delay_alu instid0(VALU_DEP_2)
	v_add_co_ci_u32_e32 v7, vcc_lo, s21, v5, vcc_lo
	v_add_co_u32 v8, vcc_lo, s22, v4
	v_add_co_ci_u32_e32 v9, vcc_lo, s23, v5, vcc_lo
	global_load_b32 v0, v[6:7], off
	global_load_b32 v6, v[8:9], off
	s_waitcnt vmcnt(1)
	v_add_nc_u32_e32 v3, v17, v0
	s_waitcnt vmcnt(0)
	v_subrev_nc_u32_e32 v20, s40, v6
	s_delay_alu instid0(VALU_DEP_1)
	v_cmp_lt_i32_e32 vcc_lo, v3, v20
	s_and_b32 exec_lo, exec_lo, vcc_lo
	s_cbranch_execz .LBB18_4
; %bb.7:                                ;   in Loop: Header=BB18_5 Depth=2
	v_add_co_u32 v6, vcc_lo, s12, v4
	v_add_co_ci_u32_e32 v7, vcc_lo, s13, v5, vcc_lo
	v_add_co_u32 v4, vcc_lo, s14, v4
	v_add_co_ci_u32_e32 v5, vcc_lo, s15, v5, vcc_lo
	global_load_b32 v0, v[6:7], off
	s_mov_b32 s46, 0
	global_load_b32 v4, v[4:5], off
	s_waitcnt vmcnt(1)
	v_subrev_nc_u32_e32 v5, s41, v0
	s_waitcnt vmcnt(0)
	v_sub_nc_u32_e32 v21, v4, v0
	s_delay_alu instid0(VALU_DEP_2) | instskip(NEXT) | instid1(VALU_DEP_2)
	v_ashrrev_i32_e32 v6, 31, v5
	v_cmp_lt_i32_e64 s2, 0, v21
	s_delay_alu instid0(VALU_DEP_2) | instskip(SKIP_1) | instid1(VALU_DEP_2)
	v_lshlrev_b64 v[7:8], 2, v[5:6]
	v_lshlrev_b64 v[9:10], 3, v[5:6]
	v_add_co_u32 v22, vcc_lo, s16, v7
	s_delay_alu instid0(VALU_DEP_3) | instskip(NEXT) | instid1(VALU_DEP_3)
	v_add_co_ci_u32_e32 v23, vcc_lo, s17, v8, vcc_lo
	v_add_co_u32 v24, vcc_lo, s18, v9
	s_delay_alu instid0(VALU_DEP_4)
	v_add_co_ci_u32_e32 v25, vcc_lo, s19, v10, vcc_lo
	s_branch .LBB18_9
.LBB18_8:                               ;   in Loop: Header=BB18_9 Depth=3
	s_or_b32 exec_lo, exec_lo, s47
	v_add_nc_u32_e32 v3, 16, v3
	s_delay_alu instid0(VALU_DEP_1) | instskip(SKIP_1) | instid1(SALU_CYCLE_1)
	v_cmp_ge_i32_e32 vcc_lo, v3, v20
	s_or_b32 s46, vcc_lo, s46
	s_and_not1_b32 exec_lo, exec_lo, s46
	s_cbranch_execz .LBB18_4
.LBB18_9:                               ;   Parent Loop BB18_3 Depth=1
                                        ;     Parent Loop BB18_5 Depth=2
                                        ; =>    This Loop Header: Depth=3
                                        ;         Child Loop BB18_13 Depth 4
                                        ;         Child Loop BB18_31 Depth 4
	;; [unrolled: 1-line block ×3, first 2 shown]
	v_ashrrev_i32_e32 v4, 31, v3
	s_delay_alu instid0(VALU_DEP_1) | instskip(NEXT) | instid1(VALU_DEP_1)
	v_lshlrev_b64 v[6:7], 2, v[3:4]
	v_add_co_u32 v6, vcc_lo, s24, v6
	s_delay_alu instid0(VALU_DEP_2) | instskip(SKIP_3) | instid1(VALU_DEP_1)
	v_add_co_ci_u32_e32 v7, vcc_lo, s25, v7, vcc_lo
	global_load_b32 v0, v[6:7], off
	s_waitcnt vmcnt(0)
	v_subrev_nc_u32_e32 v8, s40, v0
	v_ashrrev_i32_e32 v9, 31, v8
	s_delay_alu instid0(VALU_DEP_1) | instskip(NEXT) | instid1(VALU_DEP_1)
	v_lshlrev_b64 v[6:7], 2, v[8:9]
	v_add_co_u32 v10, vcc_lo, s4, v6
	s_delay_alu instid0(VALU_DEP_2)
	v_add_co_ci_u32_e32 v11, vcc_lo, s5, v7, vcc_lo
	v_add_co_u32 v6, vcc_lo, s6, v6
	v_add_co_ci_u32_e32 v7, vcc_lo, s7, v7, vcc_lo
	global_load_b32 v0, v[10:11], off
	global_load_b32 v12, v[6:7], off
	v_dual_mov_b32 v6, 0 :: v_dual_mov_b32 v11, 0
	v_mov_b32_e32 v7, 0
	s_waitcnt vmcnt(1)
	v_subrev_nc_u32_e32 v10, s42, v0
	s_waitcnt vmcnt(0)
	v_sub_nc_u32_e32 v26, v12, v0
	v_mov_b32_e32 v0, 0
	s_and_saveexec_b32 s47, s2
	s_cbranch_execz .LBB18_17
; %bb.10:                               ;   in Loop: Header=BB18_9 Depth=3
	v_ashrrev_i32_e32 v11, 31, v10
	v_mov_b32_e32 v0, 0
	s_mov_b32 s48, 0
                                        ; implicit-def: $sgpr49
	s_delay_alu instid0(VALU_DEP_2) | instskip(SKIP_1) | instid1(VALU_DEP_2)
	v_lshlrev_b64 v[6:7], 2, v[10:11]
	v_lshlrev_b64 v[11:12], 3, v[10:11]
	v_add_co_u32 v13, vcc_lo, s8, v6
	s_delay_alu instid0(VALU_DEP_3) | instskip(NEXT) | instid1(VALU_DEP_3)
	v_add_co_ci_u32_e32 v14, vcc_lo, s9, v7, vcc_lo
	v_add_co_u32 v15, vcc_lo, s10, v11
	v_mov_b32_e32 v6, 0
	v_add_co_ci_u32_e32 v27, vcc_lo, s11, v12, vcc_lo
	v_mov_b32_e32 v7, 0
	v_mov_b32_e32 v11, v0
	s_branch .LBB18_13
.LBB18_11:                              ;   in Loop: Header=BB18_13 Depth=4
	s_or_b32 exec_lo, exec_lo, s3
	v_cmp_le_i32_e32 vcc_lo, v28, v29
	v_cmp_ge_i32_e64 s3, v28, v29
	v_add_co_ci_u32_e32 v0, vcc_lo, 0, v0, vcc_lo
	s_delay_alu instid0(VALU_DEP_2) | instskip(SKIP_1) | instid1(VALU_DEP_2)
	v_add_co_ci_u32_e64 v11, s3, 0, v11, s3
	s_and_not1_b32 s3, s49, exec_lo
	v_cmp_ge_i32_e32 vcc_lo, v0, v21
	s_and_b32 s49, vcc_lo, exec_lo
	s_delay_alu instid0(SALU_CYCLE_1)
	s_or_b32 s49, s3, s49
.LBB18_12:                              ;   in Loop: Header=BB18_13 Depth=4
	s_or_b32 exec_lo, exec_lo, s50
	s_delay_alu instid0(SALU_CYCLE_1) | instskip(NEXT) | instid1(SALU_CYCLE_1)
	s_and_b32 s3, exec_lo, s49
	s_or_b32 s48, s3, s48
	s_delay_alu instid0(SALU_CYCLE_1)
	s_and_not1_b32 exec_lo, exec_lo, s48
	s_cbranch_execz .LBB18_16
.LBB18_13:                              ;   Parent Loop BB18_3 Depth=1
                                        ;     Parent Loop BB18_5 Depth=2
                                        ;       Parent Loop BB18_9 Depth=3
                                        ; =>      This Inner Loop Header: Depth=4
	s_or_b32 s49, s49, exec_lo
	s_mov_b32 s50, exec_lo
	s_delay_alu instid0(VALU_DEP_1)
	v_cmpx_lt_i32_e64 v11, v26
	s_cbranch_execz .LBB18_12
; %bb.14:                               ;   in Loop: Header=BB18_13 Depth=4
	v_mov_b32_e32 v12, v1
	v_lshlrev_b64 v[28:29], 2, v[0:1]
	s_mov_b32 s3, exec_lo
	s_delay_alu instid0(VALU_DEP_2) | instskip(NEXT) | instid1(VALU_DEP_2)
	v_lshlrev_b64 v[30:31], 2, v[11:12]
	v_add_co_u32 v28, vcc_lo, v22, v28
	s_delay_alu instid0(VALU_DEP_3) | instskip(NEXT) | instid1(VALU_DEP_3)
	v_add_co_ci_u32_e32 v29, vcc_lo, v23, v29, vcc_lo
	v_add_co_u32 v30, vcc_lo, v13, v30
	s_delay_alu instid0(VALU_DEP_4)
	v_add_co_ci_u32_e32 v31, vcc_lo, v14, v31, vcc_lo
	global_load_b32 v28, v[28:29], off
	global_load_b32 v29, v[30:31], off
	s_waitcnt vmcnt(1)
	v_subrev_nc_u32_e32 v28, s41, v28
	s_waitcnt vmcnt(0)
	v_subrev_nc_u32_e32 v29, s42, v29
	s_delay_alu instid0(VALU_DEP_1)
	v_cmpx_eq_u32_e64 v28, v29
	s_cbranch_execz .LBB18_11
; %bb.15:                               ;   in Loop: Header=BB18_13 Depth=4
	v_lshlrev_b64 v[30:31], 3, v[0:1]
	v_lshlrev_b64 v[32:33], 3, v[11:12]
	s_delay_alu instid0(VALU_DEP_2) | instskip(NEXT) | instid1(VALU_DEP_3)
	v_add_co_u32 v30, vcc_lo, v24, v30
	v_add_co_ci_u32_e32 v31, vcc_lo, v25, v31, vcc_lo
	s_delay_alu instid0(VALU_DEP_3) | instskip(NEXT) | instid1(VALU_DEP_4)
	v_add_co_u32 v32, vcc_lo, v15, v32
	v_add_co_ci_u32_e32 v33, vcc_lo, v27, v33, vcc_lo
	global_load_b64 v[30:31], v[30:31], off
	global_load_b64 v[32:33], v[32:33], off
	s_waitcnt vmcnt(0)
	v_fma_f64 v[6:7], v[30:31], v[32:33], v[6:7]
	s_branch .LBB18_11
.LBB18_16:                              ;   in Loop: Header=BB18_9 Depth=3
	s_or_b32 exec_lo, exec_lo, s48
.LBB18_17:                              ;   in Loop: Header=BB18_9 Depth=3
	s_delay_alu instid0(SALU_CYCLE_1) | instskip(SKIP_3) | instid1(VALU_DEP_2)
	s_or_b32 exec_lo, exec_lo, s47
	v_lshlrev_b64 v[12:13], 3, v[3:4]
	v_cmp_le_i32_e64 s3, v2, v8
	s_mov_b32 s47, exec_lo
	v_add_co_u32 v12, vcc_lo, s26, v12
	s_delay_alu instid0(VALU_DEP_3)
	v_add_co_ci_u32_e32 v13, vcc_lo, s27, v13, vcc_lo
	global_load_b64 v[12:13], v[12:13], off
	s_waitcnt vmcnt(0)
	v_add_f64 v[6:7], v[12:13], -v[6:7]
	v_cmpx_gt_i32_e64 v2, v8
	s_cbranch_execz .LBB18_21
; %bb.18:                               ;   in Loop: Header=BB18_9 Depth=3
	v_lshlrev_b64 v[12:13], 3, v[8:9]
	v_mov_b32_e32 v14, 0
	v_mov_b32_e32 v15, 0
	s_mov_b32 s48, exec_lo
	s_delay_alu instid0(VALU_DEP_3) | instskip(NEXT) | instid1(VALU_DEP_4)
	v_add_co_u32 v12, vcc_lo, s28, v12
	v_add_co_ci_u32_e32 v13, vcc_lo, s29, v13, vcc_lo
	global_load_b64 v[12:13], v[12:13], off
	s_waitcnt vmcnt(0)
	v_cmpx_lg_f64_e32 0, v[12:13]
; %bb.19:                               ;   in Loop: Header=BB18_9 Depth=3
	v_div_scale_f64 v[14:15], null, v[12:13], v[12:13], v[6:7]
	s_delay_alu instid0(VALU_DEP_1) | instskip(SKIP_2) | instid1(VALU_DEP_1)
	v_rcp_f64_e32 v[27:28], v[14:15]
	s_waitcnt_depctr 0xfff
	v_fma_f64 v[29:30], -v[14:15], v[27:28], 1.0
	v_fma_f64 v[27:28], v[27:28], v[29:30], v[27:28]
	s_delay_alu instid0(VALU_DEP_1) | instskip(NEXT) | instid1(VALU_DEP_1)
	v_fma_f64 v[29:30], -v[14:15], v[27:28], 1.0
	v_fma_f64 v[27:28], v[27:28], v[29:30], v[27:28]
	v_div_scale_f64 v[29:30], vcc_lo, v[6:7], v[12:13], v[6:7]
	s_delay_alu instid0(VALU_DEP_1) | instskip(NEXT) | instid1(VALU_DEP_1)
	v_mul_f64 v[31:32], v[29:30], v[27:28]
	v_fma_f64 v[14:15], -v[14:15], v[31:32], v[29:30]
	s_delay_alu instid0(VALU_DEP_1) | instskip(NEXT) | instid1(VALU_DEP_1)
	v_div_fmas_f64 v[14:15], v[14:15], v[27:28], v[31:32]
	v_div_fixup_f64 v[14:15], v[14:15], v[12:13], v[6:7]
; %bb.20:                               ;   in Loop: Header=BB18_9 Depth=3
	s_or_b32 exec_lo, exec_lo, s48
	s_delay_alu instid0(VALU_DEP_1)
	v_dual_mov_b32 v6, v14 :: v_dual_mov_b32 v7, v15
.LBB18_21:                              ;   in Loop: Header=BB18_9 Depth=3
	s_or_b32 exec_lo, exec_lo, s47
	s_delay_alu instid0(VALU_DEP_1) | instskip(NEXT) | instid1(VALU_DEP_1)
	v_cmp_class_f64_e64 s48, v[6:7], 0x1f8
	s_and_saveexec_b32 s47, s48
	s_cbranch_execz .LBB18_8
; %bb.22:                               ;   in Loop: Header=BB18_9 Depth=3
	s_mov_b32 s48, 0
                                        ; implicit-def: $vgpr12_vgpr13
	s_and_saveexec_b32 s49, s3
	s_delay_alu instid0(SALU_CYCLE_1)
	s_xor_b32 s3, exec_lo, s49
	s_cbranch_execnz .LBB18_25
; %bb.23:                               ;   in Loop: Header=BB18_9 Depth=3
	s_and_not1_saveexec_b32 s3, s3
	s_cbranch_execnz .LBB18_38
.LBB18_24:                              ;   in Loop: Header=BB18_9 Depth=3
	s_or_b32 exec_lo, exec_lo, s3
	s_delay_alu instid0(SALU_CYCLE_1)
	s_and_b32 exec_lo, exec_lo, s48
	s_cbranch_execz .LBB18_8
	s_branch .LBB18_47
.LBB18_25:                              ;   in Loop: Header=BB18_9 Depth=3
	s_mov_b32 s49, exec_lo
                                        ; implicit-def: $vgpr12_vgpr13
	v_cmpx_ge_i32_e64 v2, v8
	s_xor_b32 s49, exec_lo, s49
; %bb.26:                               ;   in Loop: Header=BB18_9 Depth=3
	v_lshlrev_b64 v[8:9], 3, v[8:9]
	s_mov_b32 s48, exec_lo
                                        ; implicit-def: $vgpr11
                                        ; implicit-def: $vgpr26
                                        ; implicit-def: $vgpr10
	s_delay_alu instid0(VALU_DEP_1) | instskip(NEXT) | instid1(VALU_DEP_2)
	v_add_co_u32 v12, vcc_lo, s30, v8
	v_add_co_ci_u32_e32 v13, vcc_lo, s31, v9, vcc_lo
; %bb.27:                               ;   in Loop: Header=BB18_9 Depth=3
	s_and_not1_saveexec_b32 s49, s49
	s_cbranch_execz .LBB18_37
; %bb.28:                               ;   in Loop: Header=BB18_9 Depth=3
	s_mov_b32 s51, s48
	s_mov_b32 s50, exec_lo
                                        ; implicit-def: $vgpr12_vgpr13
	v_cmpx_lt_i32_e64 v11, v26
	s_cbranch_execz .LBB18_36
; %bb.29:                               ;   in Loop: Header=BB18_9 Depth=3
	s_mov_b32 s52, 0
                                        ; implicit-def: $sgpr51
                                        ; implicit-def: $sgpr54
                                        ; implicit-def: $sgpr53
	s_set_inst_prefetch_distance 0x1
	s_branch .LBB18_31
	.p2align	6
.LBB18_30:                              ;   in Loop: Header=BB18_31 Depth=4
	s_or_b32 exec_lo, exec_lo, s55
	s_delay_alu instid0(SALU_CYCLE_1) | instskip(NEXT) | instid1(SALU_CYCLE_1)
	s_and_b32 s55, exec_lo, s54
	s_or_b32 s52, s55, s52
	s_and_not1_b32 s51, s51, exec_lo
	s_and_b32 s55, s53, exec_lo
	s_delay_alu instid0(SALU_CYCLE_1)
	s_or_b32 s51, s51, s55
	s_and_not1_b32 exec_lo, exec_lo, s52
	s_cbranch_execz .LBB18_33
.LBB18_31:                              ;   Parent Loop BB18_3 Depth=1
                                        ;     Parent Loop BB18_5 Depth=2
                                        ;       Parent Loop BB18_9 Depth=3
                                        ; =>      This Inner Loop Header: Depth=4
	v_add_nc_u32_e32 v8, v10, v11
	s_or_b32 s53, s53, exec_lo
	s_or_b32 s54, s54, exec_lo
	s_mov_b32 s55, exec_lo
	s_delay_alu instid0(VALU_DEP_1) | instskip(NEXT) | instid1(VALU_DEP_1)
	v_ashrrev_i32_e32 v9, 31, v8
	v_lshlrev_b64 v[12:13], 2, v[8:9]
	s_delay_alu instid0(VALU_DEP_1) | instskip(NEXT) | instid1(VALU_DEP_2)
	v_add_co_u32 v12, vcc_lo, s8, v12
	v_add_co_ci_u32_e32 v13, vcc_lo, s9, v13, vcc_lo
	global_load_b32 v0, v[12:13], off
	s_waitcnt vmcnt(0)
	v_subrev_nc_u32_e32 v0, s42, v0
	s_delay_alu instid0(VALU_DEP_1)
	v_cmpx_ne_u32_e64 v0, v2
	s_cbranch_execz .LBB18_30
; %bb.32:                               ;   in Loop: Header=BB18_31 Depth=4
	v_add_nc_u32_e32 v11, 1, v11
	s_and_not1_b32 s54, s54, exec_lo
	s_and_not1_b32 s53, s53, exec_lo
	s_delay_alu instid0(VALU_DEP_1) | instskip(SKIP_1) | instid1(SALU_CYCLE_1)
	v_cmp_ge_i32_e32 vcc_lo, v11, v26
	s_and_b32 s56, vcc_lo, exec_lo
	s_or_b32 s54, s54, s56
	s_branch .LBB18_30
.LBB18_33:                              ;   in Loop: Header=BB18_9 Depth=3
	s_set_inst_prefetch_distance 0x2
	s_or_b32 exec_lo, exec_lo, s52
	s_mov_b32 s52, s48
                                        ; implicit-def: $vgpr12_vgpr13
	s_and_saveexec_b32 s53, s51
	s_delay_alu instid0(SALU_CYCLE_1)
	s_xor_b32 s51, exec_lo, s53
; %bb.34:                               ;   in Loop: Header=BB18_9 Depth=3
	v_lshlrev_b64 v[8:9], 3, v[8:9]
	s_or_b32 s52, s48, exec_lo
	s_delay_alu instid0(VALU_DEP_1) | instskip(NEXT) | instid1(VALU_DEP_2)
	v_add_co_u32 v12, vcc_lo, s36, v8
	v_add_co_ci_u32_e32 v13, vcc_lo, s37, v9, vcc_lo
; %bb.35:                               ;   in Loop: Header=BB18_9 Depth=3
	s_or_b32 exec_lo, exec_lo, s51
	s_delay_alu instid0(SALU_CYCLE_1) | instskip(SKIP_1) | instid1(SALU_CYCLE_1)
	s_and_not1_b32 s51, s48, exec_lo
	s_and_b32 s52, s52, exec_lo
	s_or_b32 s51, s51, s52
.LBB18_36:                              ;   in Loop: Header=BB18_9 Depth=3
	s_or_b32 exec_lo, exec_lo, s50
	s_delay_alu instid0(SALU_CYCLE_1) | instskip(SKIP_1) | instid1(SALU_CYCLE_1)
	s_and_not1_b32 s48, s48, exec_lo
	s_and_b32 s50, s51, exec_lo
	s_or_b32 s48, s48, s50
.LBB18_37:                              ;   in Loop: Header=BB18_9 Depth=3
	s_or_b32 exec_lo, exec_lo, s49
	s_delay_alu instid0(SALU_CYCLE_1)
	s_and_b32 s48, s48, exec_lo
                                        ; implicit-def: $vgpr8_vgpr9
	s_and_not1_saveexec_b32 s3, s3
	s_cbranch_execz .LBB18_24
.LBB18_38:                              ;   in Loop: Header=BB18_9 Depth=3
	s_mov_b32 s50, s48
	s_mov_b32 s49, exec_lo
                                        ; implicit-def: $vgpr12_vgpr13
	v_cmpx_lt_i32_e64 v0, v21
	s_cbranch_execz .LBB18_46
; %bb.39:                               ;   in Loop: Header=BB18_9 Depth=3
	s_mov_b32 s51, 0
                                        ; implicit-def: $sgpr50
                                        ; implicit-def: $sgpr53
                                        ; implicit-def: $sgpr52
	s_set_inst_prefetch_distance 0x1
	s_branch .LBB18_41
	.p2align	6
.LBB18_40:                              ;   in Loop: Header=BB18_41 Depth=4
	s_or_b32 exec_lo, exec_lo, s54
	s_delay_alu instid0(SALU_CYCLE_1) | instskip(NEXT) | instid1(SALU_CYCLE_1)
	s_and_b32 s54, exec_lo, s53
	s_or_b32 s51, s54, s51
	s_and_not1_b32 s50, s50, exec_lo
	s_and_b32 s54, s52, exec_lo
	s_delay_alu instid0(SALU_CYCLE_1)
	s_or_b32 s50, s50, s54
	s_and_not1_b32 exec_lo, exec_lo, s51
	s_cbranch_execz .LBB18_43
.LBB18_41:                              ;   Parent Loop BB18_3 Depth=1
                                        ;     Parent Loop BB18_5 Depth=2
                                        ;       Parent Loop BB18_9 Depth=3
                                        ; =>      This Inner Loop Header: Depth=4
	v_add_nc_u32_e32 v9, v5, v0
	s_or_b32 s52, s52, exec_lo
	s_or_b32 s53, s53, exec_lo
	s_mov_b32 s54, exec_lo
	s_delay_alu instid0(VALU_DEP_1) | instskip(NEXT) | instid1(VALU_DEP_1)
	v_ashrrev_i32_e32 v10, 31, v9
	v_lshlrev_b64 v[11:12], 2, v[9:10]
	s_delay_alu instid0(VALU_DEP_1) | instskip(NEXT) | instid1(VALU_DEP_2)
	v_add_co_u32 v11, vcc_lo, s16, v11
	v_add_co_ci_u32_e32 v12, vcc_lo, s17, v12, vcc_lo
	global_load_b32 v4, v[11:12], off
	s_waitcnt vmcnt(0)
	v_subrev_nc_u32_e32 v4, s41, v4
	s_delay_alu instid0(VALU_DEP_1)
	v_cmpx_ne_u32_e64 v4, v8
	s_cbranch_execz .LBB18_40
; %bb.42:                               ;   in Loop: Header=BB18_41 Depth=4
	v_add_nc_u32_e32 v0, 1, v0
	s_and_not1_b32 s53, s53, exec_lo
	s_and_not1_b32 s52, s52, exec_lo
	s_delay_alu instid0(VALU_DEP_1) | instskip(SKIP_1) | instid1(SALU_CYCLE_1)
	v_cmp_ge_i32_e32 vcc_lo, v0, v21
	s_and_b32 s55, vcc_lo, exec_lo
	s_or_b32 s53, s53, s55
	s_branch .LBB18_40
.LBB18_43:                              ;   in Loop: Header=BB18_9 Depth=3
	s_set_inst_prefetch_distance 0x2
	s_or_b32 exec_lo, exec_lo, s51
	s_mov_b32 s51, s48
                                        ; implicit-def: $vgpr12_vgpr13
	s_and_saveexec_b32 s52, s50
	s_delay_alu instid0(SALU_CYCLE_1)
	s_xor_b32 s50, exec_lo, s52
; %bb.44:                               ;   in Loop: Header=BB18_9 Depth=3
	v_lshlrev_b64 v[8:9], 3, v[9:10]
	s_or_b32 s51, s48, exec_lo
	s_delay_alu instid0(VALU_DEP_1) | instskip(NEXT) | instid1(VALU_DEP_2)
	v_add_co_u32 v12, vcc_lo, s38, v8
	v_add_co_ci_u32_e32 v13, vcc_lo, s39, v9, vcc_lo
; %bb.45:                               ;   in Loop: Header=BB18_9 Depth=3
	s_or_b32 exec_lo, exec_lo, s50
	s_delay_alu instid0(SALU_CYCLE_1) | instskip(SKIP_1) | instid1(SALU_CYCLE_1)
	s_and_not1_b32 s50, s48, exec_lo
	s_and_b32 s51, s51, exec_lo
	s_or_b32 s50, s50, s51
.LBB18_46:                              ;   in Loop: Header=BB18_9 Depth=3
	s_or_b32 exec_lo, exec_lo, s49
	s_delay_alu instid0(SALU_CYCLE_1) | instskip(SKIP_1) | instid1(SALU_CYCLE_1)
	s_and_not1_b32 s48, s48, exec_lo
	s_and_b32 s49, s50, exec_lo
	s_or_b32 s48, s48, s49
	s_or_b32 exec_lo, exec_lo, s3
	s_delay_alu instid0(SALU_CYCLE_1)
	s_and_b32 exec_lo, exec_lo, s48
	s_cbranch_execz .LBB18_8
.LBB18_47:                              ;   in Loop: Header=BB18_9 Depth=3
	global_store_b64 v[12:13], v[6:7], off
	s_branch .LBB18_8
.LBB18_48:                              ;   in Loop: Header=BB18_3 Depth=1
	s_and_saveexec_b32 s3, s0
	s_cbranch_execz .LBB18_2
; %bb.49:                               ;   in Loop: Header=BB18_3 Depth=1
	v_mov_b32_e32 v2, v16
	s_mov_b32 s44, 0
	s_branch .LBB18_51
.LBB18_50:                              ;   in Loop: Header=BB18_51 Depth=2
	s_or_b32 exec_lo, exec_lo, s45
	v_add_nc_u32_e32 v2, 64, v2
	s_delay_alu instid0(VALU_DEP_1) | instskip(SKIP_1) | instid1(SALU_CYCLE_1)
	v_cmp_le_u32_e32 vcc_lo, s43, v2
	s_or_b32 s44, vcc_lo, s44
	s_and_not1_b32 exec_lo, exec_lo, s44
	s_cbranch_execz .LBB18_2
.LBB18_51:                              ;   Parent Loop BB18_3 Depth=1
                                        ; =>  This Loop Header: Depth=2
                                        ;       Child Loop BB18_54 Depth 3
                                        ;       Child Loop BB18_57 Depth 3
	s_mov_b32 s45, exec_lo
	s_delay_alu instid0(VALU_DEP_1)
	v_cmpx_gt_i32_e64 s35, v2
	s_cbranch_execz .LBB18_50
; %bb.52:                               ;   in Loop: Header=BB18_51 Depth=2
	v_ashrrev_i32_e32 v3, 31, v2
	s_mov_b32 s46, exec_lo
	s_delay_alu instid0(VALU_DEP_1) | instskip(NEXT) | instid1(VALU_DEP_1)
	v_lshlrev_b64 v[4:5], 2, v[2:3]
	v_add_co_u32 v6, vcc_lo, s12, v4
	s_delay_alu instid0(VALU_DEP_2)
	v_add_co_ci_u32_e32 v7, vcc_lo, s13, v5, vcc_lo
	v_add_co_u32 v8, vcc_lo, s14, v4
	v_add_co_ci_u32_e32 v9, vcc_lo, s15, v5, vcc_lo
	global_load_b32 v0, v[6:7], off
	global_load_b32 v7, v[8:9], off
	s_waitcnt vmcnt(1)
	v_add_nc_u32_e32 v6, v18, v0
	s_waitcnt vmcnt(0)
	v_subrev_nc_u32_e32 v0, s41, v7
	s_delay_alu instid0(VALU_DEP_1)
	v_cmpx_lt_i32_e64 v6, v0
	s_cbranch_execz .LBB18_55
; %bb.53:                               ;   in Loop: Header=BB18_51 Depth=2
	v_ashrrev_i32_e32 v7, 31, v6
	s_mov_b32 s47, 0
	s_delay_alu instid0(VALU_DEP_1) | instskip(NEXT) | instid1(VALU_DEP_1)
	v_lshlrev_b64 v[9:10], 3, v[6:7]
	v_add_co_u32 v7, vcc_lo, s38, v9
	s_delay_alu instid0(VALU_DEP_2)
	v_add_co_ci_u32_e32 v8, vcc_lo, s39, v10, vcc_lo
	v_add_co_u32 v9, vcc_lo, s18, v9
	v_add_co_ci_u32_e32 v10, vcc_lo, s19, v10, vcc_lo
	.p2align	6
.LBB18_54:                              ;   Parent Loop BB18_3 Depth=1
                                        ;     Parent Loop BB18_51 Depth=2
                                        ; =>    This Inner Loop Header: Depth=3
	global_load_b64 v[11:12], v[7:8], off
	v_add_nc_u32_e32 v6, 16, v6
	v_add_co_u32 v7, vcc_lo, 0x80, v7
	v_add_co_ci_u32_e32 v8, vcc_lo, 0, v8, vcc_lo
	s_delay_alu instid0(VALU_DEP_3) | instskip(SKIP_4) | instid1(VALU_DEP_1)
	v_cmp_ge_i32_e32 vcc_lo, v6, v0
	s_or_b32 s47, vcc_lo, s47
	s_waitcnt vmcnt(0)
	global_store_b64 v[9:10], v[11:12], off
	v_add_co_u32 v9, s2, 0x80, v9
	v_add_co_ci_u32_e64 v10, s2, 0, v10, s2
	s_and_not1_b32 exec_lo, exec_lo, s47
	s_cbranch_execnz .LBB18_54
.LBB18_55:                              ;   in Loop: Header=BB18_51 Depth=2
	s_or_b32 exec_lo, exec_lo, s46
	v_add_co_u32 v6, vcc_lo, s4, v4
	v_add_co_ci_u32_e32 v7, vcc_lo, s5, v5, vcc_lo
	v_add_co_u32 v4, vcc_lo, s6, v4
	v_add_co_ci_u32_e32 v5, vcc_lo, s7, v5, vcc_lo
	s_mov_b32 s46, exec_lo
	global_load_b32 v0, v[6:7], off
	global_load_b32 v5, v[4:5], off
	s_waitcnt vmcnt(1)
	v_add_nc_u32_e32 v4, v19, v0
	s_waitcnt vmcnt(0)
	v_subrev_nc_u32_e32 v0, s42, v5
	s_delay_alu instid0(VALU_DEP_1)
	v_cmpx_lt_i32_e64 v4, v0
	s_cbranch_execz .LBB18_58
; %bb.56:                               ;   in Loop: Header=BB18_51 Depth=2
	v_ashrrev_i32_e32 v5, 31, v4
	s_mov_b32 s47, 0
	s_delay_alu instid0(VALU_DEP_1) | instskip(NEXT) | instid1(VALU_DEP_1)
	v_lshlrev_b64 v[7:8], 3, v[4:5]
	v_add_co_u32 v5, vcc_lo, s36, v7
	s_delay_alu instid0(VALU_DEP_2)
	v_add_co_ci_u32_e32 v6, vcc_lo, s37, v8, vcc_lo
	v_add_co_u32 v7, vcc_lo, s10, v7
	v_add_co_ci_u32_e32 v8, vcc_lo, s11, v8, vcc_lo
	.p2align	6
.LBB18_57:                              ;   Parent Loop BB18_3 Depth=1
                                        ;     Parent Loop BB18_51 Depth=2
                                        ; =>    This Inner Loop Header: Depth=3
	global_load_b64 v[9:10], v[5:6], off
	v_add_nc_u32_e32 v4, 16, v4
	v_add_co_u32 v5, vcc_lo, 0x80, v5
	v_add_co_ci_u32_e32 v6, vcc_lo, 0, v6, vcc_lo
	s_delay_alu instid0(VALU_DEP_3) | instskip(SKIP_4) | instid1(VALU_DEP_1)
	v_cmp_ge_i32_e32 vcc_lo, v4, v0
	s_or_b32 s47, vcc_lo, s47
	s_waitcnt vmcnt(0)
	global_store_b64 v[7:8], v[9:10], off
	v_add_co_u32 v7, s2, 0x80, v7
	v_add_co_ci_u32_e64 v8, s2, 0, v8, s2
	s_and_not1_b32 exec_lo, exec_lo, s47
	s_cbranch_execnz .LBB18_57
.LBB18_58:                              ;   in Loop: Header=BB18_51 Depth=2
	s_or_b32 exec_lo, exec_lo, s46
	s_delay_alu instid0(SALU_CYCLE_1)
	s_and_b32 exec_lo, exec_lo, s1
	s_cbranch_execz .LBB18_50
; %bb.59:                               ;   in Loop: Header=BB18_51 Depth=2
	v_lshlrev_b64 v[3:4], 3, v[2:3]
	s_delay_alu instid0(VALU_DEP_1) | instskip(NEXT) | instid1(VALU_DEP_2)
	v_add_co_u32 v5, vcc_lo, s30, v3
	v_add_co_ci_u32_e32 v6, vcc_lo, s31, v4, vcc_lo
	v_add_co_u32 v3, vcc_lo, s28, v3
	v_add_co_ci_u32_e32 v4, vcc_lo, s29, v4, vcc_lo
	global_load_b64 v[5:6], v[5:6], off
	s_waitcnt vmcnt(0)
	global_store_b64 v[3:4], v[5:6], off
	s_branch .LBB18_50
.LBB18_60:
	s_nop 0
	s_sendmsg sendmsg(MSG_DEALLOC_VGPRS)
	s_endpgm
	.section	.rodata,"a",@progbits
	.p2align	6, 0x0
	.amdhsa_kernel _ZN9rocsparseL14kernel_freerunILi1024ELi16EdiiEEvT3_S1_T2_PKS2_S4_PKS1_PKT1_21rocsparse_index_base_S4_S4_S6_PS7_SB_SA_S4_S4_S6_SB_SB_SA_SB_SB_
		.amdhsa_group_segment_fixed_size 0
		.amdhsa_private_segment_fixed_size 0
		.amdhsa_kernarg_size 168
		.amdhsa_user_sgpr_count 15
		.amdhsa_user_sgpr_dispatch_ptr 0
		.amdhsa_user_sgpr_queue_ptr 0
		.amdhsa_user_sgpr_kernarg_segment_ptr 1
		.amdhsa_user_sgpr_dispatch_id 0
		.amdhsa_user_sgpr_private_segment_size 0
		.amdhsa_wavefront_size32 1
		.amdhsa_uses_dynamic_stack 0
		.amdhsa_enable_private_segment 0
		.amdhsa_system_sgpr_workgroup_id_x 1
		.amdhsa_system_sgpr_workgroup_id_y 0
		.amdhsa_system_sgpr_workgroup_id_z 0
		.amdhsa_system_sgpr_workgroup_info 0
		.amdhsa_system_vgpr_workitem_id 0
		.amdhsa_next_free_vgpr 34
		.amdhsa_next_free_sgpr 57
		.amdhsa_reserve_vcc 1
		.amdhsa_float_round_mode_32 0
		.amdhsa_float_round_mode_16_64 0
		.amdhsa_float_denorm_mode_32 3
		.amdhsa_float_denorm_mode_16_64 3
		.amdhsa_dx10_clamp 1
		.amdhsa_ieee_mode 1
		.amdhsa_fp16_overflow 0
		.amdhsa_workgroup_processor_mode 1
		.amdhsa_memory_ordered 1
		.amdhsa_forward_progress 0
		.amdhsa_shared_vgpr_count 0
		.amdhsa_exception_fp_ieee_invalid_op 0
		.amdhsa_exception_fp_denorm_src 0
		.amdhsa_exception_fp_ieee_div_zero 0
		.amdhsa_exception_fp_ieee_overflow 0
		.amdhsa_exception_fp_ieee_underflow 0
		.amdhsa_exception_fp_ieee_inexact 0
		.amdhsa_exception_int_div_zero 0
	.end_amdhsa_kernel
	.section	.text._ZN9rocsparseL14kernel_freerunILi1024ELi16EdiiEEvT3_S1_T2_PKS2_S4_PKS1_PKT1_21rocsparse_index_base_S4_S4_S6_PS7_SB_SA_S4_S4_S6_SB_SB_SA_SB_SB_,"axG",@progbits,_ZN9rocsparseL14kernel_freerunILi1024ELi16EdiiEEvT3_S1_T2_PKS2_S4_PKS1_PKT1_21rocsparse_index_base_S4_S4_S6_PS7_SB_SA_S4_S4_S6_SB_SB_SA_SB_SB_,comdat
.Lfunc_end18:
	.size	_ZN9rocsparseL14kernel_freerunILi1024ELi16EdiiEEvT3_S1_T2_PKS2_S4_PKS1_PKT1_21rocsparse_index_base_S4_S4_S6_PS7_SB_SA_S4_S4_S6_SB_SB_SA_SB_SB_, .Lfunc_end18-_ZN9rocsparseL14kernel_freerunILi1024ELi16EdiiEEvT3_S1_T2_PKS2_S4_PKS1_PKT1_21rocsparse_index_base_S4_S4_S6_PS7_SB_SA_S4_S4_S6_SB_SB_SA_SB_SB_
                                        ; -- End function
	.section	.AMDGPU.csdata,"",@progbits
; Kernel info:
; codeLenInByte = 2600
; NumSgprs: 59
; NumVgprs: 34
; ScratchSize: 0
; MemoryBound: 1
; FloatMode: 240
; IeeeMode: 1
; LDSByteSize: 0 bytes/workgroup (compile time only)
; SGPRBlocks: 7
; VGPRBlocks: 4
; NumSGPRsForWavesPerEU: 59
; NumVGPRsForWavesPerEU: 34
; Occupancy: 16
; WaveLimiterHint : 1
; COMPUTE_PGM_RSRC2:SCRATCH_EN: 0
; COMPUTE_PGM_RSRC2:USER_SGPR: 15
; COMPUTE_PGM_RSRC2:TRAP_HANDLER: 0
; COMPUTE_PGM_RSRC2:TGID_X_EN: 1
; COMPUTE_PGM_RSRC2:TGID_Y_EN: 0
; COMPUTE_PGM_RSRC2:TGID_Z_EN: 0
; COMPUTE_PGM_RSRC2:TIDIG_COMP_CNT: 0
	.section	.text._ZN9rocsparseL14kernel_freerunILi1024ELi32EdiiEEvT3_S1_T2_PKS2_S4_PKS1_PKT1_21rocsparse_index_base_S4_S4_S6_PS7_SB_SA_S4_S4_S6_SB_SB_SA_SB_SB_,"axG",@progbits,_ZN9rocsparseL14kernel_freerunILi1024ELi32EdiiEEvT3_S1_T2_PKS2_S4_PKS1_PKT1_21rocsparse_index_base_S4_S4_S6_PS7_SB_SA_S4_S4_S6_SB_SB_SA_SB_SB_,comdat
	.globl	_ZN9rocsparseL14kernel_freerunILi1024ELi32EdiiEEvT3_S1_T2_PKS2_S4_PKS1_PKT1_21rocsparse_index_base_S4_S4_S6_PS7_SB_SA_S4_S4_S6_SB_SB_SA_SB_SB_ ; -- Begin function _ZN9rocsparseL14kernel_freerunILi1024ELi32EdiiEEvT3_S1_T2_PKS2_S4_PKS1_PKT1_21rocsparse_index_base_S4_S4_S6_PS7_SB_SA_S4_S4_S6_SB_SB_SA_SB_SB_
	.p2align	8
	.type	_ZN9rocsparseL14kernel_freerunILi1024ELi32EdiiEEvT3_S1_T2_PKS2_S4_PKS1_PKT1_21rocsparse_index_base_S4_S4_S6_PS7_SB_SA_S4_S4_S6_SB_SB_SA_SB_SB_,@function
_ZN9rocsparseL14kernel_freerunILi1024ELi32EdiiEEvT3_S1_T2_PKS2_S4_PKS1_PKT1_21rocsparse_index_base_S4_S4_S6_PS7_SB_SA_S4_S4_S6_SB_SB_SA_SB_SB_: ; @_ZN9rocsparseL14kernel_freerunILi1024ELi32EdiiEEvT3_S1_T2_PKS2_S4_PKS1_PKT1_21rocsparse_index_base_S4_S4_S6_PS7_SB_SA_S4_S4_S6_SB_SB_SA_SB_SB_
; %bb.0:
	s_load_b64 s[34:35], s[0:1], 0x0
	v_lshrrev_b32_e32 v1, 5, v0
	s_lshl_b32 s43, s15, 10
	s_mov_b32 s33, 0
	s_delay_alu instid0(VALU_DEP_1) | instskip(SKIP_1) | instid1(VALU_DEP_1)
	v_or_b32_e32 v16, s43, v1
	s_waitcnt lgkmcnt(0)
	v_cmp_gt_i32_e32 vcc_lo, s35, v16
	s_cmp_gt_i32 s34, 0
	s_cselect_b32 s2, -1, 0
	s_delay_alu instid0(SALU_CYCLE_1) | instskip(NEXT) | instid1(SALU_CYCLE_1)
	s_and_b32 s2, vcc_lo, s2
	s_and_saveexec_b32 s3, s2
	s_cbranch_execz .LBB19_60
; %bb.1:
	s_clause 0x8
	s_load_b32 s40, s[0:1], 0x30
	s_load_b32 s41, s[0:1], 0x60
	;; [unrolled: 1-line block ×3, first 2 shown]
	s_load_b64 s[36:37], s[0:1], 0x88
	s_load_b64 s[38:39], s[0:1], 0x58
	s_load_b128 s[28:31], s[0:1], 0x98
	s_load_b256 s[4:11], s[0:1], 0x68
	s_load_b256 s[12:19], s[0:1], 0x38
	;; [unrolled: 1-line block ×3, first 2 shown]
	v_dual_mov_b32 v1, 0 :: v_dual_and_b32 v0, 31, v0
	s_addk_i32 s43, 0x400
	s_delay_alu instid0(SALU_CYCLE_1) | instskip(NEXT) | instid1(VALU_DEP_2)
	v_cmp_gt_u32_e64 s0, s43, v16
	v_cmp_eq_u32_e64 s1, 0, v0
	s_waitcnt lgkmcnt(0)
	v_subrev_nc_u32_e32 v17, s40, v0
	v_subrev_nc_u32_e32 v18, s41, v0
	;; [unrolled: 1-line block ×3, first 2 shown]
	s_branch .LBB19_3
.LBB19_2:                               ;   in Loop: Header=BB19_3 Depth=1
	s_or_b32 exec_lo, exec_lo, s3
	s_add_i32 s33, s33, 1
	s_delay_alu instid0(SALU_CYCLE_1)
	s_cmp_eq_u32 s33, s34
	s_cbranch_scc1 .LBB19_60
.LBB19_3:                               ; =>This Loop Header: Depth=1
                                        ;     Child Loop BB19_5 Depth 2
                                        ;       Child Loop BB19_9 Depth 3
                                        ;         Child Loop BB19_13 Depth 4
                                        ;         Child Loop BB19_31 Depth 4
	;; [unrolled: 1-line block ×3, first 2 shown]
                                        ;     Child Loop BB19_51 Depth 2
                                        ;       Child Loop BB19_54 Depth 3
                                        ;       Child Loop BB19_57 Depth 3
	s_mov_b32 s44, 0
	s_branch .LBB19_5
.LBB19_4:                               ;   in Loop: Header=BB19_5 Depth=2
	s_or_b32 exec_lo, exec_lo, s45
	s_add_i32 s44, s44, 1
	s_delay_alu instid0(SALU_CYCLE_1)
	s_cmp_eq_u32 s44, 32
	s_cbranch_scc1 .LBB19_48
.LBB19_5:                               ;   Parent Loop BB19_3 Depth=1
                                        ; =>  This Loop Header: Depth=2
                                        ;       Child Loop BB19_9 Depth 3
                                        ;         Child Loop BB19_13 Depth 4
                                        ;         Child Loop BB19_31 Depth 4
	;; [unrolled: 1-line block ×3, first 2 shown]
	v_lshl_add_u32 v2, s44, 5, v16
	s_mov_b32 s45, exec_lo
	s_delay_alu instid0(VALU_DEP_1)
	v_cmpx_gt_i32_e64 s35, v2
	s_cbranch_execz .LBB19_4
; %bb.6:                                ;   in Loop: Header=BB19_5 Depth=2
	v_ashrrev_i32_e32 v3, 31, v2
	s_delay_alu instid0(VALU_DEP_1) | instskip(NEXT) | instid1(VALU_DEP_1)
	v_lshlrev_b64 v[4:5], 2, v[2:3]
	v_add_co_u32 v6, vcc_lo, s20, v4
	s_delay_alu instid0(VALU_DEP_2)
	v_add_co_ci_u32_e32 v7, vcc_lo, s21, v5, vcc_lo
	v_add_co_u32 v8, vcc_lo, s22, v4
	v_add_co_ci_u32_e32 v9, vcc_lo, s23, v5, vcc_lo
	global_load_b32 v0, v[6:7], off
	global_load_b32 v6, v[8:9], off
	s_waitcnt vmcnt(1)
	v_add_nc_u32_e32 v3, v17, v0
	s_waitcnt vmcnt(0)
	v_subrev_nc_u32_e32 v20, s40, v6
	s_delay_alu instid0(VALU_DEP_1)
	v_cmp_lt_i32_e32 vcc_lo, v3, v20
	s_and_b32 exec_lo, exec_lo, vcc_lo
	s_cbranch_execz .LBB19_4
; %bb.7:                                ;   in Loop: Header=BB19_5 Depth=2
	v_add_co_u32 v6, vcc_lo, s12, v4
	v_add_co_ci_u32_e32 v7, vcc_lo, s13, v5, vcc_lo
	v_add_co_u32 v4, vcc_lo, s14, v4
	v_add_co_ci_u32_e32 v5, vcc_lo, s15, v5, vcc_lo
	global_load_b32 v0, v[6:7], off
	s_mov_b32 s46, 0
	global_load_b32 v4, v[4:5], off
	s_waitcnt vmcnt(1)
	v_subrev_nc_u32_e32 v5, s41, v0
	s_waitcnt vmcnt(0)
	v_sub_nc_u32_e32 v21, v4, v0
	s_delay_alu instid0(VALU_DEP_2) | instskip(NEXT) | instid1(VALU_DEP_2)
	v_ashrrev_i32_e32 v6, 31, v5
	v_cmp_lt_i32_e64 s2, 0, v21
	s_delay_alu instid0(VALU_DEP_2) | instskip(SKIP_1) | instid1(VALU_DEP_2)
	v_lshlrev_b64 v[7:8], 2, v[5:6]
	v_lshlrev_b64 v[9:10], 3, v[5:6]
	v_add_co_u32 v22, vcc_lo, s16, v7
	s_delay_alu instid0(VALU_DEP_3) | instskip(NEXT) | instid1(VALU_DEP_3)
	v_add_co_ci_u32_e32 v23, vcc_lo, s17, v8, vcc_lo
	v_add_co_u32 v24, vcc_lo, s18, v9
	s_delay_alu instid0(VALU_DEP_4)
	v_add_co_ci_u32_e32 v25, vcc_lo, s19, v10, vcc_lo
	s_branch .LBB19_9
.LBB19_8:                               ;   in Loop: Header=BB19_9 Depth=3
	s_or_b32 exec_lo, exec_lo, s47
	v_add_nc_u32_e32 v3, 32, v3
	s_delay_alu instid0(VALU_DEP_1) | instskip(SKIP_1) | instid1(SALU_CYCLE_1)
	v_cmp_ge_i32_e32 vcc_lo, v3, v20
	s_or_b32 s46, vcc_lo, s46
	s_and_not1_b32 exec_lo, exec_lo, s46
	s_cbranch_execz .LBB19_4
.LBB19_9:                               ;   Parent Loop BB19_3 Depth=1
                                        ;     Parent Loop BB19_5 Depth=2
                                        ; =>    This Loop Header: Depth=3
                                        ;         Child Loop BB19_13 Depth 4
                                        ;         Child Loop BB19_31 Depth 4
	;; [unrolled: 1-line block ×3, first 2 shown]
	v_ashrrev_i32_e32 v4, 31, v3
	s_delay_alu instid0(VALU_DEP_1) | instskip(NEXT) | instid1(VALU_DEP_1)
	v_lshlrev_b64 v[6:7], 2, v[3:4]
	v_add_co_u32 v6, vcc_lo, s24, v6
	s_delay_alu instid0(VALU_DEP_2) | instskip(SKIP_3) | instid1(VALU_DEP_1)
	v_add_co_ci_u32_e32 v7, vcc_lo, s25, v7, vcc_lo
	global_load_b32 v0, v[6:7], off
	s_waitcnt vmcnt(0)
	v_subrev_nc_u32_e32 v8, s40, v0
	v_ashrrev_i32_e32 v9, 31, v8
	s_delay_alu instid0(VALU_DEP_1) | instskip(NEXT) | instid1(VALU_DEP_1)
	v_lshlrev_b64 v[6:7], 2, v[8:9]
	v_add_co_u32 v10, vcc_lo, s4, v6
	s_delay_alu instid0(VALU_DEP_2)
	v_add_co_ci_u32_e32 v11, vcc_lo, s5, v7, vcc_lo
	v_add_co_u32 v6, vcc_lo, s6, v6
	v_add_co_ci_u32_e32 v7, vcc_lo, s7, v7, vcc_lo
	global_load_b32 v0, v[10:11], off
	global_load_b32 v12, v[6:7], off
	v_dual_mov_b32 v6, 0 :: v_dual_mov_b32 v11, 0
	v_mov_b32_e32 v7, 0
	s_waitcnt vmcnt(1)
	v_subrev_nc_u32_e32 v10, s42, v0
	s_waitcnt vmcnt(0)
	v_sub_nc_u32_e32 v26, v12, v0
	v_mov_b32_e32 v0, 0
	s_and_saveexec_b32 s47, s2
	s_cbranch_execz .LBB19_17
; %bb.10:                               ;   in Loop: Header=BB19_9 Depth=3
	v_ashrrev_i32_e32 v11, 31, v10
	v_mov_b32_e32 v0, 0
	s_mov_b32 s48, 0
                                        ; implicit-def: $sgpr49
	s_delay_alu instid0(VALU_DEP_2) | instskip(SKIP_1) | instid1(VALU_DEP_2)
	v_lshlrev_b64 v[6:7], 2, v[10:11]
	v_lshlrev_b64 v[11:12], 3, v[10:11]
	v_add_co_u32 v13, vcc_lo, s8, v6
	s_delay_alu instid0(VALU_DEP_3) | instskip(NEXT) | instid1(VALU_DEP_3)
	v_add_co_ci_u32_e32 v14, vcc_lo, s9, v7, vcc_lo
	v_add_co_u32 v15, vcc_lo, s10, v11
	v_mov_b32_e32 v6, 0
	v_add_co_ci_u32_e32 v27, vcc_lo, s11, v12, vcc_lo
	v_mov_b32_e32 v7, 0
	v_mov_b32_e32 v11, v0
	s_branch .LBB19_13
.LBB19_11:                              ;   in Loop: Header=BB19_13 Depth=4
	s_or_b32 exec_lo, exec_lo, s3
	v_cmp_le_i32_e32 vcc_lo, v28, v29
	v_cmp_ge_i32_e64 s3, v28, v29
	v_add_co_ci_u32_e32 v0, vcc_lo, 0, v0, vcc_lo
	s_delay_alu instid0(VALU_DEP_2) | instskip(SKIP_1) | instid1(VALU_DEP_2)
	v_add_co_ci_u32_e64 v11, s3, 0, v11, s3
	s_and_not1_b32 s3, s49, exec_lo
	v_cmp_ge_i32_e32 vcc_lo, v0, v21
	s_and_b32 s49, vcc_lo, exec_lo
	s_delay_alu instid0(SALU_CYCLE_1)
	s_or_b32 s49, s3, s49
.LBB19_12:                              ;   in Loop: Header=BB19_13 Depth=4
	s_or_b32 exec_lo, exec_lo, s50
	s_delay_alu instid0(SALU_CYCLE_1) | instskip(NEXT) | instid1(SALU_CYCLE_1)
	s_and_b32 s3, exec_lo, s49
	s_or_b32 s48, s3, s48
	s_delay_alu instid0(SALU_CYCLE_1)
	s_and_not1_b32 exec_lo, exec_lo, s48
	s_cbranch_execz .LBB19_16
.LBB19_13:                              ;   Parent Loop BB19_3 Depth=1
                                        ;     Parent Loop BB19_5 Depth=2
                                        ;       Parent Loop BB19_9 Depth=3
                                        ; =>      This Inner Loop Header: Depth=4
	s_or_b32 s49, s49, exec_lo
	s_mov_b32 s50, exec_lo
	s_delay_alu instid0(VALU_DEP_1)
	v_cmpx_lt_i32_e64 v11, v26
	s_cbranch_execz .LBB19_12
; %bb.14:                               ;   in Loop: Header=BB19_13 Depth=4
	v_mov_b32_e32 v12, v1
	v_lshlrev_b64 v[28:29], 2, v[0:1]
	s_mov_b32 s3, exec_lo
	s_delay_alu instid0(VALU_DEP_2) | instskip(NEXT) | instid1(VALU_DEP_2)
	v_lshlrev_b64 v[30:31], 2, v[11:12]
	v_add_co_u32 v28, vcc_lo, v22, v28
	s_delay_alu instid0(VALU_DEP_3) | instskip(NEXT) | instid1(VALU_DEP_3)
	v_add_co_ci_u32_e32 v29, vcc_lo, v23, v29, vcc_lo
	v_add_co_u32 v30, vcc_lo, v13, v30
	s_delay_alu instid0(VALU_DEP_4)
	v_add_co_ci_u32_e32 v31, vcc_lo, v14, v31, vcc_lo
	global_load_b32 v28, v[28:29], off
	global_load_b32 v29, v[30:31], off
	s_waitcnt vmcnt(1)
	v_subrev_nc_u32_e32 v28, s41, v28
	s_waitcnt vmcnt(0)
	v_subrev_nc_u32_e32 v29, s42, v29
	s_delay_alu instid0(VALU_DEP_1)
	v_cmpx_eq_u32_e64 v28, v29
	s_cbranch_execz .LBB19_11
; %bb.15:                               ;   in Loop: Header=BB19_13 Depth=4
	v_lshlrev_b64 v[30:31], 3, v[0:1]
	v_lshlrev_b64 v[32:33], 3, v[11:12]
	s_delay_alu instid0(VALU_DEP_2) | instskip(NEXT) | instid1(VALU_DEP_3)
	v_add_co_u32 v30, vcc_lo, v24, v30
	v_add_co_ci_u32_e32 v31, vcc_lo, v25, v31, vcc_lo
	s_delay_alu instid0(VALU_DEP_3) | instskip(NEXT) | instid1(VALU_DEP_4)
	v_add_co_u32 v32, vcc_lo, v15, v32
	v_add_co_ci_u32_e32 v33, vcc_lo, v27, v33, vcc_lo
	global_load_b64 v[30:31], v[30:31], off
	global_load_b64 v[32:33], v[32:33], off
	s_waitcnt vmcnt(0)
	v_fma_f64 v[6:7], v[30:31], v[32:33], v[6:7]
	s_branch .LBB19_11
.LBB19_16:                              ;   in Loop: Header=BB19_9 Depth=3
	s_or_b32 exec_lo, exec_lo, s48
.LBB19_17:                              ;   in Loop: Header=BB19_9 Depth=3
	s_delay_alu instid0(SALU_CYCLE_1) | instskip(SKIP_3) | instid1(VALU_DEP_2)
	s_or_b32 exec_lo, exec_lo, s47
	v_lshlrev_b64 v[12:13], 3, v[3:4]
	v_cmp_le_i32_e64 s3, v2, v8
	s_mov_b32 s47, exec_lo
	v_add_co_u32 v12, vcc_lo, s26, v12
	s_delay_alu instid0(VALU_DEP_3)
	v_add_co_ci_u32_e32 v13, vcc_lo, s27, v13, vcc_lo
	global_load_b64 v[12:13], v[12:13], off
	s_waitcnt vmcnt(0)
	v_add_f64 v[6:7], v[12:13], -v[6:7]
	v_cmpx_gt_i32_e64 v2, v8
	s_cbranch_execz .LBB19_21
; %bb.18:                               ;   in Loop: Header=BB19_9 Depth=3
	v_lshlrev_b64 v[12:13], 3, v[8:9]
	v_mov_b32_e32 v14, 0
	v_mov_b32_e32 v15, 0
	s_mov_b32 s48, exec_lo
	s_delay_alu instid0(VALU_DEP_3) | instskip(NEXT) | instid1(VALU_DEP_4)
	v_add_co_u32 v12, vcc_lo, s28, v12
	v_add_co_ci_u32_e32 v13, vcc_lo, s29, v13, vcc_lo
	global_load_b64 v[12:13], v[12:13], off
	s_waitcnt vmcnt(0)
	v_cmpx_lg_f64_e32 0, v[12:13]
; %bb.19:                               ;   in Loop: Header=BB19_9 Depth=3
	v_div_scale_f64 v[14:15], null, v[12:13], v[12:13], v[6:7]
	s_delay_alu instid0(VALU_DEP_1) | instskip(SKIP_2) | instid1(VALU_DEP_1)
	v_rcp_f64_e32 v[27:28], v[14:15]
	s_waitcnt_depctr 0xfff
	v_fma_f64 v[29:30], -v[14:15], v[27:28], 1.0
	v_fma_f64 v[27:28], v[27:28], v[29:30], v[27:28]
	s_delay_alu instid0(VALU_DEP_1) | instskip(NEXT) | instid1(VALU_DEP_1)
	v_fma_f64 v[29:30], -v[14:15], v[27:28], 1.0
	v_fma_f64 v[27:28], v[27:28], v[29:30], v[27:28]
	v_div_scale_f64 v[29:30], vcc_lo, v[6:7], v[12:13], v[6:7]
	s_delay_alu instid0(VALU_DEP_1) | instskip(NEXT) | instid1(VALU_DEP_1)
	v_mul_f64 v[31:32], v[29:30], v[27:28]
	v_fma_f64 v[14:15], -v[14:15], v[31:32], v[29:30]
	s_delay_alu instid0(VALU_DEP_1) | instskip(NEXT) | instid1(VALU_DEP_1)
	v_div_fmas_f64 v[14:15], v[14:15], v[27:28], v[31:32]
	v_div_fixup_f64 v[14:15], v[14:15], v[12:13], v[6:7]
; %bb.20:                               ;   in Loop: Header=BB19_9 Depth=3
	s_or_b32 exec_lo, exec_lo, s48
	s_delay_alu instid0(VALU_DEP_1)
	v_dual_mov_b32 v6, v14 :: v_dual_mov_b32 v7, v15
.LBB19_21:                              ;   in Loop: Header=BB19_9 Depth=3
	s_or_b32 exec_lo, exec_lo, s47
	s_delay_alu instid0(VALU_DEP_1) | instskip(NEXT) | instid1(VALU_DEP_1)
	v_cmp_class_f64_e64 s48, v[6:7], 0x1f8
	s_and_saveexec_b32 s47, s48
	s_cbranch_execz .LBB19_8
; %bb.22:                               ;   in Loop: Header=BB19_9 Depth=3
	s_mov_b32 s48, 0
                                        ; implicit-def: $vgpr12_vgpr13
	s_and_saveexec_b32 s49, s3
	s_delay_alu instid0(SALU_CYCLE_1)
	s_xor_b32 s3, exec_lo, s49
	s_cbranch_execnz .LBB19_25
; %bb.23:                               ;   in Loop: Header=BB19_9 Depth=3
	s_and_not1_saveexec_b32 s3, s3
	s_cbranch_execnz .LBB19_38
.LBB19_24:                              ;   in Loop: Header=BB19_9 Depth=3
	s_or_b32 exec_lo, exec_lo, s3
	s_delay_alu instid0(SALU_CYCLE_1)
	s_and_b32 exec_lo, exec_lo, s48
	s_cbranch_execz .LBB19_8
	s_branch .LBB19_47
.LBB19_25:                              ;   in Loop: Header=BB19_9 Depth=3
	s_mov_b32 s49, exec_lo
                                        ; implicit-def: $vgpr12_vgpr13
	v_cmpx_ge_i32_e64 v2, v8
	s_xor_b32 s49, exec_lo, s49
; %bb.26:                               ;   in Loop: Header=BB19_9 Depth=3
	v_lshlrev_b64 v[8:9], 3, v[8:9]
	s_mov_b32 s48, exec_lo
                                        ; implicit-def: $vgpr11
                                        ; implicit-def: $vgpr26
                                        ; implicit-def: $vgpr10
	s_delay_alu instid0(VALU_DEP_1) | instskip(NEXT) | instid1(VALU_DEP_2)
	v_add_co_u32 v12, vcc_lo, s30, v8
	v_add_co_ci_u32_e32 v13, vcc_lo, s31, v9, vcc_lo
; %bb.27:                               ;   in Loop: Header=BB19_9 Depth=3
	s_and_not1_saveexec_b32 s49, s49
	s_cbranch_execz .LBB19_37
; %bb.28:                               ;   in Loop: Header=BB19_9 Depth=3
	s_mov_b32 s51, s48
	s_mov_b32 s50, exec_lo
                                        ; implicit-def: $vgpr12_vgpr13
	v_cmpx_lt_i32_e64 v11, v26
	s_cbranch_execz .LBB19_36
; %bb.29:                               ;   in Loop: Header=BB19_9 Depth=3
	s_mov_b32 s52, 0
                                        ; implicit-def: $sgpr51
                                        ; implicit-def: $sgpr54
                                        ; implicit-def: $sgpr53
	s_set_inst_prefetch_distance 0x1
	s_branch .LBB19_31
	.p2align	6
.LBB19_30:                              ;   in Loop: Header=BB19_31 Depth=4
	s_or_b32 exec_lo, exec_lo, s55
	s_delay_alu instid0(SALU_CYCLE_1) | instskip(NEXT) | instid1(SALU_CYCLE_1)
	s_and_b32 s55, exec_lo, s54
	s_or_b32 s52, s55, s52
	s_and_not1_b32 s51, s51, exec_lo
	s_and_b32 s55, s53, exec_lo
	s_delay_alu instid0(SALU_CYCLE_1)
	s_or_b32 s51, s51, s55
	s_and_not1_b32 exec_lo, exec_lo, s52
	s_cbranch_execz .LBB19_33
.LBB19_31:                              ;   Parent Loop BB19_3 Depth=1
                                        ;     Parent Loop BB19_5 Depth=2
                                        ;       Parent Loop BB19_9 Depth=3
                                        ; =>      This Inner Loop Header: Depth=4
	v_add_nc_u32_e32 v8, v10, v11
	s_or_b32 s53, s53, exec_lo
	s_or_b32 s54, s54, exec_lo
	s_mov_b32 s55, exec_lo
	s_delay_alu instid0(VALU_DEP_1) | instskip(NEXT) | instid1(VALU_DEP_1)
	v_ashrrev_i32_e32 v9, 31, v8
	v_lshlrev_b64 v[12:13], 2, v[8:9]
	s_delay_alu instid0(VALU_DEP_1) | instskip(NEXT) | instid1(VALU_DEP_2)
	v_add_co_u32 v12, vcc_lo, s8, v12
	v_add_co_ci_u32_e32 v13, vcc_lo, s9, v13, vcc_lo
	global_load_b32 v0, v[12:13], off
	s_waitcnt vmcnt(0)
	v_subrev_nc_u32_e32 v0, s42, v0
	s_delay_alu instid0(VALU_DEP_1)
	v_cmpx_ne_u32_e64 v0, v2
	s_cbranch_execz .LBB19_30
; %bb.32:                               ;   in Loop: Header=BB19_31 Depth=4
	v_add_nc_u32_e32 v11, 1, v11
	s_and_not1_b32 s54, s54, exec_lo
	s_and_not1_b32 s53, s53, exec_lo
	s_delay_alu instid0(VALU_DEP_1) | instskip(SKIP_1) | instid1(SALU_CYCLE_1)
	v_cmp_ge_i32_e32 vcc_lo, v11, v26
	s_and_b32 s56, vcc_lo, exec_lo
	s_or_b32 s54, s54, s56
	s_branch .LBB19_30
.LBB19_33:                              ;   in Loop: Header=BB19_9 Depth=3
	s_set_inst_prefetch_distance 0x2
	s_or_b32 exec_lo, exec_lo, s52
	s_mov_b32 s52, s48
                                        ; implicit-def: $vgpr12_vgpr13
	s_and_saveexec_b32 s53, s51
	s_delay_alu instid0(SALU_CYCLE_1)
	s_xor_b32 s51, exec_lo, s53
; %bb.34:                               ;   in Loop: Header=BB19_9 Depth=3
	v_lshlrev_b64 v[8:9], 3, v[8:9]
	s_or_b32 s52, s48, exec_lo
	s_delay_alu instid0(VALU_DEP_1) | instskip(NEXT) | instid1(VALU_DEP_2)
	v_add_co_u32 v12, vcc_lo, s36, v8
	v_add_co_ci_u32_e32 v13, vcc_lo, s37, v9, vcc_lo
; %bb.35:                               ;   in Loop: Header=BB19_9 Depth=3
	s_or_b32 exec_lo, exec_lo, s51
	s_delay_alu instid0(SALU_CYCLE_1) | instskip(SKIP_1) | instid1(SALU_CYCLE_1)
	s_and_not1_b32 s51, s48, exec_lo
	s_and_b32 s52, s52, exec_lo
	s_or_b32 s51, s51, s52
.LBB19_36:                              ;   in Loop: Header=BB19_9 Depth=3
	s_or_b32 exec_lo, exec_lo, s50
	s_delay_alu instid0(SALU_CYCLE_1) | instskip(SKIP_1) | instid1(SALU_CYCLE_1)
	s_and_not1_b32 s48, s48, exec_lo
	s_and_b32 s50, s51, exec_lo
	s_or_b32 s48, s48, s50
.LBB19_37:                              ;   in Loop: Header=BB19_9 Depth=3
	s_or_b32 exec_lo, exec_lo, s49
	s_delay_alu instid0(SALU_CYCLE_1)
	s_and_b32 s48, s48, exec_lo
                                        ; implicit-def: $vgpr8_vgpr9
	s_and_not1_saveexec_b32 s3, s3
	s_cbranch_execz .LBB19_24
.LBB19_38:                              ;   in Loop: Header=BB19_9 Depth=3
	s_mov_b32 s50, s48
	s_mov_b32 s49, exec_lo
                                        ; implicit-def: $vgpr12_vgpr13
	v_cmpx_lt_i32_e64 v0, v21
	s_cbranch_execz .LBB19_46
; %bb.39:                               ;   in Loop: Header=BB19_9 Depth=3
	s_mov_b32 s51, 0
                                        ; implicit-def: $sgpr50
                                        ; implicit-def: $sgpr53
                                        ; implicit-def: $sgpr52
	s_set_inst_prefetch_distance 0x1
	s_branch .LBB19_41
	.p2align	6
.LBB19_40:                              ;   in Loop: Header=BB19_41 Depth=4
	s_or_b32 exec_lo, exec_lo, s54
	s_delay_alu instid0(SALU_CYCLE_1) | instskip(NEXT) | instid1(SALU_CYCLE_1)
	s_and_b32 s54, exec_lo, s53
	s_or_b32 s51, s54, s51
	s_and_not1_b32 s50, s50, exec_lo
	s_and_b32 s54, s52, exec_lo
	s_delay_alu instid0(SALU_CYCLE_1)
	s_or_b32 s50, s50, s54
	s_and_not1_b32 exec_lo, exec_lo, s51
	s_cbranch_execz .LBB19_43
.LBB19_41:                              ;   Parent Loop BB19_3 Depth=1
                                        ;     Parent Loop BB19_5 Depth=2
                                        ;       Parent Loop BB19_9 Depth=3
                                        ; =>      This Inner Loop Header: Depth=4
	v_add_nc_u32_e32 v9, v5, v0
	s_or_b32 s52, s52, exec_lo
	s_or_b32 s53, s53, exec_lo
	s_mov_b32 s54, exec_lo
	s_delay_alu instid0(VALU_DEP_1) | instskip(NEXT) | instid1(VALU_DEP_1)
	v_ashrrev_i32_e32 v10, 31, v9
	v_lshlrev_b64 v[11:12], 2, v[9:10]
	s_delay_alu instid0(VALU_DEP_1) | instskip(NEXT) | instid1(VALU_DEP_2)
	v_add_co_u32 v11, vcc_lo, s16, v11
	v_add_co_ci_u32_e32 v12, vcc_lo, s17, v12, vcc_lo
	global_load_b32 v4, v[11:12], off
	s_waitcnt vmcnt(0)
	v_subrev_nc_u32_e32 v4, s41, v4
	s_delay_alu instid0(VALU_DEP_1)
	v_cmpx_ne_u32_e64 v4, v8
	s_cbranch_execz .LBB19_40
; %bb.42:                               ;   in Loop: Header=BB19_41 Depth=4
	v_add_nc_u32_e32 v0, 1, v0
	s_and_not1_b32 s53, s53, exec_lo
	s_and_not1_b32 s52, s52, exec_lo
	s_delay_alu instid0(VALU_DEP_1) | instskip(SKIP_1) | instid1(SALU_CYCLE_1)
	v_cmp_ge_i32_e32 vcc_lo, v0, v21
	s_and_b32 s55, vcc_lo, exec_lo
	s_or_b32 s53, s53, s55
	s_branch .LBB19_40
.LBB19_43:                              ;   in Loop: Header=BB19_9 Depth=3
	s_set_inst_prefetch_distance 0x2
	s_or_b32 exec_lo, exec_lo, s51
	s_mov_b32 s51, s48
                                        ; implicit-def: $vgpr12_vgpr13
	s_and_saveexec_b32 s52, s50
	s_delay_alu instid0(SALU_CYCLE_1)
	s_xor_b32 s50, exec_lo, s52
; %bb.44:                               ;   in Loop: Header=BB19_9 Depth=3
	v_lshlrev_b64 v[8:9], 3, v[9:10]
	s_or_b32 s51, s48, exec_lo
	s_delay_alu instid0(VALU_DEP_1) | instskip(NEXT) | instid1(VALU_DEP_2)
	v_add_co_u32 v12, vcc_lo, s38, v8
	v_add_co_ci_u32_e32 v13, vcc_lo, s39, v9, vcc_lo
; %bb.45:                               ;   in Loop: Header=BB19_9 Depth=3
	s_or_b32 exec_lo, exec_lo, s50
	s_delay_alu instid0(SALU_CYCLE_1) | instskip(SKIP_1) | instid1(SALU_CYCLE_1)
	s_and_not1_b32 s50, s48, exec_lo
	s_and_b32 s51, s51, exec_lo
	s_or_b32 s50, s50, s51
.LBB19_46:                              ;   in Loop: Header=BB19_9 Depth=3
	s_or_b32 exec_lo, exec_lo, s49
	s_delay_alu instid0(SALU_CYCLE_1) | instskip(SKIP_1) | instid1(SALU_CYCLE_1)
	s_and_not1_b32 s48, s48, exec_lo
	s_and_b32 s49, s50, exec_lo
	s_or_b32 s48, s48, s49
	s_or_b32 exec_lo, exec_lo, s3
	s_delay_alu instid0(SALU_CYCLE_1)
	s_and_b32 exec_lo, exec_lo, s48
	s_cbranch_execz .LBB19_8
.LBB19_47:                              ;   in Loop: Header=BB19_9 Depth=3
	global_store_b64 v[12:13], v[6:7], off
	s_branch .LBB19_8
.LBB19_48:                              ;   in Loop: Header=BB19_3 Depth=1
	s_and_saveexec_b32 s3, s0
	s_cbranch_execz .LBB19_2
; %bb.49:                               ;   in Loop: Header=BB19_3 Depth=1
	v_mov_b32_e32 v2, v16
	s_mov_b32 s44, 0
	s_branch .LBB19_51
.LBB19_50:                              ;   in Loop: Header=BB19_51 Depth=2
	s_or_b32 exec_lo, exec_lo, s45
	v_add_nc_u32_e32 v2, 32, v2
	s_delay_alu instid0(VALU_DEP_1) | instskip(SKIP_1) | instid1(SALU_CYCLE_1)
	v_cmp_le_u32_e32 vcc_lo, s43, v2
	s_or_b32 s44, vcc_lo, s44
	s_and_not1_b32 exec_lo, exec_lo, s44
	s_cbranch_execz .LBB19_2
.LBB19_51:                              ;   Parent Loop BB19_3 Depth=1
                                        ; =>  This Loop Header: Depth=2
                                        ;       Child Loop BB19_54 Depth 3
                                        ;       Child Loop BB19_57 Depth 3
	s_mov_b32 s45, exec_lo
	s_delay_alu instid0(VALU_DEP_1)
	v_cmpx_gt_i32_e64 s35, v2
	s_cbranch_execz .LBB19_50
; %bb.52:                               ;   in Loop: Header=BB19_51 Depth=2
	v_ashrrev_i32_e32 v3, 31, v2
	s_mov_b32 s46, exec_lo
	s_delay_alu instid0(VALU_DEP_1) | instskip(NEXT) | instid1(VALU_DEP_1)
	v_lshlrev_b64 v[4:5], 2, v[2:3]
	v_add_co_u32 v6, vcc_lo, s12, v4
	s_delay_alu instid0(VALU_DEP_2)
	v_add_co_ci_u32_e32 v7, vcc_lo, s13, v5, vcc_lo
	v_add_co_u32 v8, vcc_lo, s14, v4
	v_add_co_ci_u32_e32 v9, vcc_lo, s15, v5, vcc_lo
	global_load_b32 v0, v[6:7], off
	global_load_b32 v7, v[8:9], off
	s_waitcnt vmcnt(1)
	v_add_nc_u32_e32 v6, v18, v0
	s_waitcnt vmcnt(0)
	v_subrev_nc_u32_e32 v0, s41, v7
	s_delay_alu instid0(VALU_DEP_1)
	v_cmpx_lt_i32_e64 v6, v0
	s_cbranch_execz .LBB19_55
; %bb.53:                               ;   in Loop: Header=BB19_51 Depth=2
	v_ashrrev_i32_e32 v7, 31, v6
	s_mov_b32 s47, 0
	s_delay_alu instid0(VALU_DEP_1) | instskip(NEXT) | instid1(VALU_DEP_1)
	v_lshlrev_b64 v[9:10], 3, v[6:7]
	v_add_co_u32 v7, vcc_lo, s38, v9
	s_delay_alu instid0(VALU_DEP_2)
	v_add_co_ci_u32_e32 v8, vcc_lo, s39, v10, vcc_lo
	v_add_co_u32 v9, vcc_lo, s18, v9
	v_add_co_ci_u32_e32 v10, vcc_lo, s19, v10, vcc_lo
	.p2align	6
.LBB19_54:                              ;   Parent Loop BB19_3 Depth=1
                                        ;     Parent Loop BB19_51 Depth=2
                                        ; =>    This Inner Loop Header: Depth=3
	global_load_b64 v[11:12], v[7:8], off
	v_add_nc_u32_e32 v6, 32, v6
	v_add_co_u32 v7, vcc_lo, 0x100, v7
	v_add_co_ci_u32_e32 v8, vcc_lo, 0, v8, vcc_lo
	s_delay_alu instid0(VALU_DEP_3) | instskip(SKIP_4) | instid1(VALU_DEP_1)
	v_cmp_ge_i32_e32 vcc_lo, v6, v0
	s_or_b32 s47, vcc_lo, s47
	s_waitcnt vmcnt(0)
	global_store_b64 v[9:10], v[11:12], off
	v_add_co_u32 v9, s2, 0x100, v9
	v_add_co_ci_u32_e64 v10, s2, 0, v10, s2
	s_and_not1_b32 exec_lo, exec_lo, s47
	s_cbranch_execnz .LBB19_54
.LBB19_55:                              ;   in Loop: Header=BB19_51 Depth=2
	s_or_b32 exec_lo, exec_lo, s46
	v_add_co_u32 v6, vcc_lo, s4, v4
	v_add_co_ci_u32_e32 v7, vcc_lo, s5, v5, vcc_lo
	v_add_co_u32 v4, vcc_lo, s6, v4
	v_add_co_ci_u32_e32 v5, vcc_lo, s7, v5, vcc_lo
	s_mov_b32 s46, exec_lo
	global_load_b32 v0, v[6:7], off
	global_load_b32 v5, v[4:5], off
	s_waitcnt vmcnt(1)
	v_add_nc_u32_e32 v4, v19, v0
	s_waitcnt vmcnt(0)
	v_subrev_nc_u32_e32 v0, s42, v5
	s_delay_alu instid0(VALU_DEP_1)
	v_cmpx_lt_i32_e64 v4, v0
	s_cbranch_execz .LBB19_58
; %bb.56:                               ;   in Loop: Header=BB19_51 Depth=2
	v_ashrrev_i32_e32 v5, 31, v4
	s_mov_b32 s47, 0
	s_delay_alu instid0(VALU_DEP_1) | instskip(NEXT) | instid1(VALU_DEP_1)
	v_lshlrev_b64 v[7:8], 3, v[4:5]
	v_add_co_u32 v5, vcc_lo, s36, v7
	s_delay_alu instid0(VALU_DEP_2)
	v_add_co_ci_u32_e32 v6, vcc_lo, s37, v8, vcc_lo
	v_add_co_u32 v7, vcc_lo, s10, v7
	v_add_co_ci_u32_e32 v8, vcc_lo, s11, v8, vcc_lo
	.p2align	6
.LBB19_57:                              ;   Parent Loop BB19_3 Depth=1
                                        ;     Parent Loop BB19_51 Depth=2
                                        ; =>    This Inner Loop Header: Depth=3
	global_load_b64 v[9:10], v[5:6], off
	v_add_nc_u32_e32 v4, 32, v4
	v_add_co_u32 v5, vcc_lo, 0x100, v5
	v_add_co_ci_u32_e32 v6, vcc_lo, 0, v6, vcc_lo
	s_delay_alu instid0(VALU_DEP_3) | instskip(SKIP_4) | instid1(VALU_DEP_1)
	v_cmp_ge_i32_e32 vcc_lo, v4, v0
	s_or_b32 s47, vcc_lo, s47
	s_waitcnt vmcnt(0)
	global_store_b64 v[7:8], v[9:10], off
	v_add_co_u32 v7, s2, 0x100, v7
	v_add_co_ci_u32_e64 v8, s2, 0, v8, s2
	s_and_not1_b32 exec_lo, exec_lo, s47
	s_cbranch_execnz .LBB19_57
.LBB19_58:                              ;   in Loop: Header=BB19_51 Depth=2
	s_or_b32 exec_lo, exec_lo, s46
	s_delay_alu instid0(SALU_CYCLE_1)
	s_and_b32 exec_lo, exec_lo, s1
	s_cbranch_execz .LBB19_50
; %bb.59:                               ;   in Loop: Header=BB19_51 Depth=2
	v_lshlrev_b64 v[3:4], 3, v[2:3]
	s_delay_alu instid0(VALU_DEP_1) | instskip(NEXT) | instid1(VALU_DEP_2)
	v_add_co_u32 v5, vcc_lo, s30, v3
	v_add_co_ci_u32_e32 v6, vcc_lo, s31, v4, vcc_lo
	v_add_co_u32 v3, vcc_lo, s28, v3
	v_add_co_ci_u32_e32 v4, vcc_lo, s29, v4, vcc_lo
	global_load_b64 v[5:6], v[5:6], off
	s_waitcnt vmcnt(0)
	global_store_b64 v[3:4], v[5:6], off
	s_branch .LBB19_50
.LBB19_60:
	s_nop 0
	s_sendmsg sendmsg(MSG_DEALLOC_VGPRS)
	s_endpgm
	.section	.rodata,"a",@progbits
	.p2align	6, 0x0
	.amdhsa_kernel _ZN9rocsparseL14kernel_freerunILi1024ELi32EdiiEEvT3_S1_T2_PKS2_S4_PKS1_PKT1_21rocsparse_index_base_S4_S4_S6_PS7_SB_SA_S4_S4_S6_SB_SB_SA_SB_SB_
		.amdhsa_group_segment_fixed_size 0
		.amdhsa_private_segment_fixed_size 0
		.amdhsa_kernarg_size 168
		.amdhsa_user_sgpr_count 15
		.amdhsa_user_sgpr_dispatch_ptr 0
		.amdhsa_user_sgpr_queue_ptr 0
		.amdhsa_user_sgpr_kernarg_segment_ptr 1
		.amdhsa_user_sgpr_dispatch_id 0
		.amdhsa_user_sgpr_private_segment_size 0
		.amdhsa_wavefront_size32 1
		.amdhsa_uses_dynamic_stack 0
		.amdhsa_enable_private_segment 0
		.amdhsa_system_sgpr_workgroup_id_x 1
		.amdhsa_system_sgpr_workgroup_id_y 0
		.amdhsa_system_sgpr_workgroup_id_z 0
		.amdhsa_system_sgpr_workgroup_info 0
		.amdhsa_system_vgpr_workitem_id 0
		.amdhsa_next_free_vgpr 34
		.amdhsa_next_free_sgpr 57
		.amdhsa_reserve_vcc 1
		.amdhsa_float_round_mode_32 0
		.amdhsa_float_round_mode_16_64 0
		.amdhsa_float_denorm_mode_32 3
		.amdhsa_float_denorm_mode_16_64 3
		.amdhsa_dx10_clamp 1
		.amdhsa_ieee_mode 1
		.amdhsa_fp16_overflow 0
		.amdhsa_workgroup_processor_mode 1
		.amdhsa_memory_ordered 1
		.amdhsa_forward_progress 0
		.amdhsa_shared_vgpr_count 0
		.amdhsa_exception_fp_ieee_invalid_op 0
		.amdhsa_exception_fp_denorm_src 0
		.amdhsa_exception_fp_ieee_div_zero 0
		.amdhsa_exception_fp_ieee_overflow 0
		.amdhsa_exception_fp_ieee_underflow 0
		.amdhsa_exception_fp_ieee_inexact 0
		.amdhsa_exception_int_div_zero 0
	.end_amdhsa_kernel
	.section	.text._ZN9rocsparseL14kernel_freerunILi1024ELi32EdiiEEvT3_S1_T2_PKS2_S4_PKS1_PKT1_21rocsparse_index_base_S4_S4_S6_PS7_SB_SA_S4_S4_S6_SB_SB_SA_SB_SB_,"axG",@progbits,_ZN9rocsparseL14kernel_freerunILi1024ELi32EdiiEEvT3_S1_T2_PKS2_S4_PKS1_PKT1_21rocsparse_index_base_S4_S4_S6_PS7_SB_SA_S4_S4_S6_SB_SB_SA_SB_SB_,comdat
.Lfunc_end19:
	.size	_ZN9rocsparseL14kernel_freerunILi1024ELi32EdiiEEvT3_S1_T2_PKS2_S4_PKS1_PKT1_21rocsparse_index_base_S4_S4_S6_PS7_SB_SA_S4_S4_S6_SB_SB_SA_SB_SB_, .Lfunc_end19-_ZN9rocsparseL14kernel_freerunILi1024ELi32EdiiEEvT3_S1_T2_PKS2_S4_PKS1_PKT1_21rocsparse_index_base_S4_S4_S6_PS7_SB_SA_S4_S4_S6_SB_SB_SA_SB_SB_
                                        ; -- End function
	.section	.AMDGPU.csdata,"",@progbits
; Kernel info:
; codeLenInByte = 2600
; NumSgprs: 59
; NumVgprs: 34
; ScratchSize: 0
; MemoryBound: 1
; FloatMode: 240
; IeeeMode: 1
; LDSByteSize: 0 bytes/workgroup (compile time only)
; SGPRBlocks: 7
; VGPRBlocks: 4
; NumSGPRsForWavesPerEU: 59
; NumVGPRsForWavesPerEU: 34
; Occupancy: 16
; WaveLimiterHint : 1
; COMPUTE_PGM_RSRC2:SCRATCH_EN: 0
; COMPUTE_PGM_RSRC2:USER_SGPR: 15
; COMPUTE_PGM_RSRC2:TRAP_HANDLER: 0
; COMPUTE_PGM_RSRC2:TGID_X_EN: 1
; COMPUTE_PGM_RSRC2:TGID_Y_EN: 0
; COMPUTE_PGM_RSRC2:TGID_Z_EN: 0
; COMPUTE_PGM_RSRC2:TIDIG_COMP_CNT: 0
	.section	.text._ZN9rocsparseL14kernel_freerunILi1024ELi64EdiiEEvT3_S1_T2_PKS2_S4_PKS1_PKT1_21rocsparse_index_base_S4_S4_S6_PS7_SB_SA_S4_S4_S6_SB_SB_SA_SB_SB_,"axG",@progbits,_ZN9rocsparseL14kernel_freerunILi1024ELi64EdiiEEvT3_S1_T2_PKS2_S4_PKS1_PKT1_21rocsparse_index_base_S4_S4_S6_PS7_SB_SA_S4_S4_S6_SB_SB_SA_SB_SB_,comdat
	.globl	_ZN9rocsparseL14kernel_freerunILi1024ELi64EdiiEEvT3_S1_T2_PKS2_S4_PKS1_PKT1_21rocsparse_index_base_S4_S4_S6_PS7_SB_SA_S4_S4_S6_SB_SB_SA_SB_SB_ ; -- Begin function _ZN9rocsparseL14kernel_freerunILi1024ELi64EdiiEEvT3_S1_T2_PKS2_S4_PKS1_PKT1_21rocsparse_index_base_S4_S4_S6_PS7_SB_SA_S4_S4_S6_SB_SB_SA_SB_SB_
	.p2align	8
	.type	_ZN9rocsparseL14kernel_freerunILi1024ELi64EdiiEEvT3_S1_T2_PKS2_S4_PKS1_PKT1_21rocsparse_index_base_S4_S4_S6_PS7_SB_SA_S4_S4_S6_SB_SB_SA_SB_SB_,@function
_ZN9rocsparseL14kernel_freerunILi1024ELi64EdiiEEvT3_S1_T2_PKS2_S4_PKS1_PKT1_21rocsparse_index_base_S4_S4_S6_PS7_SB_SA_S4_S4_S6_SB_SB_SA_SB_SB_: ; @_ZN9rocsparseL14kernel_freerunILi1024ELi64EdiiEEvT3_S1_T2_PKS2_S4_PKS1_PKT1_21rocsparse_index_base_S4_S4_S6_PS7_SB_SA_S4_S4_S6_SB_SB_SA_SB_SB_
; %bb.0:
	s_load_b64 s[34:35], s[0:1], 0x0
	v_lshrrev_b32_e32 v1, 6, v0
	s_lshl_b32 s43, s15, 10
	s_mov_b32 s33, 0
	s_delay_alu instid0(VALU_DEP_1) | instskip(SKIP_1) | instid1(VALU_DEP_1)
	v_or_b32_e32 v16, s43, v1
	s_waitcnt lgkmcnt(0)
	v_cmp_gt_i32_e32 vcc_lo, s35, v16
	s_cmp_gt_i32 s34, 0
	s_cselect_b32 s2, -1, 0
	s_delay_alu instid0(SALU_CYCLE_1) | instskip(NEXT) | instid1(SALU_CYCLE_1)
	s_and_b32 s2, vcc_lo, s2
	s_and_saveexec_b32 s3, s2
	s_cbranch_execz .LBB20_60
; %bb.1:
	s_clause 0x8
	s_load_b32 s40, s[0:1], 0x30
	s_load_b32 s41, s[0:1], 0x60
	;; [unrolled: 1-line block ×3, first 2 shown]
	s_load_b64 s[36:37], s[0:1], 0x88
	s_load_b64 s[38:39], s[0:1], 0x58
	s_load_b128 s[28:31], s[0:1], 0x98
	s_load_b256 s[4:11], s[0:1], 0x68
	s_load_b256 s[12:19], s[0:1], 0x38
	;; [unrolled: 1-line block ×3, first 2 shown]
	v_dual_mov_b32 v1, 0 :: v_dual_and_b32 v0, 63, v0
	s_addk_i32 s43, 0x400
	s_delay_alu instid0(SALU_CYCLE_1) | instskip(NEXT) | instid1(VALU_DEP_2)
	v_cmp_gt_u32_e64 s0, s43, v16
	v_cmp_eq_u32_e64 s1, 0, v0
	s_waitcnt lgkmcnt(0)
	v_subrev_nc_u32_e32 v17, s40, v0
	v_subrev_nc_u32_e32 v18, s41, v0
	v_subrev_nc_u32_e32 v19, s42, v0
	s_branch .LBB20_3
.LBB20_2:                               ;   in Loop: Header=BB20_3 Depth=1
	s_or_b32 exec_lo, exec_lo, s3
	s_add_i32 s33, s33, 1
	s_delay_alu instid0(SALU_CYCLE_1)
	s_cmp_eq_u32 s33, s34
	s_cbranch_scc1 .LBB20_60
.LBB20_3:                               ; =>This Loop Header: Depth=1
                                        ;     Child Loop BB20_5 Depth 2
                                        ;       Child Loop BB20_9 Depth 3
                                        ;         Child Loop BB20_13 Depth 4
                                        ;         Child Loop BB20_31 Depth 4
	;; [unrolled: 1-line block ×3, first 2 shown]
                                        ;     Child Loop BB20_51 Depth 2
                                        ;       Child Loop BB20_54 Depth 3
                                        ;       Child Loop BB20_57 Depth 3
	s_mov_b32 s44, 0
	s_branch .LBB20_5
.LBB20_4:                               ;   in Loop: Header=BB20_5 Depth=2
	s_or_b32 exec_lo, exec_lo, s45
	s_add_i32 s44, s44, 1
	s_delay_alu instid0(SALU_CYCLE_1)
	s_cmp_eq_u32 s44, 64
	s_cbranch_scc1 .LBB20_48
.LBB20_5:                               ;   Parent Loop BB20_3 Depth=1
                                        ; =>  This Loop Header: Depth=2
                                        ;       Child Loop BB20_9 Depth 3
                                        ;         Child Loop BB20_13 Depth 4
                                        ;         Child Loop BB20_31 Depth 4
	;; [unrolled: 1-line block ×3, first 2 shown]
	v_lshl_add_u32 v2, s44, 4, v16
	s_mov_b32 s45, exec_lo
	s_delay_alu instid0(VALU_DEP_1)
	v_cmpx_gt_i32_e64 s35, v2
	s_cbranch_execz .LBB20_4
; %bb.6:                                ;   in Loop: Header=BB20_5 Depth=2
	v_ashrrev_i32_e32 v3, 31, v2
	s_delay_alu instid0(VALU_DEP_1) | instskip(NEXT) | instid1(VALU_DEP_1)
	v_lshlrev_b64 v[4:5], 2, v[2:3]
	v_add_co_u32 v6, vcc_lo, s20, v4
	s_delay_alu instid0(VALU_DEP_2)
	v_add_co_ci_u32_e32 v7, vcc_lo, s21, v5, vcc_lo
	v_add_co_u32 v8, vcc_lo, s22, v4
	v_add_co_ci_u32_e32 v9, vcc_lo, s23, v5, vcc_lo
	global_load_b32 v0, v[6:7], off
	global_load_b32 v6, v[8:9], off
	s_waitcnt vmcnt(1)
	v_add_nc_u32_e32 v3, v17, v0
	s_waitcnt vmcnt(0)
	v_subrev_nc_u32_e32 v20, s40, v6
	s_delay_alu instid0(VALU_DEP_1)
	v_cmp_lt_i32_e32 vcc_lo, v3, v20
	s_and_b32 exec_lo, exec_lo, vcc_lo
	s_cbranch_execz .LBB20_4
; %bb.7:                                ;   in Loop: Header=BB20_5 Depth=2
	v_add_co_u32 v6, vcc_lo, s12, v4
	v_add_co_ci_u32_e32 v7, vcc_lo, s13, v5, vcc_lo
	v_add_co_u32 v4, vcc_lo, s14, v4
	v_add_co_ci_u32_e32 v5, vcc_lo, s15, v5, vcc_lo
	global_load_b32 v0, v[6:7], off
	s_mov_b32 s46, 0
	global_load_b32 v4, v[4:5], off
	s_waitcnt vmcnt(1)
	v_subrev_nc_u32_e32 v5, s41, v0
	s_waitcnt vmcnt(0)
	v_sub_nc_u32_e32 v21, v4, v0
	s_delay_alu instid0(VALU_DEP_2) | instskip(NEXT) | instid1(VALU_DEP_2)
	v_ashrrev_i32_e32 v6, 31, v5
	v_cmp_lt_i32_e64 s2, 0, v21
	s_delay_alu instid0(VALU_DEP_2) | instskip(SKIP_1) | instid1(VALU_DEP_2)
	v_lshlrev_b64 v[7:8], 2, v[5:6]
	v_lshlrev_b64 v[9:10], 3, v[5:6]
	v_add_co_u32 v22, vcc_lo, s16, v7
	s_delay_alu instid0(VALU_DEP_3) | instskip(NEXT) | instid1(VALU_DEP_3)
	v_add_co_ci_u32_e32 v23, vcc_lo, s17, v8, vcc_lo
	v_add_co_u32 v24, vcc_lo, s18, v9
	s_delay_alu instid0(VALU_DEP_4)
	v_add_co_ci_u32_e32 v25, vcc_lo, s19, v10, vcc_lo
	s_branch .LBB20_9
.LBB20_8:                               ;   in Loop: Header=BB20_9 Depth=3
	s_or_b32 exec_lo, exec_lo, s47
	v_add_nc_u32_e32 v3, 64, v3
	s_delay_alu instid0(VALU_DEP_1) | instskip(SKIP_1) | instid1(SALU_CYCLE_1)
	v_cmp_ge_i32_e32 vcc_lo, v3, v20
	s_or_b32 s46, vcc_lo, s46
	s_and_not1_b32 exec_lo, exec_lo, s46
	s_cbranch_execz .LBB20_4
.LBB20_9:                               ;   Parent Loop BB20_3 Depth=1
                                        ;     Parent Loop BB20_5 Depth=2
                                        ; =>    This Loop Header: Depth=3
                                        ;         Child Loop BB20_13 Depth 4
                                        ;         Child Loop BB20_31 Depth 4
	;; [unrolled: 1-line block ×3, first 2 shown]
	v_ashrrev_i32_e32 v4, 31, v3
	s_delay_alu instid0(VALU_DEP_1) | instskip(NEXT) | instid1(VALU_DEP_1)
	v_lshlrev_b64 v[6:7], 2, v[3:4]
	v_add_co_u32 v6, vcc_lo, s24, v6
	s_delay_alu instid0(VALU_DEP_2) | instskip(SKIP_3) | instid1(VALU_DEP_1)
	v_add_co_ci_u32_e32 v7, vcc_lo, s25, v7, vcc_lo
	global_load_b32 v0, v[6:7], off
	s_waitcnt vmcnt(0)
	v_subrev_nc_u32_e32 v8, s40, v0
	v_ashrrev_i32_e32 v9, 31, v8
	s_delay_alu instid0(VALU_DEP_1) | instskip(NEXT) | instid1(VALU_DEP_1)
	v_lshlrev_b64 v[6:7], 2, v[8:9]
	v_add_co_u32 v10, vcc_lo, s4, v6
	s_delay_alu instid0(VALU_DEP_2)
	v_add_co_ci_u32_e32 v11, vcc_lo, s5, v7, vcc_lo
	v_add_co_u32 v6, vcc_lo, s6, v6
	v_add_co_ci_u32_e32 v7, vcc_lo, s7, v7, vcc_lo
	global_load_b32 v0, v[10:11], off
	global_load_b32 v12, v[6:7], off
	v_dual_mov_b32 v6, 0 :: v_dual_mov_b32 v11, 0
	v_mov_b32_e32 v7, 0
	s_waitcnt vmcnt(1)
	v_subrev_nc_u32_e32 v10, s42, v0
	s_waitcnt vmcnt(0)
	v_sub_nc_u32_e32 v26, v12, v0
	v_mov_b32_e32 v0, 0
	s_and_saveexec_b32 s47, s2
	s_cbranch_execz .LBB20_17
; %bb.10:                               ;   in Loop: Header=BB20_9 Depth=3
	v_ashrrev_i32_e32 v11, 31, v10
	v_mov_b32_e32 v0, 0
	s_mov_b32 s48, 0
                                        ; implicit-def: $sgpr49
	s_delay_alu instid0(VALU_DEP_2) | instskip(SKIP_1) | instid1(VALU_DEP_2)
	v_lshlrev_b64 v[6:7], 2, v[10:11]
	v_lshlrev_b64 v[11:12], 3, v[10:11]
	v_add_co_u32 v13, vcc_lo, s8, v6
	s_delay_alu instid0(VALU_DEP_3) | instskip(NEXT) | instid1(VALU_DEP_3)
	v_add_co_ci_u32_e32 v14, vcc_lo, s9, v7, vcc_lo
	v_add_co_u32 v15, vcc_lo, s10, v11
	v_mov_b32_e32 v6, 0
	v_add_co_ci_u32_e32 v27, vcc_lo, s11, v12, vcc_lo
	v_mov_b32_e32 v7, 0
	v_mov_b32_e32 v11, v0
	s_branch .LBB20_13
.LBB20_11:                              ;   in Loop: Header=BB20_13 Depth=4
	s_or_b32 exec_lo, exec_lo, s3
	v_cmp_le_i32_e32 vcc_lo, v28, v29
	v_cmp_ge_i32_e64 s3, v28, v29
	v_add_co_ci_u32_e32 v0, vcc_lo, 0, v0, vcc_lo
	s_delay_alu instid0(VALU_DEP_2) | instskip(SKIP_1) | instid1(VALU_DEP_2)
	v_add_co_ci_u32_e64 v11, s3, 0, v11, s3
	s_and_not1_b32 s3, s49, exec_lo
	v_cmp_ge_i32_e32 vcc_lo, v0, v21
	s_and_b32 s49, vcc_lo, exec_lo
	s_delay_alu instid0(SALU_CYCLE_1)
	s_or_b32 s49, s3, s49
.LBB20_12:                              ;   in Loop: Header=BB20_13 Depth=4
	s_or_b32 exec_lo, exec_lo, s50
	s_delay_alu instid0(SALU_CYCLE_1) | instskip(NEXT) | instid1(SALU_CYCLE_1)
	s_and_b32 s3, exec_lo, s49
	s_or_b32 s48, s3, s48
	s_delay_alu instid0(SALU_CYCLE_1)
	s_and_not1_b32 exec_lo, exec_lo, s48
	s_cbranch_execz .LBB20_16
.LBB20_13:                              ;   Parent Loop BB20_3 Depth=1
                                        ;     Parent Loop BB20_5 Depth=2
                                        ;       Parent Loop BB20_9 Depth=3
                                        ; =>      This Inner Loop Header: Depth=4
	s_or_b32 s49, s49, exec_lo
	s_mov_b32 s50, exec_lo
	s_delay_alu instid0(VALU_DEP_1)
	v_cmpx_lt_i32_e64 v11, v26
	s_cbranch_execz .LBB20_12
; %bb.14:                               ;   in Loop: Header=BB20_13 Depth=4
	v_mov_b32_e32 v12, v1
	v_lshlrev_b64 v[28:29], 2, v[0:1]
	s_mov_b32 s3, exec_lo
	s_delay_alu instid0(VALU_DEP_2) | instskip(NEXT) | instid1(VALU_DEP_2)
	v_lshlrev_b64 v[30:31], 2, v[11:12]
	v_add_co_u32 v28, vcc_lo, v22, v28
	s_delay_alu instid0(VALU_DEP_3) | instskip(NEXT) | instid1(VALU_DEP_3)
	v_add_co_ci_u32_e32 v29, vcc_lo, v23, v29, vcc_lo
	v_add_co_u32 v30, vcc_lo, v13, v30
	s_delay_alu instid0(VALU_DEP_4)
	v_add_co_ci_u32_e32 v31, vcc_lo, v14, v31, vcc_lo
	global_load_b32 v28, v[28:29], off
	global_load_b32 v29, v[30:31], off
	s_waitcnt vmcnt(1)
	v_subrev_nc_u32_e32 v28, s41, v28
	s_waitcnt vmcnt(0)
	v_subrev_nc_u32_e32 v29, s42, v29
	s_delay_alu instid0(VALU_DEP_1)
	v_cmpx_eq_u32_e64 v28, v29
	s_cbranch_execz .LBB20_11
; %bb.15:                               ;   in Loop: Header=BB20_13 Depth=4
	v_lshlrev_b64 v[30:31], 3, v[0:1]
	v_lshlrev_b64 v[32:33], 3, v[11:12]
	s_delay_alu instid0(VALU_DEP_2) | instskip(NEXT) | instid1(VALU_DEP_3)
	v_add_co_u32 v30, vcc_lo, v24, v30
	v_add_co_ci_u32_e32 v31, vcc_lo, v25, v31, vcc_lo
	s_delay_alu instid0(VALU_DEP_3) | instskip(NEXT) | instid1(VALU_DEP_4)
	v_add_co_u32 v32, vcc_lo, v15, v32
	v_add_co_ci_u32_e32 v33, vcc_lo, v27, v33, vcc_lo
	global_load_b64 v[30:31], v[30:31], off
	global_load_b64 v[32:33], v[32:33], off
	s_waitcnt vmcnt(0)
	v_fma_f64 v[6:7], v[30:31], v[32:33], v[6:7]
	s_branch .LBB20_11
.LBB20_16:                              ;   in Loop: Header=BB20_9 Depth=3
	s_or_b32 exec_lo, exec_lo, s48
.LBB20_17:                              ;   in Loop: Header=BB20_9 Depth=3
	s_delay_alu instid0(SALU_CYCLE_1) | instskip(SKIP_3) | instid1(VALU_DEP_2)
	s_or_b32 exec_lo, exec_lo, s47
	v_lshlrev_b64 v[12:13], 3, v[3:4]
	v_cmp_le_i32_e64 s3, v2, v8
	s_mov_b32 s47, exec_lo
	v_add_co_u32 v12, vcc_lo, s26, v12
	s_delay_alu instid0(VALU_DEP_3)
	v_add_co_ci_u32_e32 v13, vcc_lo, s27, v13, vcc_lo
	global_load_b64 v[12:13], v[12:13], off
	s_waitcnt vmcnt(0)
	v_add_f64 v[6:7], v[12:13], -v[6:7]
	v_cmpx_gt_i32_e64 v2, v8
	s_cbranch_execz .LBB20_21
; %bb.18:                               ;   in Loop: Header=BB20_9 Depth=3
	v_lshlrev_b64 v[12:13], 3, v[8:9]
	v_mov_b32_e32 v14, 0
	v_mov_b32_e32 v15, 0
	s_mov_b32 s48, exec_lo
	s_delay_alu instid0(VALU_DEP_3) | instskip(NEXT) | instid1(VALU_DEP_4)
	v_add_co_u32 v12, vcc_lo, s28, v12
	v_add_co_ci_u32_e32 v13, vcc_lo, s29, v13, vcc_lo
	global_load_b64 v[12:13], v[12:13], off
	s_waitcnt vmcnt(0)
	v_cmpx_lg_f64_e32 0, v[12:13]
; %bb.19:                               ;   in Loop: Header=BB20_9 Depth=3
	v_div_scale_f64 v[14:15], null, v[12:13], v[12:13], v[6:7]
	s_delay_alu instid0(VALU_DEP_1) | instskip(SKIP_2) | instid1(VALU_DEP_1)
	v_rcp_f64_e32 v[27:28], v[14:15]
	s_waitcnt_depctr 0xfff
	v_fma_f64 v[29:30], -v[14:15], v[27:28], 1.0
	v_fma_f64 v[27:28], v[27:28], v[29:30], v[27:28]
	s_delay_alu instid0(VALU_DEP_1) | instskip(NEXT) | instid1(VALU_DEP_1)
	v_fma_f64 v[29:30], -v[14:15], v[27:28], 1.0
	v_fma_f64 v[27:28], v[27:28], v[29:30], v[27:28]
	v_div_scale_f64 v[29:30], vcc_lo, v[6:7], v[12:13], v[6:7]
	s_delay_alu instid0(VALU_DEP_1) | instskip(NEXT) | instid1(VALU_DEP_1)
	v_mul_f64 v[31:32], v[29:30], v[27:28]
	v_fma_f64 v[14:15], -v[14:15], v[31:32], v[29:30]
	s_delay_alu instid0(VALU_DEP_1) | instskip(NEXT) | instid1(VALU_DEP_1)
	v_div_fmas_f64 v[14:15], v[14:15], v[27:28], v[31:32]
	v_div_fixup_f64 v[14:15], v[14:15], v[12:13], v[6:7]
; %bb.20:                               ;   in Loop: Header=BB20_9 Depth=3
	s_or_b32 exec_lo, exec_lo, s48
	s_delay_alu instid0(VALU_DEP_1)
	v_dual_mov_b32 v6, v14 :: v_dual_mov_b32 v7, v15
.LBB20_21:                              ;   in Loop: Header=BB20_9 Depth=3
	s_or_b32 exec_lo, exec_lo, s47
	s_delay_alu instid0(VALU_DEP_1) | instskip(NEXT) | instid1(VALU_DEP_1)
	v_cmp_class_f64_e64 s48, v[6:7], 0x1f8
	s_and_saveexec_b32 s47, s48
	s_cbranch_execz .LBB20_8
; %bb.22:                               ;   in Loop: Header=BB20_9 Depth=3
	s_mov_b32 s48, 0
                                        ; implicit-def: $vgpr12_vgpr13
	s_and_saveexec_b32 s49, s3
	s_delay_alu instid0(SALU_CYCLE_1)
	s_xor_b32 s3, exec_lo, s49
	s_cbranch_execnz .LBB20_25
; %bb.23:                               ;   in Loop: Header=BB20_9 Depth=3
	s_and_not1_saveexec_b32 s3, s3
	s_cbranch_execnz .LBB20_38
.LBB20_24:                              ;   in Loop: Header=BB20_9 Depth=3
	s_or_b32 exec_lo, exec_lo, s3
	s_delay_alu instid0(SALU_CYCLE_1)
	s_and_b32 exec_lo, exec_lo, s48
	s_cbranch_execz .LBB20_8
	s_branch .LBB20_47
.LBB20_25:                              ;   in Loop: Header=BB20_9 Depth=3
	s_mov_b32 s49, exec_lo
                                        ; implicit-def: $vgpr12_vgpr13
	v_cmpx_ge_i32_e64 v2, v8
	s_xor_b32 s49, exec_lo, s49
; %bb.26:                               ;   in Loop: Header=BB20_9 Depth=3
	v_lshlrev_b64 v[8:9], 3, v[8:9]
	s_mov_b32 s48, exec_lo
                                        ; implicit-def: $vgpr11
                                        ; implicit-def: $vgpr26
                                        ; implicit-def: $vgpr10
	s_delay_alu instid0(VALU_DEP_1) | instskip(NEXT) | instid1(VALU_DEP_2)
	v_add_co_u32 v12, vcc_lo, s30, v8
	v_add_co_ci_u32_e32 v13, vcc_lo, s31, v9, vcc_lo
; %bb.27:                               ;   in Loop: Header=BB20_9 Depth=3
	s_and_not1_saveexec_b32 s49, s49
	s_cbranch_execz .LBB20_37
; %bb.28:                               ;   in Loop: Header=BB20_9 Depth=3
	s_mov_b32 s51, s48
	s_mov_b32 s50, exec_lo
                                        ; implicit-def: $vgpr12_vgpr13
	v_cmpx_lt_i32_e64 v11, v26
	s_cbranch_execz .LBB20_36
; %bb.29:                               ;   in Loop: Header=BB20_9 Depth=3
	s_mov_b32 s52, 0
                                        ; implicit-def: $sgpr51
                                        ; implicit-def: $sgpr54
                                        ; implicit-def: $sgpr53
	s_set_inst_prefetch_distance 0x1
	s_branch .LBB20_31
	.p2align	6
.LBB20_30:                              ;   in Loop: Header=BB20_31 Depth=4
	s_or_b32 exec_lo, exec_lo, s55
	s_delay_alu instid0(SALU_CYCLE_1) | instskip(NEXT) | instid1(SALU_CYCLE_1)
	s_and_b32 s55, exec_lo, s54
	s_or_b32 s52, s55, s52
	s_and_not1_b32 s51, s51, exec_lo
	s_and_b32 s55, s53, exec_lo
	s_delay_alu instid0(SALU_CYCLE_1)
	s_or_b32 s51, s51, s55
	s_and_not1_b32 exec_lo, exec_lo, s52
	s_cbranch_execz .LBB20_33
.LBB20_31:                              ;   Parent Loop BB20_3 Depth=1
                                        ;     Parent Loop BB20_5 Depth=2
                                        ;       Parent Loop BB20_9 Depth=3
                                        ; =>      This Inner Loop Header: Depth=4
	v_add_nc_u32_e32 v8, v10, v11
	s_or_b32 s53, s53, exec_lo
	s_or_b32 s54, s54, exec_lo
	s_mov_b32 s55, exec_lo
	s_delay_alu instid0(VALU_DEP_1) | instskip(NEXT) | instid1(VALU_DEP_1)
	v_ashrrev_i32_e32 v9, 31, v8
	v_lshlrev_b64 v[12:13], 2, v[8:9]
	s_delay_alu instid0(VALU_DEP_1) | instskip(NEXT) | instid1(VALU_DEP_2)
	v_add_co_u32 v12, vcc_lo, s8, v12
	v_add_co_ci_u32_e32 v13, vcc_lo, s9, v13, vcc_lo
	global_load_b32 v0, v[12:13], off
	s_waitcnt vmcnt(0)
	v_subrev_nc_u32_e32 v0, s42, v0
	s_delay_alu instid0(VALU_DEP_1)
	v_cmpx_ne_u32_e64 v0, v2
	s_cbranch_execz .LBB20_30
; %bb.32:                               ;   in Loop: Header=BB20_31 Depth=4
	v_add_nc_u32_e32 v11, 1, v11
	s_and_not1_b32 s54, s54, exec_lo
	s_and_not1_b32 s53, s53, exec_lo
	s_delay_alu instid0(VALU_DEP_1) | instskip(SKIP_1) | instid1(SALU_CYCLE_1)
	v_cmp_ge_i32_e32 vcc_lo, v11, v26
	s_and_b32 s56, vcc_lo, exec_lo
	s_or_b32 s54, s54, s56
	s_branch .LBB20_30
.LBB20_33:                              ;   in Loop: Header=BB20_9 Depth=3
	s_set_inst_prefetch_distance 0x2
	s_or_b32 exec_lo, exec_lo, s52
	s_mov_b32 s52, s48
                                        ; implicit-def: $vgpr12_vgpr13
	s_and_saveexec_b32 s53, s51
	s_delay_alu instid0(SALU_CYCLE_1)
	s_xor_b32 s51, exec_lo, s53
; %bb.34:                               ;   in Loop: Header=BB20_9 Depth=3
	v_lshlrev_b64 v[8:9], 3, v[8:9]
	s_or_b32 s52, s48, exec_lo
	s_delay_alu instid0(VALU_DEP_1) | instskip(NEXT) | instid1(VALU_DEP_2)
	v_add_co_u32 v12, vcc_lo, s36, v8
	v_add_co_ci_u32_e32 v13, vcc_lo, s37, v9, vcc_lo
; %bb.35:                               ;   in Loop: Header=BB20_9 Depth=3
	s_or_b32 exec_lo, exec_lo, s51
	s_delay_alu instid0(SALU_CYCLE_1) | instskip(SKIP_1) | instid1(SALU_CYCLE_1)
	s_and_not1_b32 s51, s48, exec_lo
	s_and_b32 s52, s52, exec_lo
	s_or_b32 s51, s51, s52
.LBB20_36:                              ;   in Loop: Header=BB20_9 Depth=3
	s_or_b32 exec_lo, exec_lo, s50
	s_delay_alu instid0(SALU_CYCLE_1) | instskip(SKIP_1) | instid1(SALU_CYCLE_1)
	s_and_not1_b32 s48, s48, exec_lo
	s_and_b32 s50, s51, exec_lo
	s_or_b32 s48, s48, s50
.LBB20_37:                              ;   in Loop: Header=BB20_9 Depth=3
	s_or_b32 exec_lo, exec_lo, s49
	s_delay_alu instid0(SALU_CYCLE_1)
	s_and_b32 s48, s48, exec_lo
                                        ; implicit-def: $vgpr8_vgpr9
	s_and_not1_saveexec_b32 s3, s3
	s_cbranch_execz .LBB20_24
.LBB20_38:                              ;   in Loop: Header=BB20_9 Depth=3
	s_mov_b32 s50, s48
	s_mov_b32 s49, exec_lo
                                        ; implicit-def: $vgpr12_vgpr13
	v_cmpx_lt_i32_e64 v0, v21
	s_cbranch_execz .LBB20_46
; %bb.39:                               ;   in Loop: Header=BB20_9 Depth=3
	s_mov_b32 s51, 0
                                        ; implicit-def: $sgpr50
                                        ; implicit-def: $sgpr53
                                        ; implicit-def: $sgpr52
	s_set_inst_prefetch_distance 0x1
	s_branch .LBB20_41
	.p2align	6
.LBB20_40:                              ;   in Loop: Header=BB20_41 Depth=4
	s_or_b32 exec_lo, exec_lo, s54
	s_delay_alu instid0(SALU_CYCLE_1) | instskip(NEXT) | instid1(SALU_CYCLE_1)
	s_and_b32 s54, exec_lo, s53
	s_or_b32 s51, s54, s51
	s_and_not1_b32 s50, s50, exec_lo
	s_and_b32 s54, s52, exec_lo
	s_delay_alu instid0(SALU_CYCLE_1)
	s_or_b32 s50, s50, s54
	s_and_not1_b32 exec_lo, exec_lo, s51
	s_cbranch_execz .LBB20_43
.LBB20_41:                              ;   Parent Loop BB20_3 Depth=1
                                        ;     Parent Loop BB20_5 Depth=2
                                        ;       Parent Loop BB20_9 Depth=3
                                        ; =>      This Inner Loop Header: Depth=4
	v_add_nc_u32_e32 v9, v5, v0
	s_or_b32 s52, s52, exec_lo
	s_or_b32 s53, s53, exec_lo
	s_mov_b32 s54, exec_lo
	s_delay_alu instid0(VALU_DEP_1) | instskip(NEXT) | instid1(VALU_DEP_1)
	v_ashrrev_i32_e32 v10, 31, v9
	v_lshlrev_b64 v[11:12], 2, v[9:10]
	s_delay_alu instid0(VALU_DEP_1) | instskip(NEXT) | instid1(VALU_DEP_2)
	v_add_co_u32 v11, vcc_lo, s16, v11
	v_add_co_ci_u32_e32 v12, vcc_lo, s17, v12, vcc_lo
	global_load_b32 v4, v[11:12], off
	s_waitcnt vmcnt(0)
	v_subrev_nc_u32_e32 v4, s41, v4
	s_delay_alu instid0(VALU_DEP_1)
	v_cmpx_ne_u32_e64 v4, v8
	s_cbranch_execz .LBB20_40
; %bb.42:                               ;   in Loop: Header=BB20_41 Depth=4
	v_add_nc_u32_e32 v0, 1, v0
	s_and_not1_b32 s53, s53, exec_lo
	s_and_not1_b32 s52, s52, exec_lo
	s_delay_alu instid0(VALU_DEP_1) | instskip(SKIP_1) | instid1(SALU_CYCLE_1)
	v_cmp_ge_i32_e32 vcc_lo, v0, v21
	s_and_b32 s55, vcc_lo, exec_lo
	s_or_b32 s53, s53, s55
	s_branch .LBB20_40
.LBB20_43:                              ;   in Loop: Header=BB20_9 Depth=3
	s_set_inst_prefetch_distance 0x2
	s_or_b32 exec_lo, exec_lo, s51
	s_mov_b32 s51, s48
                                        ; implicit-def: $vgpr12_vgpr13
	s_and_saveexec_b32 s52, s50
	s_delay_alu instid0(SALU_CYCLE_1)
	s_xor_b32 s50, exec_lo, s52
; %bb.44:                               ;   in Loop: Header=BB20_9 Depth=3
	v_lshlrev_b64 v[8:9], 3, v[9:10]
	s_or_b32 s51, s48, exec_lo
	s_delay_alu instid0(VALU_DEP_1) | instskip(NEXT) | instid1(VALU_DEP_2)
	v_add_co_u32 v12, vcc_lo, s38, v8
	v_add_co_ci_u32_e32 v13, vcc_lo, s39, v9, vcc_lo
; %bb.45:                               ;   in Loop: Header=BB20_9 Depth=3
	s_or_b32 exec_lo, exec_lo, s50
	s_delay_alu instid0(SALU_CYCLE_1) | instskip(SKIP_1) | instid1(SALU_CYCLE_1)
	s_and_not1_b32 s50, s48, exec_lo
	s_and_b32 s51, s51, exec_lo
	s_or_b32 s50, s50, s51
.LBB20_46:                              ;   in Loop: Header=BB20_9 Depth=3
	s_or_b32 exec_lo, exec_lo, s49
	s_delay_alu instid0(SALU_CYCLE_1) | instskip(SKIP_1) | instid1(SALU_CYCLE_1)
	s_and_not1_b32 s48, s48, exec_lo
	s_and_b32 s49, s50, exec_lo
	s_or_b32 s48, s48, s49
	s_or_b32 exec_lo, exec_lo, s3
	s_delay_alu instid0(SALU_CYCLE_1)
	s_and_b32 exec_lo, exec_lo, s48
	s_cbranch_execz .LBB20_8
.LBB20_47:                              ;   in Loop: Header=BB20_9 Depth=3
	global_store_b64 v[12:13], v[6:7], off
	s_branch .LBB20_8
.LBB20_48:                              ;   in Loop: Header=BB20_3 Depth=1
	s_and_saveexec_b32 s3, s0
	s_cbranch_execz .LBB20_2
; %bb.49:                               ;   in Loop: Header=BB20_3 Depth=1
	v_mov_b32_e32 v2, v16
	s_mov_b32 s44, 0
	s_branch .LBB20_51
.LBB20_50:                              ;   in Loop: Header=BB20_51 Depth=2
	s_or_b32 exec_lo, exec_lo, s45
	v_add_nc_u32_e32 v2, 16, v2
	s_delay_alu instid0(VALU_DEP_1) | instskip(SKIP_1) | instid1(SALU_CYCLE_1)
	v_cmp_le_u32_e32 vcc_lo, s43, v2
	s_or_b32 s44, vcc_lo, s44
	s_and_not1_b32 exec_lo, exec_lo, s44
	s_cbranch_execz .LBB20_2
.LBB20_51:                              ;   Parent Loop BB20_3 Depth=1
                                        ; =>  This Loop Header: Depth=2
                                        ;       Child Loop BB20_54 Depth 3
                                        ;       Child Loop BB20_57 Depth 3
	s_mov_b32 s45, exec_lo
	s_delay_alu instid0(VALU_DEP_1)
	v_cmpx_gt_i32_e64 s35, v2
	s_cbranch_execz .LBB20_50
; %bb.52:                               ;   in Loop: Header=BB20_51 Depth=2
	v_ashrrev_i32_e32 v3, 31, v2
	s_mov_b32 s46, exec_lo
	s_delay_alu instid0(VALU_DEP_1) | instskip(NEXT) | instid1(VALU_DEP_1)
	v_lshlrev_b64 v[4:5], 2, v[2:3]
	v_add_co_u32 v6, vcc_lo, s12, v4
	s_delay_alu instid0(VALU_DEP_2)
	v_add_co_ci_u32_e32 v7, vcc_lo, s13, v5, vcc_lo
	v_add_co_u32 v8, vcc_lo, s14, v4
	v_add_co_ci_u32_e32 v9, vcc_lo, s15, v5, vcc_lo
	global_load_b32 v0, v[6:7], off
	global_load_b32 v7, v[8:9], off
	s_waitcnt vmcnt(1)
	v_add_nc_u32_e32 v6, v18, v0
	s_waitcnt vmcnt(0)
	v_subrev_nc_u32_e32 v0, s41, v7
	s_delay_alu instid0(VALU_DEP_1)
	v_cmpx_lt_i32_e64 v6, v0
	s_cbranch_execz .LBB20_55
; %bb.53:                               ;   in Loop: Header=BB20_51 Depth=2
	v_ashrrev_i32_e32 v7, 31, v6
	s_mov_b32 s47, 0
	s_delay_alu instid0(VALU_DEP_1) | instskip(NEXT) | instid1(VALU_DEP_1)
	v_lshlrev_b64 v[9:10], 3, v[6:7]
	v_add_co_u32 v7, vcc_lo, s38, v9
	s_delay_alu instid0(VALU_DEP_2)
	v_add_co_ci_u32_e32 v8, vcc_lo, s39, v10, vcc_lo
	v_add_co_u32 v9, vcc_lo, s18, v9
	v_add_co_ci_u32_e32 v10, vcc_lo, s19, v10, vcc_lo
	.p2align	6
.LBB20_54:                              ;   Parent Loop BB20_3 Depth=1
                                        ;     Parent Loop BB20_51 Depth=2
                                        ; =>    This Inner Loop Header: Depth=3
	global_load_b64 v[11:12], v[7:8], off
	v_add_nc_u32_e32 v6, 64, v6
	v_add_co_u32 v7, vcc_lo, 0x200, v7
	v_add_co_ci_u32_e32 v8, vcc_lo, 0, v8, vcc_lo
	s_delay_alu instid0(VALU_DEP_3) | instskip(SKIP_4) | instid1(VALU_DEP_1)
	v_cmp_ge_i32_e32 vcc_lo, v6, v0
	s_or_b32 s47, vcc_lo, s47
	s_waitcnt vmcnt(0)
	global_store_b64 v[9:10], v[11:12], off
	v_add_co_u32 v9, s2, 0x200, v9
	v_add_co_ci_u32_e64 v10, s2, 0, v10, s2
	s_and_not1_b32 exec_lo, exec_lo, s47
	s_cbranch_execnz .LBB20_54
.LBB20_55:                              ;   in Loop: Header=BB20_51 Depth=2
	s_or_b32 exec_lo, exec_lo, s46
	v_add_co_u32 v6, vcc_lo, s4, v4
	v_add_co_ci_u32_e32 v7, vcc_lo, s5, v5, vcc_lo
	v_add_co_u32 v4, vcc_lo, s6, v4
	v_add_co_ci_u32_e32 v5, vcc_lo, s7, v5, vcc_lo
	s_mov_b32 s46, exec_lo
	global_load_b32 v0, v[6:7], off
	global_load_b32 v5, v[4:5], off
	s_waitcnt vmcnt(1)
	v_add_nc_u32_e32 v4, v19, v0
	s_waitcnt vmcnt(0)
	v_subrev_nc_u32_e32 v0, s42, v5
	s_delay_alu instid0(VALU_DEP_1)
	v_cmpx_lt_i32_e64 v4, v0
	s_cbranch_execz .LBB20_58
; %bb.56:                               ;   in Loop: Header=BB20_51 Depth=2
	v_ashrrev_i32_e32 v5, 31, v4
	s_mov_b32 s47, 0
	s_delay_alu instid0(VALU_DEP_1) | instskip(NEXT) | instid1(VALU_DEP_1)
	v_lshlrev_b64 v[7:8], 3, v[4:5]
	v_add_co_u32 v5, vcc_lo, s36, v7
	s_delay_alu instid0(VALU_DEP_2)
	v_add_co_ci_u32_e32 v6, vcc_lo, s37, v8, vcc_lo
	v_add_co_u32 v7, vcc_lo, s10, v7
	v_add_co_ci_u32_e32 v8, vcc_lo, s11, v8, vcc_lo
	.p2align	6
.LBB20_57:                              ;   Parent Loop BB20_3 Depth=1
                                        ;     Parent Loop BB20_51 Depth=2
                                        ; =>    This Inner Loop Header: Depth=3
	global_load_b64 v[9:10], v[5:6], off
	v_add_nc_u32_e32 v4, 64, v4
	v_add_co_u32 v5, vcc_lo, 0x200, v5
	v_add_co_ci_u32_e32 v6, vcc_lo, 0, v6, vcc_lo
	s_delay_alu instid0(VALU_DEP_3) | instskip(SKIP_4) | instid1(VALU_DEP_1)
	v_cmp_ge_i32_e32 vcc_lo, v4, v0
	s_or_b32 s47, vcc_lo, s47
	s_waitcnt vmcnt(0)
	global_store_b64 v[7:8], v[9:10], off
	v_add_co_u32 v7, s2, 0x200, v7
	v_add_co_ci_u32_e64 v8, s2, 0, v8, s2
	s_and_not1_b32 exec_lo, exec_lo, s47
	s_cbranch_execnz .LBB20_57
.LBB20_58:                              ;   in Loop: Header=BB20_51 Depth=2
	s_or_b32 exec_lo, exec_lo, s46
	s_delay_alu instid0(SALU_CYCLE_1)
	s_and_b32 exec_lo, exec_lo, s1
	s_cbranch_execz .LBB20_50
; %bb.59:                               ;   in Loop: Header=BB20_51 Depth=2
	v_lshlrev_b64 v[3:4], 3, v[2:3]
	s_delay_alu instid0(VALU_DEP_1) | instskip(NEXT) | instid1(VALU_DEP_2)
	v_add_co_u32 v5, vcc_lo, s30, v3
	v_add_co_ci_u32_e32 v6, vcc_lo, s31, v4, vcc_lo
	v_add_co_u32 v3, vcc_lo, s28, v3
	v_add_co_ci_u32_e32 v4, vcc_lo, s29, v4, vcc_lo
	global_load_b64 v[5:6], v[5:6], off
	s_waitcnt vmcnt(0)
	global_store_b64 v[3:4], v[5:6], off
	s_branch .LBB20_50
.LBB20_60:
	s_nop 0
	s_sendmsg sendmsg(MSG_DEALLOC_VGPRS)
	s_endpgm
	.section	.rodata,"a",@progbits
	.p2align	6, 0x0
	.amdhsa_kernel _ZN9rocsparseL14kernel_freerunILi1024ELi64EdiiEEvT3_S1_T2_PKS2_S4_PKS1_PKT1_21rocsparse_index_base_S4_S4_S6_PS7_SB_SA_S4_S4_S6_SB_SB_SA_SB_SB_
		.amdhsa_group_segment_fixed_size 0
		.amdhsa_private_segment_fixed_size 0
		.amdhsa_kernarg_size 168
		.amdhsa_user_sgpr_count 15
		.amdhsa_user_sgpr_dispatch_ptr 0
		.amdhsa_user_sgpr_queue_ptr 0
		.amdhsa_user_sgpr_kernarg_segment_ptr 1
		.amdhsa_user_sgpr_dispatch_id 0
		.amdhsa_user_sgpr_private_segment_size 0
		.amdhsa_wavefront_size32 1
		.amdhsa_uses_dynamic_stack 0
		.amdhsa_enable_private_segment 0
		.amdhsa_system_sgpr_workgroup_id_x 1
		.amdhsa_system_sgpr_workgroup_id_y 0
		.amdhsa_system_sgpr_workgroup_id_z 0
		.amdhsa_system_sgpr_workgroup_info 0
		.amdhsa_system_vgpr_workitem_id 0
		.amdhsa_next_free_vgpr 34
		.amdhsa_next_free_sgpr 57
		.amdhsa_reserve_vcc 1
		.amdhsa_float_round_mode_32 0
		.amdhsa_float_round_mode_16_64 0
		.amdhsa_float_denorm_mode_32 3
		.amdhsa_float_denorm_mode_16_64 3
		.amdhsa_dx10_clamp 1
		.amdhsa_ieee_mode 1
		.amdhsa_fp16_overflow 0
		.amdhsa_workgroup_processor_mode 1
		.amdhsa_memory_ordered 1
		.amdhsa_forward_progress 0
		.amdhsa_shared_vgpr_count 0
		.amdhsa_exception_fp_ieee_invalid_op 0
		.amdhsa_exception_fp_denorm_src 0
		.amdhsa_exception_fp_ieee_div_zero 0
		.amdhsa_exception_fp_ieee_overflow 0
		.amdhsa_exception_fp_ieee_underflow 0
		.amdhsa_exception_fp_ieee_inexact 0
		.amdhsa_exception_int_div_zero 0
	.end_amdhsa_kernel
	.section	.text._ZN9rocsparseL14kernel_freerunILi1024ELi64EdiiEEvT3_S1_T2_PKS2_S4_PKS1_PKT1_21rocsparse_index_base_S4_S4_S6_PS7_SB_SA_S4_S4_S6_SB_SB_SA_SB_SB_,"axG",@progbits,_ZN9rocsparseL14kernel_freerunILi1024ELi64EdiiEEvT3_S1_T2_PKS2_S4_PKS1_PKT1_21rocsparse_index_base_S4_S4_S6_PS7_SB_SA_S4_S4_S6_SB_SB_SA_SB_SB_,comdat
.Lfunc_end20:
	.size	_ZN9rocsparseL14kernel_freerunILi1024ELi64EdiiEEvT3_S1_T2_PKS2_S4_PKS1_PKT1_21rocsparse_index_base_S4_S4_S6_PS7_SB_SA_S4_S4_S6_SB_SB_SA_SB_SB_, .Lfunc_end20-_ZN9rocsparseL14kernel_freerunILi1024ELi64EdiiEEvT3_S1_T2_PKS2_S4_PKS1_PKT1_21rocsparse_index_base_S4_S4_S6_PS7_SB_SA_S4_S4_S6_SB_SB_SA_SB_SB_
                                        ; -- End function
	.section	.AMDGPU.csdata,"",@progbits
; Kernel info:
; codeLenInByte = 2600
; NumSgprs: 59
; NumVgprs: 34
; ScratchSize: 0
; MemoryBound: 1
; FloatMode: 240
; IeeeMode: 1
; LDSByteSize: 0 bytes/workgroup (compile time only)
; SGPRBlocks: 7
; VGPRBlocks: 4
; NumSGPRsForWavesPerEU: 59
; NumVGPRsForWavesPerEU: 34
; Occupancy: 16
; WaveLimiterHint : 1
; COMPUTE_PGM_RSRC2:SCRATCH_EN: 0
; COMPUTE_PGM_RSRC2:USER_SGPR: 15
; COMPUTE_PGM_RSRC2:TRAP_HANDLER: 0
; COMPUTE_PGM_RSRC2:TGID_X_EN: 1
; COMPUTE_PGM_RSRC2:TGID_Y_EN: 0
; COMPUTE_PGM_RSRC2:TGID_Z_EN: 0
; COMPUTE_PGM_RSRC2:TIDIG_COMP_CNT: 0
	.section	.text._ZN9rocsparseL6kernelILi1024ELi1EdiiEEvbbbT3_PS1_NS_15floating_traitsIT1_E6data_tES1_T2_PKS7_S9_PKS1_PKS4_21rocsparse_index_base_S9_S9_SB_PS4_SF_SE_S9_S9_SB_SF_SF_SE_SF_SF_PS6_SG_PKS6_,"axG",@progbits,_ZN9rocsparseL6kernelILi1024ELi1EdiiEEvbbbT3_PS1_NS_15floating_traitsIT1_E6data_tES1_T2_PKS7_S9_PKS1_PKS4_21rocsparse_index_base_S9_S9_SB_PS4_SF_SE_S9_S9_SB_SF_SF_SE_SF_SF_PS6_SG_PKS6_,comdat
	.globl	_ZN9rocsparseL6kernelILi1024ELi1EdiiEEvbbbT3_PS1_NS_15floating_traitsIT1_E6data_tES1_T2_PKS7_S9_PKS1_PKS4_21rocsparse_index_base_S9_S9_SB_PS4_SF_SE_S9_S9_SB_SF_SF_SE_SF_SF_PS6_SG_PKS6_ ; -- Begin function _ZN9rocsparseL6kernelILi1024ELi1EdiiEEvbbbT3_PS1_NS_15floating_traitsIT1_E6data_tES1_T2_PKS7_S9_PKS1_PKS4_21rocsparse_index_base_S9_S9_SB_PS4_SF_SE_S9_S9_SB_SF_SF_SE_SF_SF_PS6_SG_PKS6_
	.p2align	8
	.type	_ZN9rocsparseL6kernelILi1024ELi1EdiiEEvbbbT3_PS1_NS_15floating_traitsIT1_E6data_tES1_T2_PKS7_S9_PKS1_PKS4_21rocsparse_index_base_S9_S9_SB_PS4_SF_SE_S9_S9_SB_SF_SF_SE_SF_SF_PS6_SG_PKS6_,@function
_ZN9rocsparseL6kernelILi1024ELi1EdiiEEvbbbT3_PS1_NS_15floating_traitsIT1_E6data_tES1_T2_PKS7_S9_PKS1_PKS4_21rocsparse_index_base_S9_S9_SB_PS4_SF_SE_S9_S9_SB_SF_SF_SE_SF_SF_PS6_SG_PKS6_: ; @_ZN9rocsparseL6kernelILi1024ELi1EdiiEEvbbbT3_PS1_NS_15floating_traitsIT1_E6data_tES1_T2_PKS7_S9_PKS1_PKS4_21rocsparse_index_base_S9_S9_SB_PS4_SF_SE_S9_S9_SB_SF_SF_SE_SF_SF_PS6_SG_PKS6_
; %bb.0:
	s_clause 0x4
	s_load_b32 s2, s[0:1], 0x0
	s_load_b64 s[34:35], s[0:1], 0x0
	s_load_b32 s58, s[0:1], 0x18
	s_load_b128 s[48:51], s[0:1], 0x8
	s_load_b128 s[44:47], s[0:1], 0xb8
	v_mov_b32_e32 v1, 0
	v_dual_mov_b32 v7, 0 :: v_dual_mov_b32 v2, 0
	s_delay_alu instid0(VALU_DEP_1) | instskip(NEXT) | instid1(VALU_DEP_2)
	v_dual_mov_b32 v8, v7 :: v_dual_lshlrev_b32 v25, 3, v0
	v_dual_mov_b32 v4, v2 :: v_dual_mov_b32 v3, v1
	ds_store_b64 v25, v[7:8]
	s_waitcnt lgkmcnt(0)
	s_barrier
	buffer_gl0_inv
	s_bitcmp1_b32 s2, 0
	s_cselect_b32 s57, -1, 0
	s_bitcmp1_b32 s2, 8
	s_cselect_b32 s56, -1, 0
	s_bitcmp1_b32 s34, 16
	s_mov_b32 s34, 0
	s_cselect_b32 s33, -1, 0
	s_lshl_b32 s63, s15, 10
	s_cmp_gt_i32 s35, 0
	v_or_b32_e32 v5, s63, v0
	s_cselect_b32 s2, -1, 0
	s_delay_alu instid0(VALU_DEP_1) | instskip(SKIP_1) | instid1(SALU_CYCLE_1)
	v_cmp_gt_i32_e32 vcc_lo, s58, v5
	s_and_b32 s2, s2, vcc_lo
	s_and_saveexec_b32 s59, s2
	s_cbranch_execz .LBB21_147
; %bb.1:
	s_clause 0x1
	s_load_b256 s[16:23], s[0:1], 0x48
	s_load_b256 s[24:31], s[0:1], 0x20
	v_ashrrev_i32_e32 v6, 31, v5
	s_addk_i32 s63, 0x400
	v_cmp_gt_u32_e64 s2, 0x80, v0
	v_cmp_gt_u32_e64 s3, 64, v0
	;; [unrolled: 1-line block ×3, first 2 shown]
	v_lshlrev_b64 v[1:2], 2, v[5:6]
	v_cmp_gt_u32_e64 s5, 16, v0
	v_cmp_gt_u32_e64 s6, 8, v0
	;; [unrolled: 1-line block ×4, first 2 shown]
	v_cmp_eq_u32_e64 s9, 0, v0
	v_cmp_gt_u32_e64 s10, s63, v5
	s_and_b32 s13, s56, s33
	s_xor_b32 s64, s56, -1
	s_xor_b32 s65, s13, -1
	s_mov_b32 s66, 0
	v_mov_b32_e32 v8, 0
	s_waitcnt lgkmcnt(0)
	v_add_co_u32 v3, vcc_lo, s16, v1
	v_add_co_ci_u32_e32 v4, vcc_lo, s17, v2, vcc_lo
	v_add_co_u32 v6, vcc_lo, s18, v1
	v_add_co_ci_u32_e32 v7, vcc_lo, s19, v2, vcc_lo
	global_load_b32 v9, v[3:4], off
	v_add_co_u32 v3, vcc_lo, s24, v1
	v_add_co_ci_u32_e32 v4, vcc_lo, s25, v2, vcc_lo
	v_add_co_u32 v1, vcc_lo, s26, v1
	v_add_co_ci_u32_e32 v2, vcc_lo, s27, v2, vcc_lo
	global_load_b32 v10, v[6:7], off
	global_load_b32 v11, v[3:4], off
	;; [unrolled: 1-line block ×3, first 2 shown]
	s_clause 0x7
	s_load_b32 s60, s[0:1], 0x70
	s_load_b64 s[14:15], s[0:1], 0x68
	s_load_b64 s[52:53], s[0:1], 0xc8
	s_load_b128 s[24:27], s[0:1], 0xa8
	s_load_b256 s[36:43], s[0:1], 0x78
	s_load_b32 s61, s[0:1], 0x40
	s_load_b64 s[54:55], s[0:1], 0x98
	s_load_b32 s62, s[0:1], 0xa0
	v_mov_b32_e32 v3, 0
	v_mov_b32_e32 v4, 0
	v_cmp_gt_u32_e64 s0, 0x200, v0
	v_cmp_gt_u32_e64 s1, 0x100, v0
	s_waitcnt vmcnt(3) lgkmcnt(0)
	v_subrev_nc_u32_e32 v6, s60, v9
	s_delay_alu instid0(VALU_DEP_1)
	v_ashrrev_i32_e32 v7, 31, v6
	s_waitcnt vmcnt(2)
	v_sub_nc_u32_e32 v26, v10, v9
	s_waitcnt vmcnt(1)
	v_subrev_nc_u32_e32 v27, s61, v11
	v_lshlrev_b64 v[1:2], 2, v[6:7]
	v_lshlrev_b64 v[9:10], 3, v[6:7]
	s_waitcnt vmcnt(0)
	v_subrev_nc_u32_e32 v28, s61, v12
	v_cmp_lt_i32_e64 s11, v11, v12
	v_cmp_lt_i32_e64 s12, 0, v26
	v_add_co_u32 v29, vcc_lo, s20, v1
	v_add_co_ci_u32_e32 v30, vcc_lo, s21, v2, vcc_lo
	v_add_co_u32 v31, vcc_lo, s22, v9
	v_add_co_ci_u32_e32 v32, vcc_lo, s23, v10, vcc_lo
	v_dual_mov_b32 v1, v3 :: v_dual_mov_b32 v2, v4
	s_branch .LBB21_3
.LBB21_2:                               ;   in Loop: Header=BB21_3 Depth=1
	s_or_b32 exec_lo, exec_lo, s68
	s_delay_alu instid0(SALU_CYCLE_1) | instskip(NEXT) | instid1(SALU_CYCLE_1)
	s_and_b32 s13, exec_lo, s67
	s_or_b32 s34, s13, s34
	s_delay_alu instid0(SALU_CYCLE_1)
	s_and_not1_b32 exec_lo, exec_lo, s34
	s_cbranch_execz .LBB21_146
.LBB21_3:                               ; =>This Loop Header: Depth=1
                                        ;     Child Loop BB21_10 Depth 2
                                        ;       Child Loop BB21_14 Depth 3
                                        ;       Child Loop BB21_35 Depth 3
                                        ;       Child Loop BB21_49 Depth 3
                                        ;       Child Loop BB21_68 Depth 3
                                        ;       Child Loop BB21_76 Depth 3
                                        ;     Child Loop BB21_127 Depth 2
                                        ;       Child Loop BB21_130 Depth 3
                                        ;       Child Loop BB21_133 Depth 3
	s_delay_alu instid0(VALU_DEP_2) | instskip(NEXT) | instid1(VALU_DEP_3)
	v_cndmask_b32_e64 v4, v4, 0, s56
	v_cndmask_b32_e64 v3, v3, 0, s56
	s_delay_alu instid0(VALU_DEP_3) | instskip(NEXT) | instid1(VALU_DEP_4)
	v_cndmask_b32_e64 v2, v2, 0, s33
	v_cndmask_b32_e64 v1, v1, 0, s33
	s_and_saveexec_b32 s67, s11
	s_cbranch_execnz .LBB21_7
; %bb.4:                                ;   in Loop: Header=BB21_3 Depth=1
	s_or_b32 exec_lo, exec_lo, s67
	s_delay_alu instid0(SALU_CYCLE_1)
	s_and_not1_b32 vcc_lo, exec_lo, s56
	s_cbranch_vccz .LBB21_82
.LBB21_5:                               ;   in Loop: Header=BB21_3 Depth=1
	s_and_not1_b32 vcc_lo, exec_lo, s33
	s_cbranch_vccz .LBB21_103
.LBB21_6:                               ;   in Loop: Header=BB21_3 Depth=1
	s_and_saveexec_b32 s67, s10
	s_cbranch_execnz .LBB21_124
	s_branch .LBB21_134
.LBB21_7:                               ;   in Loop: Header=BB21_3 Depth=1
	v_mov_b32_e32 v9, v27
	s_mov_b32 s68, 0
	s_branch .LBB21_10
.LBB21_8:                               ;   in Loop: Header=BB21_10 Depth=2
	s_or_b32 exec_lo, exec_lo, s69
.LBB21_9:                               ;   in Loop: Header=BB21_10 Depth=2
	s_delay_alu instid0(SALU_CYCLE_1) | instskip(SKIP_1) | instid1(VALU_DEP_1)
	s_or_b32 exec_lo, exec_lo, s13
	v_add_nc_u32_e32 v9, 1, v9
	v_cmp_ge_i32_e32 vcc_lo, v9, v28
	s_or_b32 s68, vcc_lo, s68
	s_delay_alu instid0(SALU_CYCLE_1)
	s_and_not1_b32 exec_lo, exec_lo, s68
	s_cbranch_execz .LBB21_81
.LBB21_10:                              ;   Parent Loop BB21_3 Depth=1
                                        ; =>  This Loop Header: Depth=2
                                        ;       Child Loop BB21_14 Depth 3
                                        ;       Child Loop BB21_35 Depth 3
                                        ;       Child Loop BB21_49 Depth 3
                                        ;       Child Loop BB21_68 Depth 3
                                        ;       Child Loop BB21_76 Depth 3
	s_delay_alu instid0(VALU_DEP_1) | instskip(SKIP_1) | instid1(VALU_DEP_2)
	v_ashrrev_i32_e32 v10, 31, v9
	v_mov_b32_e32 v18, 0
	v_lshlrev_b64 v[11:12], 2, v[9:10]
	s_delay_alu instid0(VALU_DEP_1) | instskip(NEXT) | instid1(VALU_DEP_2)
	v_add_co_u32 v11, vcc_lo, s28, v11
	v_add_co_ci_u32_e32 v12, vcc_lo, s29, v12, vcc_lo
	global_load_b32 v7, v[11:12], off
	s_waitcnt vmcnt(0)
	v_subrev_nc_u32_e32 v11, s61, v7
	s_delay_alu instid0(VALU_DEP_1) | instskip(NEXT) | instid1(VALU_DEP_1)
	v_ashrrev_i32_e32 v12, 31, v11
	v_lshlrev_b64 v[13:14], 2, v[11:12]
	s_delay_alu instid0(VALU_DEP_1) | instskip(NEXT) | instid1(VALU_DEP_2)
	v_add_co_u32 v15, vcc_lo, s36, v13
	v_add_co_ci_u32_e32 v16, vcc_lo, s37, v14, vcc_lo
	v_add_co_u32 v13, vcc_lo, s38, v13
	v_add_co_ci_u32_e32 v14, vcc_lo, s39, v14, vcc_lo
	global_load_b32 v7, v[15:16], off
	global_load_b32 v15, v[13:14], off
	v_mov_b32_e32 v13, 0
	v_mov_b32_e32 v14, 0
	s_waitcnt vmcnt(1)
	v_subrev_nc_u32_e32 v17, s62, v7
	s_waitcnt vmcnt(0)
	v_sub_nc_u32_e32 v33, v15, v7
	v_mov_b32_e32 v7, 0
	s_and_saveexec_b32 s69, s12
	s_cbranch_execz .LBB21_18
; %bb.11:                               ;   in Loop: Header=BB21_10 Depth=2
	v_ashrrev_i32_e32 v18, 31, v17
	v_mov_b32_e32 v7, 0
	s_mov_b32 s70, 0
                                        ; implicit-def: $sgpr71
	s_delay_alu instid0(VALU_DEP_2) | instskip(SKIP_1) | instid1(VALU_DEP_2)
	v_lshlrev_b64 v[13:14], 2, v[17:18]
	v_lshlrev_b64 v[18:19], 3, v[17:18]
	v_add_co_u32 v15, vcc_lo, s40, v13
	s_delay_alu instid0(VALU_DEP_3) | instskip(NEXT) | instid1(VALU_DEP_3)
	v_add_co_ci_u32_e32 v16, vcc_lo, s41, v14, vcc_lo
	v_add_co_u32 v20, vcc_lo, s42, v18
	v_mov_b32_e32 v13, 0
	v_add_co_ci_u32_e32 v21, vcc_lo, s43, v19, vcc_lo
	v_mov_b32_e32 v14, 0
	v_mov_b32_e32 v18, v7
	s_branch .LBB21_14
.LBB21_12:                              ;   in Loop: Header=BB21_14 Depth=3
	s_or_b32 exec_lo, exec_lo, s13
	v_cmp_le_i32_e32 vcc_lo, v22, v23
	v_cmp_ge_i32_e64 s13, v22, v23
	v_add_co_ci_u32_e32 v7, vcc_lo, 0, v7, vcc_lo
	s_delay_alu instid0(VALU_DEP_2) | instskip(SKIP_1) | instid1(VALU_DEP_2)
	v_add_co_ci_u32_e64 v18, s13, 0, v18, s13
	s_and_not1_b32 s13, s71, exec_lo
	v_cmp_ge_i32_e32 vcc_lo, v7, v26
	s_and_b32 s71, vcc_lo, exec_lo
	s_delay_alu instid0(SALU_CYCLE_1)
	s_or_b32 s71, s13, s71
.LBB21_13:                              ;   in Loop: Header=BB21_14 Depth=3
	s_or_b32 exec_lo, exec_lo, s72
	s_delay_alu instid0(SALU_CYCLE_1) | instskip(NEXT) | instid1(SALU_CYCLE_1)
	s_and_b32 s13, exec_lo, s71
	s_or_b32 s70, s13, s70
	s_delay_alu instid0(SALU_CYCLE_1)
	s_and_not1_b32 exec_lo, exec_lo, s70
	s_cbranch_execz .LBB21_17
.LBB21_14:                              ;   Parent Loop BB21_3 Depth=1
                                        ;     Parent Loop BB21_10 Depth=2
                                        ; =>    This Inner Loop Header: Depth=3
	s_or_b32 s71, s71, exec_lo
	s_mov_b32 s72, exec_lo
	s_delay_alu instid0(VALU_DEP_1)
	v_cmpx_lt_i32_e64 v18, v33
	s_cbranch_execz .LBB21_13
; %bb.15:                               ;   in Loop: Header=BB21_14 Depth=3
	v_mov_b32_e32 v19, v8
	v_lshlrev_b64 v[22:23], 2, v[7:8]
	s_mov_b32 s13, exec_lo
	s_delay_alu instid0(VALU_DEP_2) | instskip(NEXT) | instid1(VALU_DEP_2)
	v_lshlrev_b64 v[34:35], 2, v[18:19]
	v_add_co_u32 v22, vcc_lo, v29, v22
	s_delay_alu instid0(VALU_DEP_3) | instskip(NEXT) | instid1(VALU_DEP_3)
	v_add_co_ci_u32_e32 v23, vcc_lo, v30, v23, vcc_lo
	v_add_co_u32 v34, vcc_lo, v15, v34
	s_delay_alu instid0(VALU_DEP_4)
	v_add_co_ci_u32_e32 v35, vcc_lo, v16, v35, vcc_lo
	global_load_b32 v22, v[22:23], off
	global_load_b32 v23, v[34:35], off
	s_waitcnt vmcnt(1)
	v_subrev_nc_u32_e32 v22, s60, v22
	s_waitcnt vmcnt(0)
	v_subrev_nc_u32_e32 v23, s62, v23
	s_delay_alu instid0(VALU_DEP_1)
	v_cmpx_eq_u32_e64 v22, v23
	s_cbranch_execz .LBB21_12
; %bb.16:                               ;   in Loop: Header=BB21_14 Depth=3
	v_lshlrev_b64 v[34:35], 3, v[7:8]
	v_lshlrev_b64 v[36:37], 3, v[18:19]
	s_delay_alu instid0(VALU_DEP_2) | instskip(NEXT) | instid1(VALU_DEP_3)
	v_add_co_u32 v34, vcc_lo, v31, v34
	v_add_co_ci_u32_e32 v35, vcc_lo, v32, v35, vcc_lo
	s_delay_alu instid0(VALU_DEP_3) | instskip(NEXT) | instid1(VALU_DEP_4)
	v_add_co_u32 v36, vcc_lo, v20, v36
	v_add_co_ci_u32_e32 v37, vcc_lo, v21, v37, vcc_lo
	global_load_b64 v[34:35], v[34:35], off
	global_load_b64 v[36:37], v[36:37], off
	s_waitcnt vmcnt(0)
	v_fma_f64 v[13:14], v[34:35], v[36:37], v[13:14]
	s_branch .LBB21_12
.LBB21_17:                              ;   in Loop: Header=BB21_10 Depth=2
	s_or_b32 exec_lo, exec_lo, s70
.LBB21_18:                              ;   in Loop: Header=BB21_10 Depth=2
	s_delay_alu instid0(SALU_CYCLE_1) | instskip(SKIP_3) | instid1(VALU_DEP_2)
	s_or_b32 exec_lo, exec_lo, s69
	v_lshlrev_b64 v[15:16], 3, v[9:10]
	v_cmp_le_i32_e64 s13, v5, v11
	s_mov_b32 s69, exec_lo
	v_add_co_u32 v15, vcc_lo, s30, v15
	s_delay_alu instid0(VALU_DEP_3)
	v_add_co_ci_u32_e32 v16, vcc_lo, s31, v16, vcc_lo
	global_load_b64 v[15:16], v[15:16], off
	s_waitcnt vmcnt(0)
	v_add_f64 v[19:20], v[15:16], -v[13:14]
	v_cmpx_gt_i32_e64 v5, v11
	s_cbranch_execnz .LBB21_21
; %bb.19:                               ;   in Loop: Header=BB21_10 Depth=2
	s_or_b32 exec_lo, exec_lo, s69
	s_delay_alu instid0(VALU_DEP_2) | instskip(NEXT) | instid1(VALU_DEP_1)
	v_cmp_class_f64_e64 s69, v[19:20], 0x1f8
	s_and_saveexec_b32 s70, s69
	s_cbranch_execnz .LBB21_24
.LBB21_20:                              ;   in Loop: Header=BB21_10 Depth=2
	s_or_b32 exec_lo, exec_lo, s70
	s_and_b32 s69, s69, s33
	s_delay_alu instid0(SALU_CYCLE_1)
	s_and_saveexec_b32 s13, s69
	s_cbranch_execz .LBB21_9
	s_branch .LBB21_59
.LBB21_21:                              ;   in Loop: Header=BB21_10 Depth=2
	v_lshlrev_b64 v[21:22], 3, v[11:12]
	v_mov_b32_e32 v23, 0
	v_mov_b32_e32 v24, 0
	s_mov_b32 s70, exec_lo
	s_delay_alu instid0(VALU_DEP_3) | instskip(NEXT) | instid1(VALU_DEP_4)
	v_add_co_u32 v21, vcc_lo, s24, v21
	v_add_co_ci_u32_e32 v22, vcc_lo, s25, v22, vcc_lo
	global_load_b64 v[21:22], v[21:22], off
	s_waitcnt vmcnt(0)
	v_cmpx_lg_f64_e32 0, v[21:22]
; %bb.22:                               ;   in Loop: Header=BB21_10 Depth=2
	v_div_scale_f64 v[23:24], null, v[21:22], v[21:22], v[19:20]
	s_delay_alu instid0(VALU_DEP_1) | instskip(SKIP_2) | instid1(VALU_DEP_1)
	v_rcp_f64_e32 v[34:35], v[23:24]
	s_waitcnt_depctr 0xfff
	v_fma_f64 v[36:37], -v[23:24], v[34:35], 1.0
	v_fma_f64 v[34:35], v[34:35], v[36:37], v[34:35]
	s_delay_alu instid0(VALU_DEP_1) | instskip(NEXT) | instid1(VALU_DEP_1)
	v_fma_f64 v[36:37], -v[23:24], v[34:35], 1.0
	v_fma_f64 v[34:35], v[34:35], v[36:37], v[34:35]
	v_div_scale_f64 v[36:37], vcc_lo, v[19:20], v[21:22], v[19:20]
	s_delay_alu instid0(VALU_DEP_1) | instskip(NEXT) | instid1(VALU_DEP_1)
	v_mul_f64 v[38:39], v[36:37], v[34:35]
	v_fma_f64 v[23:24], -v[23:24], v[38:39], v[36:37]
	s_delay_alu instid0(VALU_DEP_1) | instskip(NEXT) | instid1(VALU_DEP_1)
	v_div_fmas_f64 v[23:24], v[23:24], v[34:35], v[38:39]
	v_div_fixup_f64 v[23:24], v[23:24], v[21:22], v[19:20]
; %bb.23:                               ;   in Loop: Header=BB21_10 Depth=2
	s_or_b32 exec_lo, exec_lo, s70
	s_delay_alu instid0(VALU_DEP_1) | instskip(SKIP_1) | instid1(VALU_DEP_1)
	v_dual_mov_b32 v19, v23 :: v_dual_mov_b32 v20, v24
	s_or_b32 exec_lo, exec_lo, s69
	v_cmp_class_f64_e64 s69, v[19:20], 0x1f8
	s_delay_alu instid0(VALU_DEP_1)
	s_and_saveexec_b32 s70, s69
	s_cbranch_execz .LBB21_20
.LBB21_24:                              ;   in Loop: Header=BB21_10 Depth=2
	s_and_saveexec_b32 s71, s13
	s_delay_alu instid0(SALU_CYCLE_1)
	s_xor_b32 s13, exec_lo, s71
	s_cbranch_execz .LBB21_45
; %bb.25:                               ;   in Loop: Header=BB21_10 Depth=2
	s_mov_b32 s71, exec_lo
	v_cmpx_ge_i32_e64 v5, v11
	s_xor_b32 s71, exec_lo, s71
	s_cbranch_execz .LBB21_31
; %bb.26:                               ;   in Loop: Header=BB21_10 Depth=2
	v_lshlrev_b64 v[21:22], 3, v[11:12]
	s_delay_alu instid0(VALU_DEP_1) | instskip(NEXT) | instid1(VALU_DEP_2)
	v_add_co_u32 v23, vcc_lo, s26, v21
	v_add_co_ci_u32_e32 v24, vcc_lo, s27, v22, vcc_lo
	s_and_not1_b32 vcc_lo, exec_lo, s56
	global_store_b64 v[23:24], v[19:20], off
	s_cbranch_vccnz .LBB21_30
; %bb.27:                               ;   in Loop: Header=BB21_10 Depth=2
	v_add_co_u32 v21, vcc_lo, s24, v21
	v_add_co_ci_u32_e32 v22, vcc_lo, s25, v22, vcc_lo
	global_load_b64 v[21:22], v[21:22], off
	s_waitcnt vmcnt(0)
	v_add_f64 v[19:20], v[21:22], -v[19:20]
	s_delay_alu instid0(VALU_DEP_1) | instskip(NEXT) | instid1(VALU_DEP_1)
	v_cmp_class_f64_e64 s73, v[19:20], 0x1f8
	s_and_saveexec_b32 s72, s73
; %bb.28:                               ;   in Loop: Header=BB21_10 Depth=2
	v_cmp_lt_f64_e64 vcc_lo, v[3:4], |v[19:20]|
	v_dual_cndmask_b32 v3, v3, v19 :: v_dual_and_b32 v10, 0x7fffffff, v20
	s_delay_alu instid0(VALU_DEP_1)
	v_cndmask_b32_e32 v4, v4, v10, vcc_lo
; %bb.29:                               ;   in Loop: Header=BB21_10 Depth=2
	s_or_b32 exec_lo, exec_lo, s72
.LBB21_30:                              ;   in Loop: Header=BB21_10 Depth=2
                                        ; implicit-def: $vgpr19_vgpr20
.LBB21_31:                              ;   in Loop: Header=BB21_10 Depth=2
	s_and_not1_saveexec_b32 s71, s71
	s_cbranch_execz .LBB21_44
; %bb.32:                               ;   in Loop: Header=BB21_10 Depth=2
	s_mov_b32 s72, exec_lo
	v_cmpx_lt_i32_e64 v18, v33
	s_cbranch_execz .LBB21_43
; %bb.33:                               ;   in Loop: Header=BB21_10 Depth=2
	v_mov_b32_e32 v10, v18
	s_mov_b32 s73, 0
                                        ; implicit-def: $sgpr74
                                        ; implicit-def: $sgpr76
                                        ; implicit-def: $sgpr75
	s_set_inst_prefetch_distance 0x1
	s_branch .LBB21_35
	.p2align	6
.LBB21_34:                              ;   in Loop: Header=BB21_35 Depth=3
	s_or_b32 exec_lo, exec_lo, s77
	s_delay_alu instid0(SALU_CYCLE_1) | instskip(NEXT) | instid1(SALU_CYCLE_1)
	s_and_b32 s77, exec_lo, s76
	s_or_b32 s73, s77, s73
	s_and_not1_b32 s74, s74, exec_lo
	s_and_b32 s77, s75, exec_lo
	s_delay_alu instid0(SALU_CYCLE_1)
	s_or_b32 s74, s74, s77
	s_and_not1_b32 exec_lo, exec_lo, s73
	s_cbranch_execz .LBB21_37
.LBB21_35:                              ;   Parent Loop BB21_3 Depth=1
                                        ;     Parent Loop BB21_10 Depth=2
                                        ; =>    This Inner Loop Header: Depth=3
	s_delay_alu instid0(VALU_DEP_1) | instskip(SKIP_3) | instid1(VALU_DEP_1)
	v_add_nc_u32_e32 v21, v17, v10
	s_or_b32 s75, s75, exec_lo
	s_or_b32 s76, s76, exec_lo
	s_mov_b32 s77, exec_lo
	v_ashrrev_i32_e32 v22, 31, v21
	s_delay_alu instid0(VALU_DEP_1) | instskip(NEXT) | instid1(VALU_DEP_1)
	v_lshlrev_b64 v[23:24], 2, v[21:22]
	v_add_co_u32 v23, vcc_lo, s40, v23
	s_delay_alu instid0(VALU_DEP_2) | instskip(SKIP_3) | instid1(VALU_DEP_1)
	v_add_co_ci_u32_e32 v24, vcc_lo, s41, v24, vcc_lo
	global_load_b32 v23, v[23:24], off
	s_waitcnt vmcnt(0)
	v_subrev_nc_u32_e32 v23, s62, v23
	v_cmpx_ne_u32_e64 v23, v5
	s_cbranch_execz .LBB21_34
; %bb.36:                               ;   in Loop: Header=BB21_35 Depth=3
	v_add_nc_u32_e32 v10, 1, v10
	s_and_not1_b32 s76, s76, exec_lo
	s_and_not1_b32 s75, s75, exec_lo
	s_delay_alu instid0(VALU_DEP_1) | instskip(SKIP_1) | instid1(SALU_CYCLE_1)
	v_cmp_ge_i32_e32 vcc_lo, v10, v33
	s_and_b32 s78, vcc_lo, exec_lo
	s_or_b32 s76, s76, s78
	s_branch .LBB21_34
.LBB21_37:                              ;   in Loop: Header=BB21_10 Depth=2
	s_set_inst_prefetch_distance 0x2
	s_or_b32 exec_lo, exec_lo, s73
	s_and_saveexec_b32 s73, s74
	s_delay_alu instid0(SALU_CYCLE_1)
	s_xor_b32 s73, exec_lo, s73
	s_cbranch_execz .LBB21_42
; %bb.38:                               ;   in Loop: Header=BB21_10 Depth=2
	v_lshlrev_b64 v[21:22], 3, v[21:22]
	s_delay_alu instid0(VALU_DEP_1) | instskip(NEXT) | instid1(VALU_DEP_2)
	v_add_co_u32 v23, vcc_lo, s54, v21
	v_add_co_ci_u32_e32 v24, vcc_lo, s55, v22, vcc_lo
	s_and_not1_b32 vcc_lo, exec_lo, s56
	global_store_b64 v[23:24], v[19:20], off
	s_cbranch_vccnz .LBB21_42
; %bb.39:                               ;   in Loop: Header=BB21_10 Depth=2
	v_add_co_u32 v21, vcc_lo, s42, v21
	v_add_co_ci_u32_e32 v22, vcc_lo, s43, v22, vcc_lo
	global_load_b64 v[21:22], v[21:22], off
	s_waitcnt vmcnt(0)
	v_add_f64 v[19:20], v[21:22], -v[19:20]
	s_delay_alu instid0(VALU_DEP_1) | instskip(NEXT) | instid1(VALU_DEP_1)
	v_cmp_class_f64_e64 s75, v[19:20], 0x1f8
	s_and_saveexec_b32 s74, s75
; %bb.40:                               ;   in Loop: Header=BB21_10 Depth=2
	v_cmp_lt_f64_e64 vcc_lo, v[3:4], |v[19:20]|
	v_dual_cndmask_b32 v3, v3, v19 :: v_dual_and_b32 v10, 0x7fffffff, v20
	s_delay_alu instid0(VALU_DEP_1)
	v_cndmask_b32_e32 v4, v4, v10, vcc_lo
; %bb.41:                               ;   in Loop: Header=BB21_10 Depth=2
	s_or_b32 exec_lo, exec_lo, s74
.LBB21_42:                              ;   in Loop: Header=BB21_10 Depth=2
	s_delay_alu instid0(SALU_CYCLE_1)
	s_or_b32 exec_lo, exec_lo, s73
.LBB21_43:                              ;   in Loop: Header=BB21_10 Depth=2
	s_delay_alu instid0(SALU_CYCLE_1)
	s_or_b32 exec_lo, exec_lo, s72
.LBB21_44:                              ;   in Loop: Header=BB21_10 Depth=2
	s_delay_alu instid0(SALU_CYCLE_1)
	s_or_b32 exec_lo, exec_lo, s71
                                        ; implicit-def: $vgpr19_vgpr20
.LBB21_45:                              ;   in Loop: Header=BB21_10 Depth=2
	s_and_not1_saveexec_b32 s13, s13
	s_cbranch_execz .LBB21_58
; %bb.46:                               ;   in Loop: Header=BB21_10 Depth=2
	s_mov_b32 s71, exec_lo
	v_cmpx_lt_i32_e64 v7, v26
	s_cbranch_execz .LBB21_57
; %bb.47:                               ;   in Loop: Header=BB21_10 Depth=2
	v_mov_b32_e32 v10, v7
	s_mov_b32 s72, 0
                                        ; implicit-def: $sgpr73
                                        ; implicit-def: $sgpr75
                                        ; implicit-def: $sgpr74
	s_set_inst_prefetch_distance 0x1
	s_branch .LBB21_49
	.p2align	6
.LBB21_48:                              ;   in Loop: Header=BB21_49 Depth=3
	s_or_b32 exec_lo, exec_lo, s76
	s_delay_alu instid0(SALU_CYCLE_1) | instskip(NEXT) | instid1(SALU_CYCLE_1)
	s_and_b32 s76, exec_lo, s75
	s_or_b32 s72, s76, s72
	s_and_not1_b32 s73, s73, exec_lo
	s_and_b32 s76, s74, exec_lo
	s_delay_alu instid0(SALU_CYCLE_1)
	s_or_b32 s73, s73, s76
	s_and_not1_b32 exec_lo, exec_lo, s72
	s_cbranch_execz .LBB21_51
.LBB21_49:                              ;   Parent Loop BB21_3 Depth=1
                                        ;     Parent Loop BB21_10 Depth=2
                                        ; =>    This Inner Loop Header: Depth=3
	s_delay_alu instid0(VALU_DEP_1) | instskip(SKIP_3) | instid1(VALU_DEP_1)
	v_add_nc_u32_e32 v21, v6, v10
	s_or_b32 s74, s74, exec_lo
	s_or_b32 s75, s75, exec_lo
	s_mov_b32 s76, exec_lo
	v_ashrrev_i32_e32 v22, 31, v21
	s_delay_alu instid0(VALU_DEP_1) | instskip(NEXT) | instid1(VALU_DEP_1)
	v_lshlrev_b64 v[23:24], 2, v[21:22]
	v_add_co_u32 v23, vcc_lo, s20, v23
	s_delay_alu instid0(VALU_DEP_2) | instskip(SKIP_3) | instid1(VALU_DEP_1)
	v_add_co_ci_u32_e32 v24, vcc_lo, s21, v24, vcc_lo
	global_load_b32 v23, v[23:24], off
	s_waitcnt vmcnt(0)
	v_subrev_nc_u32_e32 v23, s60, v23
	v_cmpx_ne_u32_e64 v23, v11
	s_cbranch_execz .LBB21_48
; %bb.50:                               ;   in Loop: Header=BB21_49 Depth=3
	v_add_nc_u32_e32 v10, 1, v10
	s_and_not1_b32 s75, s75, exec_lo
	s_and_not1_b32 s74, s74, exec_lo
	s_delay_alu instid0(VALU_DEP_1) | instskip(SKIP_1) | instid1(SALU_CYCLE_1)
	v_cmp_ge_i32_e32 vcc_lo, v10, v26
	s_and_b32 s77, vcc_lo, exec_lo
	s_or_b32 s75, s75, s77
	s_branch .LBB21_48
.LBB21_51:                              ;   in Loop: Header=BB21_10 Depth=2
	s_set_inst_prefetch_distance 0x2
	s_or_b32 exec_lo, exec_lo, s72
	s_and_saveexec_b32 s72, s73
	s_delay_alu instid0(SALU_CYCLE_1)
	s_xor_b32 s72, exec_lo, s72
	s_cbranch_execz .LBB21_56
; %bb.52:                               ;   in Loop: Header=BB21_10 Depth=2
	v_lshlrev_b64 v[21:22], 3, v[21:22]
	s_delay_alu instid0(VALU_DEP_1) | instskip(NEXT) | instid1(VALU_DEP_2)
	v_add_co_u32 v23, vcc_lo, s14, v21
	v_add_co_ci_u32_e32 v24, vcc_lo, s15, v22, vcc_lo
	s_and_not1_b32 vcc_lo, exec_lo, s56
	global_store_b64 v[23:24], v[19:20], off
	s_cbranch_vccnz .LBB21_56
; %bb.53:                               ;   in Loop: Header=BB21_10 Depth=2
	v_add_co_u32 v21, vcc_lo, s22, v21
	v_add_co_ci_u32_e32 v22, vcc_lo, s23, v22, vcc_lo
	global_load_b64 v[21:22], v[21:22], off
	s_waitcnt vmcnt(0)
	v_add_f64 v[19:20], v[21:22], -v[19:20]
	s_delay_alu instid0(VALU_DEP_1) | instskip(NEXT) | instid1(VALU_DEP_1)
	v_cmp_class_f64_e64 s74, v[19:20], 0x1f8
	s_and_saveexec_b32 s73, s74
; %bb.54:                               ;   in Loop: Header=BB21_10 Depth=2
	v_cmp_lt_f64_e64 vcc_lo, v[3:4], |v[19:20]|
	v_dual_cndmask_b32 v3, v3, v19 :: v_dual_and_b32 v10, 0x7fffffff, v20
	s_delay_alu instid0(VALU_DEP_1)
	v_cndmask_b32_e32 v4, v4, v10, vcc_lo
; %bb.55:                               ;   in Loop: Header=BB21_10 Depth=2
	s_or_b32 exec_lo, exec_lo, s73
.LBB21_56:                              ;   in Loop: Header=BB21_10 Depth=2
	s_delay_alu instid0(SALU_CYCLE_1)
	s_or_b32 exec_lo, exec_lo, s72
.LBB21_57:                              ;   in Loop: Header=BB21_10 Depth=2
	s_delay_alu instid0(SALU_CYCLE_1)
	s_or_b32 exec_lo, exec_lo, s71
.LBB21_58:                              ;   in Loop: Header=BB21_10 Depth=2
	s_delay_alu instid0(SALU_CYCLE_1) | instskip(NEXT) | instid1(SALU_CYCLE_1)
	s_or_b32 exec_lo, exec_lo, s13
	s_or_b32 exec_lo, exec_lo, s70
	s_and_b32 s69, s69, s33
	s_delay_alu instid0(SALU_CYCLE_1)
	s_and_saveexec_b32 s13, s69
	s_cbranch_execz .LBB21_9
.LBB21_59:                              ;   in Loop: Header=BB21_10 Depth=2
	s_mov_b32 s69, exec_lo
	v_cmpx_ge_i32_e64 v18, v33
	s_xor_b32 s69, exec_lo, s69
	s_cbranch_execnz .LBB21_65
; %bb.60:                               ;   in Loop: Header=BB21_10 Depth=2
	s_and_not1_saveexec_b32 s69, s69
	s_cbranch_execnz .LBB21_74
.LBB21_61:                              ;   in Loop: Header=BB21_10 Depth=2
	s_or_b32 exec_lo, exec_lo, s69
	s_delay_alu instid0(SALU_CYCLE_1)
	s_mov_b32 s69, exec_lo
	v_cmpx_eq_u32_e64 v5, v11
	s_cbranch_execz .LBB21_63
.LBB21_62:                              ;   in Loop: Header=BB21_10 Depth=2
	v_lshlrev_b64 v[10:11], 3, v[11:12]
	s_delay_alu instid0(VALU_DEP_1) | instskip(NEXT) | instid1(VALU_DEP_2)
	v_add_co_u32 v10, vcc_lo, s24, v10
	v_add_co_ci_u32_e32 v11, vcc_lo, s25, v11, vcc_lo
	global_load_b64 v[10:11], v[10:11], off
	s_waitcnt vmcnt(0)
	v_add_f64 v[13:14], v[13:14], v[10:11]
.LBB21_63:                              ;   in Loop: Header=BB21_10 Depth=2
	s_or_b32 exec_lo, exec_lo, s69
	s_delay_alu instid0(VALU_DEP_1) | instskip(NEXT) | instid1(VALU_DEP_1)
	v_add_f64 v[10:11], v[15:16], -v[13:14]
	v_cmp_class_f64_e64 s70, v[10:11], 0x1f8
	s_delay_alu instid0(VALU_DEP_1)
	s_and_saveexec_b32 s69, s70
	s_cbranch_execz .LBB21_8
; %bb.64:                               ;   in Loop: Header=BB21_10 Depth=2
	v_cmp_lt_f64_e64 vcc_lo, v[1:2], |v[10:11]|
	v_and_b32_e32 v7, 0x7fffffff, v11
	s_delay_alu instid0(VALU_DEP_1)
	v_dual_cndmask_b32 v2, v2, v7 :: v_dual_cndmask_b32 v1, v1, v10
	s_branch .LBB21_8
.LBB21_65:                              ;   in Loop: Header=BB21_10 Depth=2
	s_mov_b32 s70, exec_lo
	v_cmpx_lt_i32_e64 v7, v26
	s_cbranch_execz .LBB21_73
; %bb.66:                               ;   in Loop: Header=BB21_10 Depth=2
	s_mov_b32 s71, 0
                                        ; implicit-def: $sgpr72
                                        ; implicit-def: $sgpr74
                                        ; implicit-def: $sgpr73
	s_set_inst_prefetch_distance 0x1
	s_branch .LBB21_68
	.p2align	6
.LBB21_67:                              ;   in Loop: Header=BB21_68 Depth=3
	s_or_b32 exec_lo, exec_lo, s75
	s_delay_alu instid0(SALU_CYCLE_1) | instskip(NEXT) | instid1(SALU_CYCLE_1)
	s_and_b32 s75, exec_lo, s74
	s_or_b32 s71, s75, s71
	s_and_not1_b32 s72, s72, exec_lo
	s_and_b32 s75, s73, exec_lo
	s_delay_alu instid0(SALU_CYCLE_1)
	s_or_b32 s72, s72, s75
	s_and_not1_b32 exec_lo, exec_lo, s71
	s_cbranch_execz .LBB21_70
.LBB21_68:                              ;   Parent Loop BB21_3 Depth=1
                                        ;     Parent Loop BB21_10 Depth=2
                                        ; =>    This Inner Loop Header: Depth=3
	v_add_nc_u32_e32 v17, v6, v7
	s_or_b32 s73, s73, exec_lo
	s_or_b32 s74, s74, exec_lo
	s_mov_b32 s75, exec_lo
	s_delay_alu instid0(VALU_DEP_1) | instskip(NEXT) | instid1(VALU_DEP_1)
	v_ashrrev_i32_e32 v18, 31, v17
	v_lshlrev_b64 v[19:20], 2, v[17:18]
	s_delay_alu instid0(VALU_DEP_1) | instskip(NEXT) | instid1(VALU_DEP_2)
	v_add_co_u32 v19, vcc_lo, s20, v19
	v_add_co_ci_u32_e32 v20, vcc_lo, s21, v20, vcc_lo
	global_load_b32 v10, v[19:20], off
	s_waitcnt vmcnt(0)
	v_subrev_nc_u32_e32 v10, s60, v10
	s_delay_alu instid0(VALU_DEP_1)
	v_cmpx_ne_u32_e64 v10, v11
	s_cbranch_execz .LBB21_67
; %bb.69:                               ;   in Loop: Header=BB21_68 Depth=3
	v_add_nc_u32_e32 v7, 1, v7
	s_and_not1_b32 s74, s74, exec_lo
	s_and_not1_b32 s73, s73, exec_lo
	s_delay_alu instid0(VALU_DEP_1) | instskip(SKIP_1) | instid1(SALU_CYCLE_1)
	v_cmp_ge_i32_e32 vcc_lo, v7, v26
	s_and_b32 s76, vcc_lo, exec_lo
	s_or_b32 s74, s74, s76
	s_branch .LBB21_67
.LBB21_70:                              ;   in Loop: Header=BB21_10 Depth=2
	s_set_inst_prefetch_distance 0x2
	s_or_b32 exec_lo, exec_lo, s71
	s_and_saveexec_b32 s71, s72
	s_delay_alu instid0(SALU_CYCLE_1)
	s_xor_b32 s71, exec_lo, s71
	s_cbranch_execz .LBB21_72
; %bb.71:                               ;   in Loop: Header=BB21_10 Depth=2
	v_lshlrev_b64 v[17:18], 3, v[17:18]
	v_lshlrev_b64 v[19:20], 3, v[11:12]
	s_delay_alu instid0(VALU_DEP_2) | instskip(NEXT) | instid1(VALU_DEP_3)
	v_add_co_u32 v17, vcc_lo, s22, v17
	v_add_co_ci_u32_e32 v18, vcc_lo, s23, v18, vcc_lo
	s_delay_alu instid0(VALU_DEP_3) | instskip(NEXT) | instid1(VALU_DEP_4)
	v_add_co_u32 v19, vcc_lo, s24, v19
	v_add_co_ci_u32_e32 v20, vcc_lo, s25, v20, vcc_lo
	global_load_b64 v[17:18], v[17:18], off
	global_load_b64 v[19:20], v[19:20], off
	s_waitcnt vmcnt(0)
	v_fma_f64 v[13:14], v[17:18], v[19:20], v[13:14]
.LBB21_72:                              ;   in Loop: Header=BB21_10 Depth=2
	s_or_b32 exec_lo, exec_lo, s71
.LBB21_73:                              ;   in Loop: Header=BB21_10 Depth=2
	s_delay_alu instid0(SALU_CYCLE_1)
	s_or_b32 exec_lo, exec_lo, s70
                                        ; implicit-def: $vgpr18
                                        ; implicit-def: $vgpr17
                                        ; implicit-def: $vgpr33
	s_and_not1_saveexec_b32 s69, s69
	s_cbranch_execz .LBB21_61
.LBB21_74:                              ;   in Loop: Header=BB21_10 Depth=2
	s_mov_b32 s70, 0
                                        ; implicit-def: $sgpr71
                                        ; implicit-def: $sgpr73
                                        ; implicit-def: $sgpr72
	s_set_inst_prefetch_distance 0x1
	s_branch .LBB21_76
	.p2align	6
.LBB21_75:                              ;   in Loop: Header=BB21_76 Depth=3
	s_or_b32 exec_lo, exec_lo, s74
	s_delay_alu instid0(SALU_CYCLE_1) | instskip(NEXT) | instid1(SALU_CYCLE_1)
	s_and_b32 s74, exec_lo, s73
	s_or_b32 s70, s74, s70
	s_and_not1_b32 s71, s71, exec_lo
	s_and_b32 s74, s72, exec_lo
	s_delay_alu instid0(SALU_CYCLE_1)
	s_or_b32 s71, s71, s74
	s_and_not1_b32 exec_lo, exec_lo, s70
	s_cbranch_execz .LBB21_78
.LBB21_76:                              ;   Parent Loop BB21_3 Depth=1
                                        ;     Parent Loop BB21_10 Depth=2
                                        ; =>    This Inner Loop Header: Depth=3
	v_add_nc_u32_e32 v19, v17, v18
	s_or_b32 s72, s72, exec_lo
	s_or_b32 s73, s73, exec_lo
	s_mov_b32 s74, exec_lo
	s_delay_alu instid0(VALU_DEP_1) | instskip(NEXT) | instid1(VALU_DEP_1)
	v_ashrrev_i32_e32 v20, 31, v19
	v_lshlrev_b64 v[21:22], 2, v[19:20]
	s_delay_alu instid0(VALU_DEP_1) | instskip(NEXT) | instid1(VALU_DEP_2)
	v_add_co_u32 v21, vcc_lo, s40, v21
	v_add_co_ci_u32_e32 v22, vcc_lo, s41, v22, vcc_lo
	global_load_b32 v7, v[21:22], off
	s_waitcnt vmcnt(0)
	v_subrev_nc_u32_e32 v7, s62, v7
	s_delay_alu instid0(VALU_DEP_1)
	v_cmpx_ne_u32_e64 v7, v5
	s_cbranch_execz .LBB21_75
; %bb.77:                               ;   in Loop: Header=BB21_76 Depth=3
	v_add_nc_u32_e32 v18, 1, v18
	s_and_not1_b32 s73, s73, exec_lo
	s_and_not1_b32 s72, s72, exec_lo
	s_delay_alu instid0(VALU_DEP_1) | instskip(SKIP_1) | instid1(SALU_CYCLE_1)
	v_cmp_ge_i32_e32 vcc_lo, v18, v33
	s_and_b32 s75, vcc_lo, exec_lo
	s_or_b32 s73, s73, s75
	s_branch .LBB21_75
.LBB21_78:                              ;   in Loop: Header=BB21_10 Depth=2
	s_set_inst_prefetch_distance 0x2
	s_or_b32 exec_lo, exec_lo, s70
	s_and_saveexec_b32 s70, s71
	s_delay_alu instid0(SALU_CYCLE_1)
	s_xor_b32 s70, exec_lo, s70
	s_cbranch_execz .LBB21_80
; %bb.79:                               ;   in Loop: Header=BB21_10 Depth=2
	v_lshlrev_b64 v[17:18], 3, v[19:20]
	s_delay_alu instid0(VALU_DEP_1) | instskip(NEXT) | instid1(VALU_DEP_2)
	v_add_co_u32 v17, vcc_lo, s42, v17
	v_add_co_ci_u32_e32 v18, vcc_lo, s43, v18, vcc_lo
	global_load_b64 v[17:18], v[17:18], off
	s_waitcnt vmcnt(0)
	v_add_f64 v[13:14], v[13:14], v[17:18]
.LBB21_80:                              ;   in Loop: Header=BB21_10 Depth=2
	s_or_b32 exec_lo, exec_lo, s70
	s_delay_alu instid0(SALU_CYCLE_1) | instskip(NEXT) | instid1(SALU_CYCLE_1)
	s_or_b32 exec_lo, exec_lo, s69
	s_mov_b32 s69, exec_lo
	v_cmpx_eq_u32_e64 v5, v11
	s_cbranch_execnz .LBB21_62
	s_branch .LBB21_63
.LBB21_81:                              ;   in Loop: Header=BB21_3 Depth=1
	s_or_b32 exec_lo, exec_lo, s68
	s_delay_alu instid0(SALU_CYCLE_1) | instskip(NEXT) | instid1(SALU_CYCLE_1)
	s_or_b32 exec_lo, exec_lo, s67
	s_and_not1_b32 vcc_lo, exec_lo, s56
	s_cbranch_vccnz .LBB21_5
.LBB21_82:                              ;   in Loop: Header=BB21_3 Depth=1
	ds_store_b64 v25, v[3:4]
	s_waitcnt lgkmcnt(0)
	s_waitcnt_vscnt null, 0x0
	s_barrier
	buffer_gl0_inv
	s_and_saveexec_b32 s13, s0
	s_cbranch_execz .LBB21_84
; %bb.83:                               ;   in Loop: Header=BB21_3 Depth=1
	ds_load_2addr_stride64_b64 v[9:12], v25 offset1:8
	s_waitcnt lgkmcnt(0)
	v_cmp_lt_f64_e32 vcc_lo, v[9:10], v[11:12]
	v_dual_cndmask_b32 v4, v10, v12 :: v_dual_cndmask_b32 v3, v9, v11
	ds_store_b64 v25, v[3:4]
.LBB21_84:                              ;   in Loop: Header=BB21_3 Depth=1
	s_or_b32 exec_lo, exec_lo, s13
	s_waitcnt lgkmcnt(0)
	s_barrier
	buffer_gl0_inv
	s_and_saveexec_b32 s13, s1
	s_cbranch_execz .LBB21_86
; %bb.85:                               ;   in Loop: Header=BB21_3 Depth=1
	ds_load_2addr_stride64_b64 v[9:12], v25 offset1:4
	s_waitcnt lgkmcnt(0)
	v_cmp_lt_f64_e32 vcc_lo, v[9:10], v[11:12]
	v_dual_cndmask_b32 v4, v10, v12 :: v_dual_cndmask_b32 v3, v9, v11
	ds_store_b64 v25, v[3:4]
.LBB21_86:                              ;   in Loop: Header=BB21_3 Depth=1
	s_or_b32 exec_lo, exec_lo, s13
	s_waitcnt lgkmcnt(0)
	;; [unrolled: 13-line block ×4, first 2 shown]
	s_barrier
	buffer_gl0_inv
	s_and_saveexec_b32 s13, s4
	s_cbranch_execz .LBB21_92
; %bb.91:                               ;   in Loop: Header=BB21_3 Depth=1
	ds_load_2addr_b64 v[9:12], v25 offset1:32
	s_waitcnt lgkmcnt(0)
	v_cmp_lt_f64_e32 vcc_lo, v[9:10], v[11:12]
	v_dual_cndmask_b32 v4, v10, v12 :: v_dual_cndmask_b32 v3, v9, v11
	ds_store_b64 v25, v[3:4]
.LBB21_92:                              ;   in Loop: Header=BB21_3 Depth=1
	s_or_b32 exec_lo, exec_lo, s13
	s_waitcnt lgkmcnt(0)
	s_barrier
	buffer_gl0_inv
	s_and_saveexec_b32 s13, s5
	s_cbranch_execz .LBB21_94
; %bb.93:                               ;   in Loop: Header=BB21_3 Depth=1
	ds_load_2addr_b64 v[9:12], v25 offset1:16
	s_waitcnt lgkmcnt(0)
	v_cmp_lt_f64_e32 vcc_lo, v[9:10], v[11:12]
	v_dual_cndmask_b32 v4, v10, v12 :: v_dual_cndmask_b32 v3, v9, v11
	ds_store_b64 v25, v[3:4]
.LBB21_94:                              ;   in Loop: Header=BB21_3 Depth=1
	s_or_b32 exec_lo, exec_lo, s13
	s_waitcnt lgkmcnt(0)
	;; [unrolled: 13-line block ×4, first 2 shown]
	s_barrier
	buffer_gl0_inv
	s_and_saveexec_b32 s13, s8
	s_cbranch_execz .LBB21_100
; %bb.99:                               ;   in Loop: Header=BB21_3 Depth=1
	ds_load_2addr_b64 v[9:12], v25 offset1:2
	s_waitcnt lgkmcnt(0)
	v_cmp_lt_f64_e32 vcc_lo, v[9:10], v[11:12]
	v_dual_cndmask_b32 v4, v10, v12 :: v_dual_cndmask_b32 v3, v9, v11
	ds_store_b64 v25, v[3:4]
.LBB21_100:                             ;   in Loop: Header=BB21_3 Depth=1
	s_or_b32 exec_lo, exec_lo, s13
	s_waitcnt lgkmcnt(0)
	s_barrier
	buffer_gl0_inv
	s_and_saveexec_b32 s13, s9
	s_cbranch_execz .LBB21_102
; %bb.101:                              ;   in Loop: Header=BB21_3 Depth=1
	ds_load_b128 v[9:12], v8
	s_waitcnt lgkmcnt(0)
	v_cmp_lt_f64_e32 vcc_lo, v[9:10], v[11:12]
	v_dual_cndmask_b32 v4, v10, v12 :: v_dual_cndmask_b32 v3, v9, v11
	ds_store_b64 v8, v[3:4]
.LBB21_102:                             ;   in Loop: Header=BB21_3 Depth=1
	s_or_b32 exec_lo, exec_lo, s13
	s_waitcnt lgkmcnt(0)
	s_barrier
	buffer_gl0_inv
	ds_load_b64 v[3:4], v8
	s_load_b64 s[68:69], s[52:53], 0x0
	s_waitcnt lgkmcnt(0)
	v_div_scale_f64 v[9:10], null, s[68:69], s[68:69], v[3:4]
	s_delay_alu instid0(VALU_DEP_1) | instskip(SKIP_2) | instid1(VALU_DEP_1)
	v_rcp_f64_e32 v[11:12], v[9:10]
	s_waitcnt_depctr 0xfff
	v_fma_f64 v[13:14], -v[9:10], v[11:12], 1.0
	v_fma_f64 v[11:12], v[11:12], v[13:14], v[11:12]
	s_delay_alu instid0(VALU_DEP_1) | instskip(NEXT) | instid1(VALU_DEP_1)
	v_fma_f64 v[13:14], -v[9:10], v[11:12], 1.0
	v_fma_f64 v[11:12], v[11:12], v[13:14], v[11:12]
	v_div_scale_f64 v[13:14], vcc_lo, v[3:4], s[68:69], v[3:4]
	s_delay_alu instid0(VALU_DEP_1) | instskip(NEXT) | instid1(VALU_DEP_1)
	v_mul_f64 v[15:16], v[13:14], v[11:12]
	v_fma_f64 v[9:10], -v[9:10], v[15:16], v[13:14]
	s_delay_alu instid0(VALU_DEP_1) | instskip(NEXT) | instid1(VALU_DEP_1)
	v_div_fmas_f64 v[9:10], v[9:10], v[11:12], v[15:16]
	v_div_fixup_f64 v[3:4], v[9:10], s[68:69], v[3:4]
	s_and_not1_b32 vcc_lo, exec_lo, s33
	s_cbranch_vccnz .LBB21_6
.LBB21_103:                             ;   in Loop: Header=BB21_3 Depth=1
	ds_store_b64 v25, v[1:2]
	s_waitcnt lgkmcnt(0)
	s_waitcnt_vscnt null, 0x0
	s_barrier
	buffer_gl0_inv
	s_and_saveexec_b32 s13, s0
	s_cbranch_execz .LBB21_105
; %bb.104:                              ;   in Loop: Header=BB21_3 Depth=1
	ds_load_2addr_stride64_b64 v[9:12], v25 offset1:8
	s_waitcnt lgkmcnt(0)
	v_cmp_lt_f64_e32 vcc_lo, v[9:10], v[11:12]
	v_dual_cndmask_b32 v2, v10, v12 :: v_dual_cndmask_b32 v1, v9, v11
	ds_store_b64 v25, v[1:2]
.LBB21_105:                             ;   in Loop: Header=BB21_3 Depth=1
	s_or_b32 exec_lo, exec_lo, s13
	s_waitcnt lgkmcnt(0)
	s_barrier
	buffer_gl0_inv
	s_and_saveexec_b32 s13, s1
	s_cbranch_execz .LBB21_107
; %bb.106:                              ;   in Loop: Header=BB21_3 Depth=1
	ds_load_2addr_stride64_b64 v[9:12], v25 offset1:4
	s_waitcnt lgkmcnt(0)
	v_cmp_lt_f64_e32 vcc_lo, v[9:10], v[11:12]
	v_dual_cndmask_b32 v2, v10, v12 :: v_dual_cndmask_b32 v1, v9, v11
	ds_store_b64 v25, v[1:2]
.LBB21_107:                             ;   in Loop: Header=BB21_3 Depth=1
	s_or_b32 exec_lo, exec_lo, s13
	s_waitcnt lgkmcnt(0)
	;; [unrolled: 13-line block ×4, first 2 shown]
	s_barrier
	buffer_gl0_inv
	s_and_saveexec_b32 s13, s4
	s_cbranch_execz .LBB21_113
; %bb.112:                              ;   in Loop: Header=BB21_3 Depth=1
	ds_load_2addr_b64 v[9:12], v25 offset1:32
	s_waitcnt lgkmcnt(0)
	v_cmp_lt_f64_e32 vcc_lo, v[9:10], v[11:12]
	v_dual_cndmask_b32 v2, v10, v12 :: v_dual_cndmask_b32 v1, v9, v11
	ds_store_b64 v25, v[1:2]
.LBB21_113:                             ;   in Loop: Header=BB21_3 Depth=1
	s_or_b32 exec_lo, exec_lo, s13
	s_waitcnt lgkmcnt(0)
	s_barrier
	buffer_gl0_inv
	s_and_saveexec_b32 s13, s5
	s_cbranch_execz .LBB21_115
; %bb.114:                              ;   in Loop: Header=BB21_3 Depth=1
	ds_load_2addr_b64 v[9:12], v25 offset1:16
	s_waitcnt lgkmcnt(0)
	v_cmp_lt_f64_e32 vcc_lo, v[9:10], v[11:12]
	v_dual_cndmask_b32 v2, v10, v12 :: v_dual_cndmask_b32 v1, v9, v11
	ds_store_b64 v25, v[1:2]
.LBB21_115:                             ;   in Loop: Header=BB21_3 Depth=1
	s_or_b32 exec_lo, exec_lo, s13
	s_waitcnt lgkmcnt(0)
	;; [unrolled: 13-line block ×5, first 2 shown]
	s_barrier
	buffer_gl0_inv
	s_and_saveexec_b32 s13, s9
	s_cbranch_execz .LBB21_123
; %bb.122:                              ;   in Loop: Header=BB21_3 Depth=1
	ds_load_b128 v[9:12], v8
	s_waitcnt lgkmcnt(0)
	v_cmp_lt_f64_e32 vcc_lo, v[9:10], v[11:12]
	v_dual_cndmask_b32 v2, v10, v12 :: v_dual_cndmask_b32 v1, v9, v11
	ds_store_b64 v8, v[1:2]
.LBB21_123:                             ;   in Loop: Header=BB21_3 Depth=1
	s_or_b32 exec_lo, exec_lo, s13
	s_waitcnt lgkmcnt(0)
	s_barrier
	buffer_gl0_inv
	ds_load_b64 v[1:2], v8
	s_load_b64 s[68:69], s[52:53], 0x0
	s_waitcnt lgkmcnt(0)
	v_div_scale_f64 v[9:10], null, s[68:69], s[68:69], v[1:2]
	s_delay_alu instid0(VALU_DEP_1) | instskip(SKIP_2) | instid1(VALU_DEP_1)
	v_rcp_f64_e32 v[11:12], v[9:10]
	s_waitcnt_depctr 0xfff
	v_fma_f64 v[13:14], -v[9:10], v[11:12], 1.0
	v_fma_f64 v[11:12], v[11:12], v[13:14], v[11:12]
	s_delay_alu instid0(VALU_DEP_1) | instskip(NEXT) | instid1(VALU_DEP_1)
	v_fma_f64 v[13:14], -v[9:10], v[11:12], 1.0
	v_fma_f64 v[11:12], v[11:12], v[13:14], v[11:12]
	v_div_scale_f64 v[13:14], vcc_lo, v[1:2], s[68:69], v[1:2]
	s_delay_alu instid0(VALU_DEP_1) | instskip(NEXT) | instid1(VALU_DEP_1)
	v_mul_f64 v[15:16], v[13:14], v[11:12]
	v_fma_f64 v[9:10], -v[9:10], v[15:16], v[13:14]
	s_delay_alu instid0(VALU_DEP_1) | instskip(NEXT) | instid1(VALU_DEP_1)
	v_div_fmas_f64 v[9:10], v[9:10], v[11:12], v[15:16]
	v_div_fixup_f64 v[1:2], v[9:10], s[68:69], v[1:2]
	s_and_saveexec_b32 s67, s10
	s_cbranch_execz .LBB21_134
.LBB21_124:                             ;   in Loop: Header=BB21_3 Depth=1
	v_mov_b32_e32 v9, v5
	s_mov_b32 s68, 0
	s_branch .LBB21_127
.LBB21_125:                             ;   in Loop: Header=BB21_127 Depth=2
	s_or_b32 exec_lo, exec_lo, s70
	v_lshlrev_b64 v[10:11], 3, v[9:10]
	s_delay_alu instid0(VALU_DEP_1) | instskip(NEXT) | instid1(VALU_DEP_2)
	v_add_co_u32 v12, vcc_lo, s26, v10
	v_add_co_ci_u32_e32 v13, vcc_lo, s27, v11, vcc_lo
	v_add_co_u32 v10, vcc_lo, s24, v10
	v_add_co_ci_u32_e32 v11, vcc_lo, s25, v11, vcc_lo
	global_load_b64 v[12:13], v[12:13], off
	s_waitcnt vmcnt(0)
	global_store_b64 v[10:11], v[12:13], off
.LBB21_126:                             ;   in Loop: Header=BB21_127 Depth=2
	s_or_b32 exec_lo, exec_lo, s69
	v_add_nc_u32_e32 v9, 0x400, v9
	s_delay_alu instid0(VALU_DEP_1) | instskip(SKIP_1) | instid1(SALU_CYCLE_1)
	v_cmp_le_u32_e32 vcc_lo, s63, v9
	s_or_b32 s68, vcc_lo, s68
	s_and_not1_b32 exec_lo, exec_lo, s68
	s_cbranch_execz .LBB21_134
.LBB21_127:                             ;   Parent Loop BB21_3 Depth=1
                                        ; =>  This Loop Header: Depth=2
                                        ;       Child Loop BB21_130 Depth 3
                                        ;       Child Loop BB21_133 Depth 3
	s_mov_b32 s69, exec_lo
	s_delay_alu instid0(VALU_DEP_1)
	v_cmpx_gt_i32_e64 s58, v9
	s_cbranch_execz .LBB21_126
; %bb.128:                              ;   in Loop: Header=BB21_127 Depth=2
	v_ashrrev_i32_e32 v10, 31, v9
	s_mov_b32 s70, exec_lo
	s_delay_alu instid0(VALU_DEP_1) | instskip(NEXT) | instid1(VALU_DEP_1)
	v_lshlrev_b64 v[11:12], 2, v[9:10]
	v_add_co_u32 v13, vcc_lo, s16, v11
	s_delay_alu instid0(VALU_DEP_2)
	v_add_co_ci_u32_e32 v14, vcc_lo, s17, v12, vcc_lo
	v_add_co_u32 v15, vcc_lo, s18, v11
	v_add_co_ci_u32_e32 v16, vcc_lo, s19, v12, vcc_lo
	global_load_b32 v13, v[13:14], off
	global_load_b32 v7, v[15:16], off
	s_waitcnt vmcnt(0)
	v_cmpx_lt_i32_e64 v13, v7
	s_cbranch_execz .LBB21_131
; %bb.129:                              ;   in Loop: Header=BB21_127 Depth=2
	v_subrev_nc_u32_e32 v13, s60, v13
	v_subrev_nc_u32_e32 v7, s60, v7
	s_mov_b32 s71, 0
	s_delay_alu instid0(VALU_DEP_2) | instskip(NEXT) | instid1(VALU_DEP_1)
	v_ashrrev_i32_e32 v14, 31, v13
	v_lshlrev_b64 v[16:17], 3, v[13:14]
	s_delay_alu instid0(VALU_DEP_1) | instskip(NEXT) | instid1(VALU_DEP_2)
	v_add_co_u32 v14, vcc_lo, s14, v16
	v_add_co_ci_u32_e32 v15, vcc_lo, s15, v17, vcc_lo
	v_add_co_u32 v16, vcc_lo, s22, v16
	v_add_co_ci_u32_e32 v17, vcc_lo, s23, v17, vcc_lo
.LBB21_130:                             ;   Parent Loop BB21_3 Depth=1
                                        ;     Parent Loop BB21_127 Depth=2
                                        ; =>    This Inner Loop Header: Depth=3
	global_load_b64 v[18:19], v[14:15], off
	v_add_nc_u32_e32 v13, 1, v13
	v_add_co_u32 v14, vcc_lo, v14, 8
	v_add_co_ci_u32_e32 v15, vcc_lo, 0, v15, vcc_lo
	s_delay_alu instid0(VALU_DEP_3) | instskip(SKIP_4) | instid1(VALU_DEP_1)
	v_cmp_ge_i32_e32 vcc_lo, v13, v7
	s_or_b32 s71, vcc_lo, s71
	s_waitcnt vmcnt(0)
	global_store_b64 v[16:17], v[18:19], off
	v_add_co_u32 v16, s13, v16, 8
	v_add_co_ci_u32_e64 v17, s13, 0, v17, s13
	s_and_not1_b32 exec_lo, exec_lo, s71
	s_cbranch_execnz .LBB21_130
.LBB21_131:                             ;   in Loop: Header=BB21_127 Depth=2
	s_or_b32 exec_lo, exec_lo, s70
	v_add_co_u32 v13, vcc_lo, s36, v11
	v_add_co_ci_u32_e32 v14, vcc_lo, s37, v12, vcc_lo
	v_add_co_u32 v15, vcc_lo, s38, v11
	v_add_co_ci_u32_e32 v16, vcc_lo, s39, v12, vcc_lo
	s_mov_b32 s70, exec_lo
	global_load_b32 v11, v[13:14], off
	global_load_b32 v7, v[15:16], off
	s_waitcnt vmcnt(0)
	v_cmpx_lt_i32_e64 v11, v7
	s_cbranch_execz .LBB21_125
; %bb.132:                              ;   in Loop: Header=BB21_127 Depth=2
	v_subrev_nc_u32_e32 v11, s62, v11
	v_subrev_nc_u32_e32 v7, s62, v7
	s_mov_b32 s71, 0
	s_delay_alu instid0(VALU_DEP_2) | instskip(NEXT) | instid1(VALU_DEP_1)
	v_ashrrev_i32_e32 v12, 31, v11
	v_lshlrev_b64 v[14:15], 3, v[11:12]
	s_delay_alu instid0(VALU_DEP_1) | instskip(NEXT) | instid1(VALU_DEP_2)
	v_add_co_u32 v12, vcc_lo, s54, v14
	v_add_co_ci_u32_e32 v13, vcc_lo, s55, v15, vcc_lo
	v_add_co_u32 v14, vcc_lo, s42, v14
	v_add_co_ci_u32_e32 v15, vcc_lo, s43, v15, vcc_lo
	.p2align	6
.LBB21_133:                             ;   Parent Loop BB21_3 Depth=1
                                        ;     Parent Loop BB21_127 Depth=2
                                        ; =>    This Inner Loop Header: Depth=3
	global_load_b64 v[16:17], v[12:13], off
	v_add_nc_u32_e32 v11, 1, v11
	v_add_co_u32 v12, vcc_lo, v12, 8
	v_add_co_ci_u32_e32 v13, vcc_lo, 0, v13, vcc_lo
	s_delay_alu instid0(VALU_DEP_3) | instskip(SKIP_4) | instid1(VALU_DEP_1)
	v_cmp_ge_i32_e32 vcc_lo, v11, v7
	s_or_b32 s71, vcc_lo, s71
	s_waitcnt vmcnt(0)
	global_store_b64 v[14:15], v[16:17], off
	v_add_co_u32 v14, s13, v14, 8
	v_add_co_ci_u32_e64 v15, s13, 0, v15, s13
	s_and_not1_b32 exec_lo, exec_lo, s71
	s_cbranch_execnz .LBB21_133
	s_branch .LBB21_125
.LBB21_134:                             ;   in Loop: Header=BB21_3 Depth=1
	s_or_b32 exec_lo, exec_lo, s67
	s_delay_alu instid0(SALU_CYCLE_1)
	s_and_b32 vcc_lo, exec_lo, s57
	s_mov_b32 s67, -1
	s_cbranch_vccz .LBB21_144
; %bb.135:                              ;   in Loop: Header=BB21_3 Depth=1
	s_and_b32 vcc_lo, exec_lo, s65
	s_mov_b32 s13, -1
                                        ; implicit-def: $sgpr68
	s_cbranch_vccz .LBB21_141
; %bb.136:                              ;   in Loop: Header=BB21_3 Depth=1
	s_and_b32 vcc_lo, exec_lo, s64
                                        ; implicit-def: $sgpr68
	s_cbranch_vccz .LBB21_138
; %bb.137:                              ;   in Loop: Header=BB21_3 Depth=1
	s_delay_alu instid0(VALU_DEP_1)
	v_cmp_ge_f64_e32 vcc_lo, s[50:51], v[1:2]
	s_mov_b32 s13, 0
	s_and_b32 s68, vcc_lo, exec_lo
.LBB21_138:                             ;   in Loop: Header=BB21_3 Depth=1
	s_and_not1_b32 vcc_lo, exec_lo, s13
	s_cbranch_vccnz .LBB21_140
; %bb.139:                              ;   in Loop: Header=BB21_3 Depth=1
	s_delay_alu instid0(VALU_DEP_1) | instskip(SKIP_2) | instid1(SALU_CYCLE_1)
	v_cmp_ge_f64_e32 vcc_lo, s[50:51], v[3:4]
	s_and_not1_b32 s13, s68, exec_lo
	s_and_b32 s68, vcc_lo, exec_lo
	s_or_b32 s68, s13, s68
.LBB21_140:                             ;   in Loop: Header=BB21_3 Depth=1
	s_mov_b32 s13, 0
.LBB21_141:                             ;   in Loop: Header=BB21_3 Depth=1
	s_delay_alu instid0(SALU_CYCLE_1)
	s_and_not1_b32 vcc_lo, exec_lo, s13
	s_cbranch_vccnz .LBB21_143
; %bb.142:                              ;   in Loop: Header=BB21_3 Depth=1
	s_delay_alu instid0(VALU_DEP_1) | instskip(NEXT) | instid1(VALU_DEP_2)
	v_cmp_ge_f64_e32 vcc_lo, s[50:51], v[3:4]
	v_cmp_ge_f64_e64 s13, s[50:51], v[1:2]
	s_and_not1_b32 s68, s68, exec_lo
	s_delay_alu instid0(VALU_DEP_1) | instskip(NEXT) | instid1(SALU_CYCLE_1)
	s_and_b32 s13, vcc_lo, s13
	s_and_b32 s13, s13, exec_lo
	s_delay_alu instid0(SALU_CYCLE_1)
	s_or_b32 s68, s68, s13
.LBB21_143:                             ;   in Loop: Header=BB21_3 Depth=1
	s_delay_alu instid0(SALU_CYCLE_1)
	s_xor_b32 s13, s68, -1
	v_mov_b32_e32 v7, s66
	s_and_saveexec_b32 s68, s13
	s_cbranch_execz .LBB21_2
	s_branch .LBB21_145
.LBB21_144:                             ;   in Loop: Header=BB21_3 Depth=1
	s_mov_b32 s13, -1
	v_mov_b32_e32 v7, s66
	s_and_saveexec_b32 s68, s13
	s_cbranch_execz .LBB21_2
.LBB21_145:                             ;   in Loop: Header=BB21_3 Depth=1
	s_add_i32 s66, s66, 1
	v_mov_b32_e32 v7, s35
	s_cmp_eq_u32 s66, s35
	s_cselect_b32 s13, -1, 0
	s_delay_alu instid0(SALU_CYCLE_1)
	s_or_not1_b32 s67, s13, exec_lo
	s_branch .LBB21_2
.LBB21_146:
	s_or_b32 exec_lo, exec_lo, s34
.LBB21_147:
	s_delay_alu instid0(SALU_CYCLE_1) | instskip(NEXT) | instid1(SALU_CYCLE_1)
	s_or_b32 exec_lo, exec_lo, s59
	s_and_not1_b32 vcc_lo, exec_lo, s57
	s_cbranch_vccnz .LBB21_172
; %bb.148:
	v_lshlrev_b32_e32 v6, 2, v0
	s_mov_b32 s0, exec_lo
	s_delay_alu instid0(VALU_DEP_1)
	v_or_b32_e32 v5, 0x2000, v6
	ds_store_b32 v6, v7 offset:8192
	s_waitcnt lgkmcnt(0)
	s_waitcnt_vscnt null, 0x0
	s_barrier
	buffer_gl0_inv
	v_cmpx_gt_u32_e32 0x200, v0
	s_cbranch_execz .LBB21_150
; %bb.149:
	ds_load_2addr_stride64_b32 v[6:7], v5 offset1:8
	s_waitcnt lgkmcnt(0)
	v_max_i32_e32 v6, v6, v7
	ds_store_b32 v5, v6
.LBB21_150:
	s_or_b32 exec_lo, exec_lo, s0
	s_delay_alu instid0(SALU_CYCLE_1)
	s_mov_b32 s0, exec_lo
	s_waitcnt lgkmcnt(0)
	s_barrier
	buffer_gl0_inv
	v_cmpx_gt_u32_e32 0x100, v0
	s_cbranch_execz .LBB21_152
; %bb.151:
	ds_load_2addr_stride64_b32 v[6:7], v5 offset1:4
	s_waitcnt lgkmcnt(0)
	v_max_i32_e32 v6, v6, v7
	ds_store_b32 v5, v6
.LBB21_152:
	s_or_b32 exec_lo, exec_lo, s0
	s_delay_alu instid0(SALU_CYCLE_1)
	s_mov_b32 s0, exec_lo
	s_waitcnt lgkmcnt(0)
	;; [unrolled: 14-line block ×4, first 2 shown]
	s_barrier
	buffer_gl0_inv
	v_cmpx_gt_u32_e32 32, v0
	s_cbranch_execz .LBB21_158
; %bb.157:
	ds_load_2addr_b32 v[6:7], v5 offset1:32
	s_waitcnt lgkmcnt(0)
	v_max_i32_e32 v6, v6, v7
	ds_store_b32 v5, v6
.LBB21_158:
	s_or_b32 exec_lo, exec_lo, s0
	s_delay_alu instid0(SALU_CYCLE_1)
	s_mov_b32 s0, exec_lo
	s_waitcnt lgkmcnt(0)
	s_barrier
	buffer_gl0_inv
	v_cmpx_gt_u32_e32 16, v0
	s_cbranch_execz .LBB21_160
; %bb.159:
	ds_load_2addr_b32 v[6:7], v5 offset1:16
	s_waitcnt lgkmcnt(0)
	v_max_i32_e32 v6, v6, v7
	ds_store_b32 v5, v6
.LBB21_160:
	s_or_b32 exec_lo, exec_lo, s0
	s_delay_alu instid0(SALU_CYCLE_1)
	s_mov_b32 s0, exec_lo
	s_waitcnt lgkmcnt(0)
	;; [unrolled: 14-line block ×4, first 2 shown]
	s_barrier
	buffer_gl0_inv
	v_cmpx_gt_u32_e32 2, v0
	s_cbranch_execz .LBB21_166
; %bb.165:
	ds_load_2addr_b32 v[6:7], v5 offset1:2
	s_waitcnt lgkmcnt(0)
	v_max_i32_e32 v6, v6, v7
	ds_store_b32 v5, v6
.LBB21_166:
	s_or_b32 exec_lo, exec_lo, s0
	v_cmp_eq_u32_e32 vcc_lo, 0, v0
	s_waitcnt lgkmcnt(0)
	s_barrier
	buffer_gl0_inv
	s_and_saveexec_b32 s0, vcc_lo
	s_cbranch_execz .LBB21_168
; %bb.167:
	v_mov_b32_e32 v7, 0
	ds_load_b64 v[5:6], v7 offset:8192
	s_waitcnt lgkmcnt(0)
	v_max_i32_e32 v5, v5, v6
	ds_store_b32 v7, v5 offset:8192
.LBB21_168:
	s_or_b32 exec_lo, exec_lo, s0
	s_waitcnt lgkmcnt(0)
	s_barrier
	buffer_gl0_inv
	s_and_saveexec_b32 s0, vcc_lo
	s_cbranch_execz .LBB21_171
; %bb.169:
	v_mbcnt_lo_u32_b32 v5, exec_lo, 0
	s_delay_alu instid0(VALU_DEP_1)
	v_cmp_eq_u32_e32 vcc_lo, 0, v5
	s_and_b32 exec_lo, exec_lo, vcc_lo
	s_cbranch_execz .LBB21_171
; %bb.170:
	v_mov_b32_e32 v5, 0
	ds_load_b32 v6, v5 offset:8192
	s_waitcnt lgkmcnt(0)
	v_add_nc_u32_e32 v6, 1, v6
	global_atomic_max_i32 v5, v6, s[48:49]
.LBB21_171:
	s_or_b32 exec_lo, exec_lo, s0
.LBB21_172:
	v_cmp_eq_u32_e32 vcc_lo, 0, v0
	s_mov_b32 s2, 0
	s_and_b32 s0, vcc_lo, s56
	s_delay_alu instid0(SALU_CYCLE_1)
	s_and_saveexec_b32 s4, s0
	s_cbranch_execz .LBB21_177
; %bb.173:
	v_mov_b32_e32 v0, 0
	s_delay_alu instid0(VALU_DEP_4)
	v_cmp_eq_f64_e64 s0, 0, v[3:4]
	s_brev_b32 s3, 1
                                        ; implicit-def: $sgpr5
	global_load_b64 v[5:6], v0, s[44:45] glc
	s_waitcnt vmcnt(0)
	v_cmp_eq_u64_e64 s6, s[2:3], v[5:6]
                                        ; implicit-def: $sgpr3
	s_set_inst_prefetch_distance 0x1
	s_branch .LBB21_175
	.p2align	6
.LBB21_174:                             ;   in Loop: Header=BB21_175 Depth=1
	s_or_b32 exec_lo, exec_lo, s7
	s_delay_alu instid0(SALU_CYCLE_1) | instskip(NEXT) | instid1(SALU_CYCLE_1)
	s_and_b32 s1, exec_lo, s3
	s_or_b32 s2, s1, s2
	s_and_not1_b32 s1, s6, exec_lo
	s_and_b32 s6, s5, exec_lo
	s_delay_alu instid0(SALU_CYCLE_1)
	s_or_b32 s6, s1, s6
	s_and_not1_b32 exec_lo, exec_lo, s2
	s_cbranch_execz .LBB21_177
.LBB21_175:                             ; =>This Inner Loop Header: Depth=1
	v_cmp_lt_f64_e64 s1, v[5:6], v[3:4]
	s_delay_alu instid0(VALU_DEP_2) | instskip(SKIP_2) | instid1(VALU_DEP_1)
	s_and_b32 s7, s0, s6
	s_and_not1_b32 s5, s5, exec_lo
	s_or_b32 s3, s3, exec_lo
	s_or_b32 s1, s1, s7
	s_delay_alu instid0(SALU_CYCLE_1)
	s_and_saveexec_b32 s7, s1
	s_cbranch_execz .LBB21_174
; %bb.176:                              ;   in Loop: Header=BB21_175 Depth=1
	global_atomic_cmpswap_b64 v[7:8], v0, v[3:6], s[44:45] glc
	s_and_not1_b32 s5, s5, exec_lo
	s_and_not1_b32 s3, s3, exec_lo
	s_waitcnt vmcnt(0)
	v_cmp_eq_u64_e64 s1, v[7:8], v[5:6]
	s_delay_alu instid0(VALU_DEP_1) | instskip(SKIP_2) | instid1(SALU_CYCLE_1)
	v_cndmask_b32_e64 v6, v8, v6, s1
	v_cndmask_b32_e64 v5, v7, v5, s1
	s_and_b32 s1, s1, exec_lo
	s_or_b32 s3, s3, s1
	s_delay_alu instid0(VALU_DEP_1) | instskip(SKIP_1) | instid1(VALU_DEP_2)
	v_cmp_class_f64_e64 s6, v[5:6], 32
	v_dual_mov_b32 v5, v7 :: v_dual_mov_b32 v6, v8
	s_and_b32 s6, s6, exec_lo
	s_delay_alu instid0(SALU_CYCLE_1)
	s_or_b32 s5, s5, s6
                                        ; implicit-def: $sgpr6
	s_branch .LBB21_174
.LBB21_177:
	s_set_inst_prefetch_distance 0x2
	s_or_b32 exec_lo, exec_lo, s4
	s_and_b32 s0, vcc_lo, s33
	s_delay_alu instid0(SALU_CYCLE_1)
	s_and_saveexec_b32 s1, s0
	s_cbranch_execz .LBB21_182
; %bb.178:
	v_mov_b32_e32 v0, 0
	s_delay_alu instid0(VALU_DEP_4)
	v_cmp_eq_f64_e32 vcc_lo, 0, v[1:2]
	s_brev_b32 s3, 1
	s_mov_b32 s2, 0
                                        ; implicit-def: $sgpr1
	global_load_b64 v[3:4], v0, s[46:47] glc
	s_waitcnt vmcnt(0)
	v_cmp_eq_u64_e64 s4, s[2:3], v[3:4]
                                        ; implicit-def: $sgpr3
	s_set_inst_prefetch_distance 0x1
	s_branch .LBB21_180
	.p2align	6
.LBB21_179:                             ;   in Loop: Header=BB21_180 Depth=1
	s_or_b32 exec_lo, exec_lo, s5
	s_delay_alu instid0(SALU_CYCLE_1) | instskip(NEXT) | instid1(SALU_CYCLE_1)
	s_and_b32 s0, exec_lo, s1
	s_or_b32 s2, s0, s2
	s_and_not1_b32 s0, s4, exec_lo
	s_and_b32 s4, s3, exec_lo
	s_delay_alu instid0(SALU_CYCLE_1)
	s_or_b32 s4, s0, s4
	s_and_not1_b32 exec_lo, exec_lo, s2
	s_cbranch_execz .LBB21_182
.LBB21_180:                             ; =>This Inner Loop Header: Depth=1
	v_cmp_lt_f64_e64 s0, v[3:4], v[1:2]
	s_delay_alu instid0(VALU_DEP_2) | instskip(SKIP_2) | instid1(VALU_DEP_1)
	s_and_b32 s5, vcc_lo, s4
	s_and_not1_b32 s3, s3, exec_lo
	s_or_b32 s1, s1, exec_lo
	s_or_b32 s0, s0, s5
	s_delay_alu instid0(SALU_CYCLE_1)
	s_and_saveexec_b32 s5, s0
	s_cbranch_execz .LBB21_179
; %bb.181:                              ;   in Loop: Header=BB21_180 Depth=1
	global_atomic_cmpswap_b64 v[5:6], v0, v[1:4], s[46:47] glc
	s_and_not1_b32 s3, s3, exec_lo
	s_and_not1_b32 s1, s1, exec_lo
	s_waitcnt vmcnt(0)
	v_cmp_eq_u64_e64 s0, v[5:6], v[3:4]
	s_delay_alu instid0(VALU_DEP_1) | instskip(SKIP_2) | instid1(SALU_CYCLE_1)
	v_cndmask_b32_e64 v4, v6, v4, s0
	v_cndmask_b32_e64 v3, v5, v3, s0
	s_and_b32 s0, s0, exec_lo
	s_or_b32 s1, s1, s0
	s_delay_alu instid0(VALU_DEP_1) | instskip(SKIP_1) | instid1(VALU_DEP_2)
	v_cmp_class_f64_e64 s4, v[3:4], 32
	v_dual_mov_b32 v3, v5 :: v_dual_mov_b32 v4, v6
	s_and_b32 s4, s4, exec_lo
	s_delay_alu instid0(SALU_CYCLE_1)
	s_or_b32 s3, s3, s4
                                        ; implicit-def: $sgpr4
	s_branch .LBB21_179
.LBB21_182:
	s_set_inst_prefetch_distance 0x2
	s_nop 0
	s_sendmsg sendmsg(MSG_DEALLOC_VGPRS)
	s_endpgm
	.section	.rodata,"a",@progbits
	.p2align	6, 0x0
	.amdhsa_kernel _ZN9rocsparseL6kernelILi1024ELi1EdiiEEvbbbT3_PS1_NS_15floating_traitsIT1_E6data_tES1_T2_PKS7_S9_PKS1_PKS4_21rocsparse_index_base_S9_S9_SB_PS4_SF_SE_S9_S9_SB_SF_SF_SE_SF_SF_PS6_SG_PKS6_
		.amdhsa_group_segment_fixed_size 12288
		.amdhsa_private_segment_fixed_size 0
		.amdhsa_kernarg_size 208
		.amdhsa_user_sgpr_count 15
		.amdhsa_user_sgpr_dispatch_ptr 0
		.amdhsa_user_sgpr_queue_ptr 0
		.amdhsa_user_sgpr_kernarg_segment_ptr 1
		.amdhsa_user_sgpr_dispatch_id 0
		.amdhsa_user_sgpr_private_segment_size 0
		.amdhsa_wavefront_size32 1
		.amdhsa_uses_dynamic_stack 0
		.amdhsa_enable_private_segment 0
		.amdhsa_system_sgpr_workgroup_id_x 1
		.amdhsa_system_sgpr_workgroup_id_y 0
		.amdhsa_system_sgpr_workgroup_id_z 0
		.amdhsa_system_sgpr_workgroup_info 0
		.amdhsa_system_vgpr_workitem_id 0
		.amdhsa_next_free_vgpr 40
		.amdhsa_next_free_sgpr 79
		.amdhsa_reserve_vcc 1
		.amdhsa_float_round_mode_32 0
		.amdhsa_float_round_mode_16_64 0
		.amdhsa_float_denorm_mode_32 3
		.amdhsa_float_denorm_mode_16_64 3
		.amdhsa_dx10_clamp 1
		.amdhsa_ieee_mode 1
		.amdhsa_fp16_overflow 0
		.amdhsa_workgroup_processor_mode 1
		.amdhsa_memory_ordered 1
		.amdhsa_forward_progress 0
		.amdhsa_shared_vgpr_count 0
		.amdhsa_exception_fp_ieee_invalid_op 0
		.amdhsa_exception_fp_denorm_src 0
		.amdhsa_exception_fp_ieee_div_zero 0
		.amdhsa_exception_fp_ieee_overflow 0
		.amdhsa_exception_fp_ieee_underflow 0
		.amdhsa_exception_fp_ieee_inexact 0
		.amdhsa_exception_int_div_zero 0
	.end_amdhsa_kernel
	.section	.text._ZN9rocsparseL6kernelILi1024ELi1EdiiEEvbbbT3_PS1_NS_15floating_traitsIT1_E6data_tES1_T2_PKS7_S9_PKS1_PKS4_21rocsparse_index_base_S9_S9_SB_PS4_SF_SE_S9_S9_SB_SF_SF_SE_SF_SF_PS6_SG_PKS6_,"axG",@progbits,_ZN9rocsparseL6kernelILi1024ELi1EdiiEEvbbbT3_PS1_NS_15floating_traitsIT1_E6data_tES1_T2_PKS7_S9_PKS1_PKS4_21rocsparse_index_base_S9_S9_SB_PS4_SF_SE_S9_S9_SB_SF_SF_SE_SF_SF_PS6_SG_PKS6_,comdat
.Lfunc_end21:
	.size	_ZN9rocsparseL6kernelILi1024ELi1EdiiEEvbbbT3_PS1_NS_15floating_traitsIT1_E6data_tES1_T2_PKS7_S9_PKS1_PKS4_21rocsparse_index_base_S9_S9_SB_PS4_SF_SE_S9_S9_SB_SF_SF_SE_SF_SF_PS6_SG_PKS6_, .Lfunc_end21-_ZN9rocsparseL6kernelILi1024ELi1EdiiEEvbbbT3_PS1_NS_15floating_traitsIT1_E6data_tES1_T2_PKS7_S9_PKS1_PKS4_21rocsparse_index_base_S9_S9_SB_PS4_SF_SE_S9_S9_SB_SF_SF_SE_SF_SF_PS6_SG_PKS6_
                                        ; -- End function
	.section	.AMDGPU.csdata,"",@progbits
; Kernel info:
; codeLenInByte = 6752
; NumSgprs: 81
; NumVgprs: 40
; ScratchSize: 0
; MemoryBound: 1
; FloatMode: 240
; IeeeMode: 1
; LDSByteSize: 12288 bytes/workgroup (compile time only)
; SGPRBlocks: 10
; VGPRBlocks: 4
; NumSGPRsForWavesPerEU: 81
; NumVGPRsForWavesPerEU: 40
; Occupancy: 16
; WaveLimiterHint : 1
; COMPUTE_PGM_RSRC2:SCRATCH_EN: 0
; COMPUTE_PGM_RSRC2:USER_SGPR: 15
; COMPUTE_PGM_RSRC2:TRAP_HANDLER: 0
; COMPUTE_PGM_RSRC2:TGID_X_EN: 1
; COMPUTE_PGM_RSRC2:TGID_Y_EN: 0
; COMPUTE_PGM_RSRC2:TGID_Z_EN: 0
; COMPUTE_PGM_RSRC2:TIDIG_COMP_CNT: 0
	.section	.text._ZN9rocsparseL6kernelILi1024ELi2EdiiEEvbbbT3_PS1_NS_15floating_traitsIT1_E6data_tES1_T2_PKS7_S9_PKS1_PKS4_21rocsparse_index_base_S9_S9_SB_PS4_SF_SE_S9_S9_SB_SF_SF_SE_SF_SF_PS6_SG_PKS6_,"axG",@progbits,_ZN9rocsparseL6kernelILi1024ELi2EdiiEEvbbbT3_PS1_NS_15floating_traitsIT1_E6data_tES1_T2_PKS7_S9_PKS1_PKS4_21rocsparse_index_base_S9_S9_SB_PS4_SF_SE_S9_S9_SB_SF_SF_SE_SF_SF_PS6_SG_PKS6_,comdat
	.globl	_ZN9rocsparseL6kernelILi1024ELi2EdiiEEvbbbT3_PS1_NS_15floating_traitsIT1_E6data_tES1_T2_PKS7_S9_PKS1_PKS4_21rocsparse_index_base_S9_S9_SB_PS4_SF_SE_S9_S9_SB_SF_SF_SE_SF_SF_PS6_SG_PKS6_ ; -- Begin function _ZN9rocsparseL6kernelILi1024ELi2EdiiEEvbbbT3_PS1_NS_15floating_traitsIT1_E6data_tES1_T2_PKS7_S9_PKS1_PKS4_21rocsparse_index_base_S9_S9_SB_PS4_SF_SE_S9_S9_SB_SF_SF_SE_SF_SF_PS6_SG_PKS6_
	.p2align	8
	.type	_ZN9rocsparseL6kernelILi1024ELi2EdiiEEvbbbT3_PS1_NS_15floating_traitsIT1_E6data_tES1_T2_PKS7_S9_PKS1_PKS4_21rocsparse_index_base_S9_S9_SB_PS4_SF_SE_S9_S9_SB_SF_SF_SE_SF_SF_PS6_SG_PKS6_,@function
_ZN9rocsparseL6kernelILi1024ELi2EdiiEEvbbbT3_PS1_NS_15floating_traitsIT1_E6data_tES1_T2_PKS7_S9_PKS1_PKS4_21rocsparse_index_base_S9_S9_SB_PS4_SF_SE_S9_S9_SB_SF_SF_SE_SF_SF_PS6_SG_PKS6_: ; @_ZN9rocsparseL6kernelILi1024ELi2EdiiEEvbbbT3_PS1_NS_15floating_traitsIT1_E6data_tES1_T2_PKS7_S9_PKS1_PKS4_21rocsparse_index_base_S9_S9_SB_PS4_SF_SE_S9_S9_SB_SF_SF_SE_SF_SF_PS6_SG_PKS6_
; %bb.0:
	s_clause 0x4
	s_load_b32 s2, s[0:1], 0x0
	s_load_b64 s[34:35], s[0:1], 0x0
	s_load_b32 s61, s[0:1], 0x18
	s_load_b128 s[48:51], s[0:1], 0x8
	s_load_b128 s[44:47], s[0:1], 0xb8
	v_lshrrev_b32_e32 v25, 1, v0
	v_dual_mov_b32 v1, 0 :: v_dual_and_b32 v26, 1, v0
	v_dual_mov_b32 v5, 0 :: v_dual_mov_b32 v2, 0
	v_lshlrev_b32_e32 v27, 3, v0
	v_mbcnt_lo_u32_b32 v28, -1, 0
	s_delay_alu instid0(VALU_DEP_3) | instskip(NEXT) | instid1(VALU_DEP_4)
	v_mov_b32_e32 v6, v5
	v_dual_mov_b32 v4, v2 :: v_dual_mov_b32 v3, v1
	ds_store_b64 v27, v[5:6]
	s_waitcnt lgkmcnt(0)
	s_bitcmp1_b32 s2, 0
	s_barrier
	s_cselect_b32 s62, -1, 0
	s_bitcmp1_b32 s2, 8
	buffer_gl0_inv
	s_cselect_b32 s60, -1, 0
	s_bitcmp1_b32 s34, 16
	s_mov_b32 s34, 0
	s_cselect_b32 s33, -1, 0
	s_lshl_b32 s67, s15, 10
	s_cmp_gt_i32 s35, 0
	v_or_b32_e32 v29, s67, v25
	s_cselect_b32 s2, -1, 0
	s_delay_alu instid0(VALU_DEP_1) | instskip(SKIP_1) | instid1(SALU_CYCLE_1)
	v_cmp_gt_i32_e32 vcc_lo, s61, v29
	s_and_b32 s2, s2, vcc_lo
	s_and_saveexec_b32 s63, s2
	s_cbranch_execz .LBB22_152
; %bb.1:
	s_clause 0x9
	s_load_b32 s64, s[0:1], 0x40
	s_load_b64 s[14:15], s[0:1], 0xc8
	s_load_b128 s[52:55], s[0:1], 0xa8
	s_load_b256 s[16:23], s[0:1], 0x78
	s_load_b64 s[56:57], s[0:1], 0x68
	s_load_b32 s65, s[0:1], 0x70
	s_load_b64 s[58:59], s[0:1], 0x98
	s_load_b32 s66, s[0:1], 0xa0
	s_load_b256 s[24:31], s[0:1], 0x48
	s_load_b256 s[36:43], s[0:1], 0x20
	v_dual_mov_b32 v3, 0 :: v_dual_lshlrev_b32 v30, 3, v25
	v_mov_b32_e32 v4, 0
	s_addk_i32 s67, 0x400
	s_delay_alu instid0(VALU_DEP_2)
	v_dual_mov_b32 v6, 0 :: v_dual_mov_b32 v1, v3
	v_cmp_eq_u32_e64 s0, 0, v26
	v_cmp_ne_u32_e64 s1, 0, v26
	v_cmp_gt_u32_e64 s2, 0x100, v0
	v_cmp_gt_u32_e64 s3, 0x80, v0
	;; [unrolled: 1-line block ×6, first 2 shown]
	s_waitcnt lgkmcnt(0)
	v_subrev_nc_u32_e32 v31, s64, v26
	v_cmp_gt_u32_e64 s8, 8, v0
	v_cmp_gt_u32_e64 s9, 4, v0
	;; [unrolled: 1-line block ×3, first 2 shown]
	v_cmp_eq_u32_e64 s11, 0, v0
	v_subrev_nc_u32_e32 v32, s65, v26
	v_subrev_nc_u32_e32 v33, s66, v26
	v_mov_b32_e32 v2, v4
	s_and_b32 s12, s60, s33
	s_xor_b32 s68, s60, -1
	s_xor_b32 s69, s12, -1
	s_mov_b32 s70, 0
	s_branch .LBB22_3
.LBB22_2:                               ;   in Loop: Header=BB22_3 Depth=1
	s_or_b32 exec_lo, exec_lo, s71
	s_delay_alu instid0(SALU_CYCLE_1) | instskip(NEXT) | instid1(SALU_CYCLE_1)
	s_and_b32 s12, exec_lo, s13
	s_or_b32 s34, s12, s34
	s_delay_alu instid0(SALU_CYCLE_1)
	s_and_not1_b32 exec_lo, exec_lo, s34
	s_cbranch_execz .LBB22_151
.LBB22_3:                               ; =>This Loop Header: Depth=1
                                        ;     Child Loop BB22_7 Depth 2
                                        ;       Child Loop BB22_12 Depth 3
                                        ;         Child Loop BB22_16 Depth 4
                                        ;         Child Loop BB22_37 Depth 4
	;; [unrolled: 1-line block ×5, first 2 shown]
                                        ;     Child Loop BB22_130 Depth 2
                                        ;       Child Loop BB22_133 Depth 3
                                        ;       Child Loop BB22_136 Depth 3
	s_delay_alu instid0(VALU_DEP_2) | instskip(NEXT) | instid1(VALU_DEP_3)
	v_cndmask_b32_e64 v4, v4, 0, s60
	v_cndmask_b32_e64 v3, v3, 0, s60
	s_delay_alu instid0(VALU_DEP_4)
	v_cndmask_b32_e64 v2, v2, 0, s33
	v_cndmask_b32_e64 v1, v1, 0, s33
	s_mov_b32 s12, 0
	s_mov_b32 s71, -1
	s_branch .LBB22_7
.LBB22_4:                               ;   in Loop: Header=BB22_7 Depth=2
	s_or_b32 exec_lo, exec_lo, s74
.LBB22_5:                               ;   in Loop: Header=BB22_7 Depth=2
	s_delay_alu instid0(SALU_CYCLE_1)
	s_or_b32 exec_lo, exec_lo, s73
.LBB22_6:                               ;   in Loop: Header=BB22_7 Depth=2
	s_delay_alu instid0(SALU_CYCLE_1)
	s_or_b32 exec_lo, exec_lo, s72
	s_xor_b32 s13, s71, -1
	s_movk_i32 s12, 0x200
	s_and_b32 vcc_lo, exec_lo, s13
	s_mov_b32 s71, 0
	s_cbranch_vccnz .LBB22_83
.LBB22_7:                               ;   Parent Loop BB22_3 Depth=1
                                        ; =>  This Loop Header: Depth=2
                                        ;       Child Loop BB22_12 Depth 3
                                        ;         Child Loop BB22_16 Depth 4
                                        ;         Child Loop BB22_37 Depth 4
	;; [unrolled: 1-line block ×5, first 2 shown]
	v_or_b32_e32 v7, s12, v29
	s_mov_b32 s72, exec_lo
	s_delay_alu instid0(VALU_DEP_1)
	v_cmpx_gt_i32_e64 s61, v7
	s_cbranch_execz .LBB22_6
; %bb.8:                                ;   in Loop: Header=BB22_7 Depth=2
	v_ashrrev_i32_e32 v8, 31, v7
	s_mov_b32 s73, exec_lo
	s_delay_alu instid0(VALU_DEP_1) | instskip(NEXT) | instid1(VALU_DEP_1)
	v_lshlrev_b64 v[9:10], 2, v[7:8]
	v_add_co_u32 v11, vcc_lo, s36, v9
	s_delay_alu instid0(VALU_DEP_2)
	v_add_co_ci_u32_e32 v12, vcc_lo, s37, v10, vcc_lo
	v_add_co_u32 v13, vcc_lo, s38, v9
	v_add_co_ci_u32_e32 v14, vcc_lo, s39, v10, vcc_lo
	global_load_b32 v5, v[11:12], off
	global_load_b32 v11, v[13:14], off
	s_waitcnt vmcnt(1)
	v_add_nc_u32_e32 v8, v31, v5
	s_waitcnt vmcnt(0)
	v_subrev_nc_u32_e32 v34, s64, v11
	s_delay_alu instid0(VALU_DEP_1)
	v_cmpx_lt_i32_e64 v8, v34
	s_cbranch_execz .LBB22_5
; %bb.9:                                ;   in Loop: Header=BB22_7 Depth=2
	v_add_co_u32 v11, vcc_lo, s24, v9
	v_add_co_ci_u32_e32 v12, vcc_lo, s25, v10, vcc_lo
	v_add_co_u32 v9, vcc_lo, s26, v9
	v_add_co_ci_u32_e32 v10, vcc_lo, s27, v10, vcc_lo
	global_load_b32 v5, v[11:12], off
	s_mov_b32 s74, 0
	global_load_b32 v9, v[9:10], off
	s_waitcnt vmcnt(1)
	v_subrev_nc_u32_e32 v10, s65, v5
	s_waitcnt vmcnt(0)
	v_sub_nc_u32_e32 v35, v9, v5
	s_delay_alu instid0(VALU_DEP_2) | instskip(NEXT) | instid1(VALU_DEP_2)
	v_ashrrev_i32_e32 v11, 31, v10
	v_cmp_lt_i32_e64 s12, 0, v35
	s_delay_alu instid0(VALU_DEP_2) | instskip(SKIP_1) | instid1(VALU_DEP_2)
	v_lshlrev_b64 v[12:13], 2, v[10:11]
	v_lshlrev_b64 v[14:15], 3, v[10:11]
	v_add_co_u32 v36, vcc_lo, s28, v12
	s_delay_alu instid0(VALU_DEP_3) | instskip(NEXT) | instid1(VALU_DEP_3)
	v_add_co_ci_u32_e32 v37, vcc_lo, s29, v13, vcc_lo
	v_add_co_u32 v38, vcc_lo, s30, v14
	s_delay_alu instid0(VALU_DEP_4)
	v_add_co_ci_u32_e32 v39, vcc_lo, s31, v15, vcc_lo
	s_branch .LBB22_12
.LBB22_10:                              ;   in Loop: Header=BB22_12 Depth=3
	s_or_b32 exec_lo, exec_lo, s75
.LBB22_11:                              ;   in Loop: Header=BB22_12 Depth=3
	s_delay_alu instid0(SALU_CYCLE_1) | instskip(SKIP_1) | instid1(VALU_DEP_1)
	s_or_b32 exec_lo, exec_lo, s13
	v_add_nc_u32_e32 v8, 2, v8
	v_cmp_ge_i32_e32 vcc_lo, v8, v34
	s_or_b32 s74, vcc_lo, s74
	s_delay_alu instid0(SALU_CYCLE_1)
	s_and_not1_b32 exec_lo, exec_lo, s74
	s_cbranch_execz .LBB22_4
.LBB22_12:                              ;   Parent Loop BB22_3 Depth=1
                                        ;     Parent Loop BB22_7 Depth=2
                                        ; =>    This Loop Header: Depth=3
                                        ;         Child Loop BB22_16 Depth 4
                                        ;         Child Loop BB22_37 Depth 4
	;; [unrolled: 1-line block ×5, first 2 shown]
	v_ashrrev_i32_e32 v9, 31, v8
	v_mov_b32_e32 v18, 0
	s_delay_alu instid0(VALU_DEP_2) | instskip(NEXT) | instid1(VALU_DEP_1)
	v_lshlrev_b64 v[11:12], 2, v[8:9]
	v_add_co_u32 v11, vcc_lo, s40, v11
	s_delay_alu instid0(VALU_DEP_2) | instskip(SKIP_3) | instid1(VALU_DEP_1)
	v_add_co_ci_u32_e32 v12, vcc_lo, s41, v12, vcc_lo
	global_load_b32 v5, v[11:12], off
	s_waitcnt vmcnt(0)
	v_subrev_nc_u32_e32 v11, s64, v5
	v_ashrrev_i32_e32 v12, 31, v11
	s_delay_alu instid0(VALU_DEP_1) | instskip(NEXT) | instid1(VALU_DEP_1)
	v_lshlrev_b64 v[13:14], 2, v[11:12]
	v_add_co_u32 v15, vcc_lo, s16, v13
	s_delay_alu instid0(VALU_DEP_2)
	v_add_co_ci_u32_e32 v16, vcc_lo, s17, v14, vcc_lo
	v_add_co_u32 v13, vcc_lo, s18, v13
	v_add_co_ci_u32_e32 v14, vcc_lo, s19, v14, vcc_lo
	global_load_b32 v5, v[15:16], off
	global_load_b32 v15, v[13:14], off
	v_mov_b32_e32 v13, 0
	v_mov_b32_e32 v14, 0
	s_waitcnt vmcnt(1)
	v_subrev_nc_u32_e32 v17, s66, v5
	s_waitcnt vmcnt(0)
	v_sub_nc_u32_e32 v40, v15, v5
	v_mov_b32_e32 v5, 0
	s_and_saveexec_b32 s75, s12
	s_cbranch_execz .LBB22_20
; %bb.13:                               ;   in Loop: Header=BB22_12 Depth=3
	v_ashrrev_i32_e32 v18, 31, v17
	v_mov_b32_e32 v5, 0
	s_mov_b32 s76, 0
                                        ; implicit-def: $sgpr77
	s_delay_alu instid0(VALU_DEP_2) | instskip(SKIP_1) | instid1(VALU_DEP_2)
	v_lshlrev_b64 v[13:14], 2, v[17:18]
	v_lshlrev_b64 v[18:19], 3, v[17:18]
	v_add_co_u32 v15, vcc_lo, s20, v13
	s_delay_alu instid0(VALU_DEP_3) | instskip(NEXT) | instid1(VALU_DEP_3)
	v_add_co_ci_u32_e32 v16, vcc_lo, s21, v14, vcc_lo
	v_add_co_u32 v20, vcc_lo, s22, v18
	v_mov_b32_e32 v13, 0
	v_add_co_ci_u32_e32 v21, vcc_lo, s23, v19, vcc_lo
	v_mov_b32_e32 v14, 0
	v_mov_b32_e32 v18, v5
	s_branch .LBB22_16
.LBB22_14:                              ;   in Loop: Header=BB22_16 Depth=4
	s_or_b32 exec_lo, exec_lo, s13
	v_cmp_le_i32_e32 vcc_lo, v22, v23
	v_cmp_ge_i32_e64 s13, v22, v23
	v_add_co_ci_u32_e32 v5, vcc_lo, 0, v5, vcc_lo
	s_delay_alu instid0(VALU_DEP_2) | instskip(SKIP_1) | instid1(VALU_DEP_2)
	v_add_co_ci_u32_e64 v18, s13, 0, v18, s13
	s_and_not1_b32 s13, s77, exec_lo
	v_cmp_ge_i32_e32 vcc_lo, v5, v35
	s_and_b32 s77, vcc_lo, exec_lo
	s_delay_alu instid0(SALU_CYCLE_1)
	s_or_b32 s77, s13, s77
.LBB22_15:                              ;   in Loop: Header=BB22_16 Depth=4
	s_or_b32 exec_lo, exec_lo, s78
	s_delay_alu instid0(SALU_CYCLE_1) | instskip(NEXT) | instid1(SALU_CYCLE_1)
	s_and_b32 s13, exec_lo, s77
	s_or_b32 s76, s13, s76
	s_delay_alu instid0(SALU_CYCLE_1)
	s_and_not1_b32 exec_lo, exec_lo, s76
	s_cbranch_execz .LBB22_19
.LBB22_16:                              ;   Parent Loop BB22_3 Depth=1
                                        ;     Parent Loop BB22_7 Depth=2
                                        ;       Parent Loop BB22_12 Depth=3
                                        ; =>      This Inner Loop Header: Depth=4
	s_or_b32 s77, s77, exec_lo
	s_mov_b32 s78, exec_lo
	s_delay_alu instid0(VALU_DEP_1)
	v_cmpx_lt_i32_e64 v18, v40
	s_cbranch_execz .LBB22_15
; %bb.17:                               ;   in Loop: Header=BB22_16 Depth=4
	v_mov_b32_e32 v19, v6
	v_lshlrev_b64 v[22:23], 2, v[5:6]
	s_mov_b32 s13, exec_lo
	s_delay_alu instid0(VALU_DEP_2) | instskip(NEXT) | instid1(VALU_DEP_2)
	v_lshlrev_b64 v[41:42], 2, v[18:19]
	v_add_co_u32 v22, vcc_lo, v36, v22
	s_delay_alu instid0(VALU_DEP_3) | instskip(NEXT) | instid1(VALU_DEP_3)
	v_add_co_ci_u32_e32 v23, vcc_lo, v37, v23, vcc_lo
	v_add_co_u32 v41, vcc_lo, v15, v41
	s_delay_alu instid0(VALU_DEP_4)
	v_add_co_ci_u32_e32 v42, vcc_lo, v16, v42, vcc_lo
	global_load_b32 v22, v[22:23], off
	global_load_b32 v23, v[41:42], off
	s_waitcnt vmcnt(1)
	v_subrev_nc_u32_e32 v22, s65, v22
	s_waitcnt vmcnt(0)
	v_subrev_nc_u32_e32 v23, s66, v23
	s_delay_alu instid0(VALU_DEP_1)
	v_cmpx_eq_u32_e64 v22, v23
	s_cbranch_execz .LBB22_14
; %bb.18:                               ;   in Loop: Header=BB22_16 Depth=4
	v_lshlrev_b64 v[41:42], 3, v[5:6]
	v_lshlrev_b64 v[43:44], 3, v[18:19]
	s_delay_alu instid0(VALU_DEP_2) | instskip(NEXT) | instid1(VALU_DEP_3)
	v_add_co_u32 v41, vcc_lo, v38, v41
	v_add_co_ci_u32_e32 v42, vcc_lo, v39, v42, vcc_lo
	s_delay_alu instid0(VALU_DEP_3) | instskip(NEXT) | instid1(VALU_DEP_4)
	v_add_co_u32 v43, vcc_lo, v20, v43
	v_add_co_ci_u32_e32 v44, vcc_lo, v21, v44, vcc_lo
	global_load_b64 v[41:42], v[41:42], off
	global_load_b64 v[43:44], v[43:44], off
	s_waitcnt vmcnt(0)
	v_fma_f64 v[13:14], v[41:42], v[43:44], v[13:14]
	s_branch .LBB22_14
.LBB22_19:                              ;   in Loop: Header=BB22_12 Depth=3
	s_or_b32 exec_lo, exec_lo, s76
.LBB22_20:                              ;   in Loop: Header=BB22_12 Depth=3
	s_delay_alu instid0(SALU_CYCLE_1) | instskip(SKIP_3) | instid1(VALU_DEP_2)
	s_or_b32 exec_lo, exec_lo, s75
	v_lshlrev_b64 v[15:16], 3, v[8:9]
	v_cmp_le_i32_e64 s13, v7, v11
	s_mov_b32 s75, exec_lo
	v_add_co_u32 v15, vcc_lo, s42, v15
	s_delay_alu instid0(VALU_DEP_3)
	v_add_co_ci_u32_e32 v16, vcc_lo, s43, v16, vcc_lo
	global_load_b64 v[15:16], v[15:16], off
	s_waitcnt vmcnt(0)
	v_add_f64 v[19:20], v[15:16], -v[13:14]
	v_cmpx_gt_i32_e64 v7, v11
	s_cbranch_execnz .LBB22_23
; %bb.21:                               ;   in Loop: Header=BB22_12 Depth=3
	s_or_b32 exec_lo, exec_lo, s75
	s_delay_alu instid0(VALU_DEP_2) | instskip(NEXT) | instid1(VALU_DEP_1)
	v_cmp_class_f64_e64 s75, v[19:20], 0x1f8
	s_and_saveexec_b32 s76, s75
	s_cbranch_execnz .LBB22_26
.LBB22_22:                              ;   in Loop: Header=BB22_12 Depth=3
	s_or_b32 exec_lo, exec_lo, s76
	s_and_b32 s75, s75, s33
	s_delay_alu instid0(SALU_CYCLE_1)
	s_and_saveexec_b32 s13, s75
	s_cbranch_execz .LBB22_11
	s_branch .LBB22_61
.LBB22_23:                              ;   in Loop: Header=BB22_12 Depth=3
	v_lshlrev_b64 v[21:22], 3, v[11:12]
	v_mov_b32_e32 v23, 0
	v_mov_b32_e32 v24, 0
	s_mov_b32 s76, exec_lo
	s_delay_alu instid0(VALU_DEP_3) | instskip(NEXT) | instid1(VALU_DEP_4)
	v_add_co_u32 v21, vcc_lo, s52, v21
	v_add_co_ci_u32_e32 v22, vcc_lo, s53, v22, vcc_lo
	global_load_b64 v[21:22], v[21:22], off
	s_waitcnt vmcnt(0)
	v_cmpx_lg_f64_e32 0, v[21:22]
; %bb.24:                               ;   in Loop: Header=BB22_12 Depth=3
	v_div_scale_f64 v[23:24], null, v[21:22], v[21:22], v[19:20]
	s_delay_alu instid0(VALU_DEP_1) | instskip(SKIP_2) | instid1(VALU_DEP_1)
	v_rcp_f64_e32 v[41:42], v[23:24]
	s_waitcnt_depctr 0xfff
	v_fma_f64 v[43:44], -v[23:24], v[41:42], 1.0
	v_fma_f64 v[41:42], v[41:42], v[43:44], v[41:42]
	s_delay_alu instid0(VALU_DEP_1) | instskip(NEXT) | instid1(VALU_DEP_1)
	v_fma_f64 v[43:44], -v[23:24], v[41:42], 1.0
	v_fma_f64 v[41:42], v[41:42], v[43:44], v[41:42]
	v_div_scale_f64 v[43:44], vcc_lo, v[19:20], v[21:22], v[19:20]
	s_delay_alu instid0(VALU_DEP_1) | instskip(NEXT) | instid1(VALU_DEP_1)
	v_mul_f64 v[45:46], v[43:44], v[41:42]
	v_fma_f64 v[23:24], -v[23:24], v[45:46], v[43:44]
	s_delay_alu instid0(VALU_DEP_1) | instskip(NEXT) | instid1(VALU_DEP_1)
	v_div_fmas_f64 v[23:24], v[23:24], v[41:42], v[45:46]
	v_div_fixup_f64 v[23:24], v[23:24], v[21:22], v[19:20]
; %bb.25:                               ;   in Loop: Header=BB22_12 Depth=3
	s_or_b32 exec_lo, exec_lo, s76
	s_delay_alu instid0(VALU_DEP_1) | instskip(SKIP_1) | instid1(VALU_DEP_1)
	v_dual_mov_b32 v19, v23 :: v_dual_mov_b32 v20, v24
	s_or_b32 exec_lo, exec_lo, s75
	v_cmp_class_f64_e64 s75, v[19:20], 0x1f8
	s_delay_alu instid0(VALU_DEP_1)
	s_and_saveexec_b32 s76, s75
	s_cbranch_execz .LBB22_22
.LBB22_26:                              ;   in Loop: Header=BB22_12 Depth=3
	s_and_saveexec_b32 s77, s13
	s_delay_alu instid0(SALU_CYCLE_1)
	s_xor_b32 s13, exec_lo, s77
	s_cbranch_execz .LBB22_47
; %bb.27:                               ;   in Loop: Header=BB22_12 Depth=3
	s_mov_b32 s77, exec_lo
	v_cmpx_ge_i32_e64 v7, v11
	s_xor_b32 s77, exec_lo, s77
	s_cbranch_execz .LBB22_33
; %bb.28:                               ;   in Loop: Header=BB22_12 Depth=3
	v_lshlrev_b64 v[21:22], 3, v[11:12]
	s_delay_alu instid0(VALU_DEP_1) | instskip(NEXT) | instid1(VALU_DEP_2)
	v_add_co_u32 v23, vcc_lo, s54, v21
	v_add_co_ci_u32_e32 v24, vcc_lo, s55, v22, vcc_lo
	s_and_not1_b32 vcc_lo, exec_lo, s60
	global_store_b64 v[23:24], v[19:20], off
	s_cbranch_vccnz .LBB22_32
; %bb.29:                               ;   in Loop: Header=BB22_12 Depth=3
	v_add_co_u32 v21, vcc_lo, s52, v21
	v_add_co_ci_u32_e32 v22, vcc_lo, s53, v22, vcc_lo
	global_load_b64 v[21:22], v[21:22], off
	s_waitcnt vmcnt(0)
	v_add_f64 v[19:20], v[21:22], -v[19:20]
	s_delay_alu instid0(VALU_DEP_1) | instskip(NEXT) | instid1(VALU_DEP_1)
	v_cmp_class_f64_e64 s79, v[19:20], 0x1f8
	s_and_saveexec_b32 s78, s79
; %bb.30:                               ;   in Loop: Header=BB22_12 Depth=3
	v_cmp_lt_f64_e64 vcc_lo, v[3:4], |v[19:20]|
	v_and_b32_e32 v9, 0x7fffffff, v20
	s_delay_alu instid0(VALU_DEP_1)
	v_dual_cndmask_b32 v4, v4, v9 :: v_dual_cndmask_b32 v3, v3, v19
; %bb.31:                               ;   in Loop: Header=BB22_12 Depth=3
	s_or_b32 exec_lo, exec_lo, s78
.LBB22_32:                              ;   in Loop: Header=BB22_12 Depth=3
                                        ; implicit-def: $vgpr19_vgpr20
.LBB22_33:                              ;   in Loop: Header=BB22_12 Depth=3
	s_and_not1_saveexec_b32 s77, s77
	s_cbranch_execz .LBB22_46
; %bb.34:                               ;   in Loop: Header=BB22_12 Depth=3
	s_mov_b32 s78, exec_lo
	v_cmpx_lt_i32_e64 v18, v40
	s_cbranch_execz .LBB22_45
; %bb.35:                               ;   in Loop: Header=BB22_12 Depth=3
	v_mov_b32_e32 v9, v18
	s_mov_b32 s79, 0
                                        ; implicit-def: $sgpr80
                                        ; implicit-def: $sgpr82
                                        ; implicit-def: $sgpr81
	s_set_inst_prefetch_distance 0x1
	s_branch .LBB22_37
	.p2align	6
.LBB22_36:                              ;   in Loop: Header=BB22_37 Depth=4
	s_or_b32 exec_lo, exec_lo, s83
	s_delay_alu instid0(SALU_CYCLE_1) | instskip(NEXT) | instid1(SALU_CYCLE_1)
	s_and_b32 s83, exec_lo, s82
	s_or_b32 s79, s83, s79
	s_and_not1_b32 s80, s80, exec_lo
	s_and_b32 s83, s81, exec_lo
	s_delay_alu instid0(SALU_CYCLE_1)
	s_or_b32 s80, s80, s83
	s_and_not1_b32 exec_lo, exec_lo, s79
	s_cbranch_execz .LBB22_39
.LBB22_37:                              ;   Parent Loop BB22_3 Depth=1
                                        ;     Parent Loop BB22_7 Depth=2
                                        ;       Parent Loop BB22_12 Depth=3
                                        ; =>      This Inner Loop Header: Depth=4
	s_delay_alu instid0(VALU_DEP_1) | instskip(SKIP_3) | instid1(VALU_DEP_1)
	v_add_nc_u32_e32 v21, v17, v9
	s_or_b32 s81, s81, exec_lo
	s_or_b32 s82, s82, exec_lo
	s_mov_b32 s83, exec_lo
	v_ashrrev_i32_e32 v22, 31, v21
	s_delay_alu instid0(VALU_DEP_1) | instskip(NEXT) | instid1(VALU_DEP_1)
	v_lshlrev_b64 v[23:24], 2, v[21:22]
	v_add_co_u32 v23, vcc_lo, s20, v23
	s_delay_alu instid0(VALU_DEP_2) | instskip(SKIP_3) | instid1(VALU_DEP_1)
	v_add_co_ci_u32_e32 v24, vcc_lo, s21, v24, vcc_lo
	global_load_b32 v23, v[23:24], off
	s_waitcnt vmcnt(0)
	v_subrev_nc_u32_e32 v23, s66, v23
	v_cmpx_ne_u32_e64 v23, v7
	s_cbranch_execz .LBB22_36
; %bb.38:                               ;   in Loop: Header=BB22_37 Depth=4
	v_add_nc_u32_e32 v9, 1, v9
	s_and_not1_b32 s82, s82, exec_lo
	s_and_not1_b32 s81, s81, exec_lo
	s_delay_alu instid0(VALU_DEP_1) | instskip(SKIP_1) | instid1(SALU_CYCLE_1)
	v_cmp_ge_i32_e32 vcc_lo, v9, v40
	s_and_b32 s84, vcc_lo, exec_lo
	s_or_b32 s82, s82, s84
	s_branch .LBB22_36
.LBB22_39:                              ;   in Loop: Header=BB22_12 Depth=3
	s_set_inst_prefetch_distance 0x2
	s_or_b32 exec_lo, exec_lo, s79
	s_and_saveexec_b32 s79, s80
	s_delay_alu instid0(SALU_CYCLE_1)
	s_xor_b32 s79, exec_lo, s79
	s_cbranch_execz .LBB22_44
; %bb.40:                               ;   in Loop: Header=BB22_12 Depth=3
	v_lshlrev_b64 v[21:22], 3, v[21:22]
	s_delay_alu instid0(VALU_DEP_1) | instskip(NEXT) | instid1(VALU_DEP_2)
	v_add_co_u32 v23, vcc_lo, s58, v21
	v_add_co_ci_u32_e32 v24, vcc_lo, s59, v22, vcc_lo
	s_and_not1_b32 vcc_lo, exec_lo, s60
	global_store_b64 v[23:24], v[19:20], off
	s_cbranch_vccnz .LBB22_44
; %bb.41:                               ;   in Loop: Header=BB22_12 Depth=3
	v_add_co_u32 v21, vcc_lo, s22, v21
	v_add_co_ci_u32_e32 v22, vcc_lo, s23, v22, vcc_lo
	global_load_b64 v[21:22], v[21:22], off
	s_waitcnt vmcnt(0)
	v_add_f64 v[19:20], v[21:22], -v[19:20]
	s_delay_alu instid0(VALU_DEP_1) | instskip(NEXT) | instid1(VALU_DEP_1)
	v_cmp_class_f64_e64 s81, v[19:20], 0x1f8
	s_and_saveexec_b32 s80, s81
; %bb.42:                               ;   in Loop: Header=BB22_12 Depth=3
	v_cmp_lt_f64_e64 vcc_lo, v[3:4], |v[19:20]|
	v_and_b32_e32 v9, 0x7fffffff, v20
	s_delay_alu instid0(VALU_DEP_1)
	v_dual_cndmask_b32 v4, v4, v9 :: v_dual_cndmask_b32 v3, v3, v19
; %bb.43:                               ;   in Loop: Header=BB22_12 Depth=3
	s_or_b32 exec_lo, exec_lo, s80
.LBB22_44:                              ;   in Loop: Header=BB22_12 Depth=3
	s_delay_alu instid0(SALU_CYCLE_1)
	s_or_b32 exec_lo, exec_lo, s79
.LBB22_45:                              ;   in Loop: Header=BB22_12 Depth=3
	s_delay_alu instid0(SALU_CYCLE_1)
	s_or_b32 exec_lo, exec_lo, s78
.LBB22_46:                              ;   in Loop: Header=BB22_12 Depth=3
	s_delay_alu instid0(SALU_CYCLE_1)
	s_or_b32 exec_lo, exec_lo, s77
                                        ; implicit-def: $vgpr19_vgpr20
.LBB22_47:                              ;   in Loop: Header=BB22_12 Depth=3
	s_and_not1_saveexec_b32 s13, s13
	s_cbranch_execz .LBB22_60
; %bb.48:                               ;   in Loop: Header=BB22_12 Depth=3
	s_mov_b32 s77, exec_lo
	v_cmpx_lt_i32_e64 v5, v35
	s_cbranch_execz .LBB22_59
; %bb.49:                               ;   in Loop: Header=BB22_12 Depth=3
	v_mov_b32_e32 v9, v5
	s_mov_b32 s78, 0
                                        ; implicit-def: $sgpr79
                                        ; implicit-def: $sgpr81
                                        ; implicit-def: $sgpr80
	s_set_inst_prefetch_distance 0x1
	s_branch .LBB22_51
	.p2align	6
.LBB22_50:                              ;   in Loop: Header=BB22_51 Depth=4
	s_or_b32 exec_lo, exec_lo, s82
	s_delay_alu instid0(SALU_CYCLE_1) | instskip(NEXT) | instid1(SALU_CYCLE_1)
	s_and_b32 s82, exec_lo, s81
	s_or_b32 s78, s82, s78
	s_and_not1_b32 s79, s79, exec_lo
	s_and_b32 s82, s80, exec_lo
	s_delay_alu instid0(SALU_CYCLE_1)
	s_or_b32 s79, s79, s82
	s_and_not1_b32 exec_lo, exec_lo, s78
	s_cbranch_execz .LBB22_53
.LBB22_51:                              ;   Parent Loop BB22_3 Depth=1
                                        ;     Parent Loop BB22_7 Depth=2
                                        ;       Parent Loop BB22_12 Depth=3
                                        ; =>      This Inner Loop Header: Depth=4
	s_delay_alu instid0(VALU_DEP_1) | instskip(SKIP_3) | instid1(VALU_DEP_1)
	v_add_nc_u32_e32 v21, v10, v9
	s_or_b32 s80, s80, exec_lo
	s_or_b32 s81, s81, exec_lo
	s_mov_b32 s82, exec_lo
	v_ashrrev_i32_e32 v22, 31, v21
	s_delay_alu instid0(VALU_DEP_1) | instskip(NEXT) | instid1(VALU_DEP_1)
	v_lshlrev_b64 v[23:24], 2, v[21:22]
	v_add_co_u32 v23, vcc_lo, s28, v23
	s_delay_alu instid0(VALU_DEP_2) | instskip(SKIP_3) | instid1(VALU_DEP_1)
	v_add_co_ci_u32_e32 v24, vcc_lo, s29, v24, vcc_lo
	global_load_b32 v23, v[23:24], off
	s_waitcnt vmcnt(0)
	v_subrev_nc_u32_e32 v23, s65, v23
	v_cmpx_ne_u32_e64 v23, v11
	s_cbranch_execz .LBB22_50
; %bb.52:                               ;   in Loop: Header=BB22_51 Depth=4
	v_add_nc_u32_e32 v9, 1, v9
	s_and_not1_b32 s81, s81, exec_lo
	s_and_not1_b32 s80, s80, exec_lo
	s_delay_alu instid0(VALU_DEP_1) | instskip(SKIP_1) | instid1(SALU_CYCLE_1)
	v_cmp_ge_i32_e32 vcc_lo, v9, v35
	s_and_b32 s83, vcc_lo, exec_lo
	s_or_b32 s81, s81, s83
	s_branch .LBB22_50
.LBB22_53:                              ;   in Loop: Header=BB22_12 Depth=3
	s_set_inst_prefetch_distance 0x2
	s_or_b32 exec_lo, exec_lo, s78
	s_and_saveexec_b32 s78, s79
	s_delay_alu instid0(SALU_CYCLE_1)
	s_xor_b32 s78, exec_lo, s78
	s_cbranch_execz .LBB22_58
; %bb.54:                               ;   in Loop: Header=BB22_12 Depth=3
	v_lshlrev_b64 v[21:22], 3, v[21:22]
	s_delay_alu instid0(VALU_DEP_1) | instskip(NEXT) | instid1(VALU_DEP_2)
	v_add_co_u32 v23, vcc_lo, s56, v21
	v_add_co_ci_u32_e32 v24, vcc_lo, s57, v22, vcc_lo
	s_and_not1_b32 vcc_lo, exec_lo, s60
	global_store_b64 v[23:24], v[19:20], off
	s_cbranch_vccnz .LBB22_58
; %bb.55:                               ;   in Loop: Header=BB22_12 Depth=3
	v_add_co_u32 v21, vcc_lo, s30, v21
	v_add_co_ci_u32_e32 v22, vcc_lo, s31, v22, vcc_lo
	global_load_b64 v[21:22], v[21:22], off
	s_waitcnt vmcnt(0)
	v_add_f64 v[19:20], v[21:22], -v[19:20]
	s_delay_alu instid0(VALU_DEP_1) | instskip(NEXT) | instid1(VALU_DEP_1)
	v_cmp_class_f64_e64 s80, v[19:20], 0x1f8
	s_and_saveexec_b32 s79, s80
; %bb.56:                               ;   in Loop: Header=BB22_12 Depth=3
	v_cmp_lt_f64_e64 vcc_lo, v[3:4], |v[19:20]|
	v_and_b32_e32 v9, 0x7fffffff, v20
	s_delay_alu instid0(VALU_DEP_1)
	v_dual_cndmask_b32 v4, v4, v9 :: v_dual_cndmask_b32 v3, v3, v19
; %bb.57:                               ;   in Loop: Header=BB22_12 Depth=3
	s_or_b32 exec_lo, exec_lo, s79
.LBB22_58:                              ;   in Loop: Header=BB22_12 Depth=3
	s_delay_alu instid0(SALU_CYCLE_1)
	s_or_b32 exec_lo, exec_lo, s78
.LBB22_59:                              ;   in Loop: Header=BB22_12 Depth=3
	s_delay_alu instid0(SALU_CYCLE_1)
	s_or_b32 exec_lo, exec_lo, s77
.LBB22_60:                              ;   in Loop: Header=BB22_12 Depth=3
	s_delay_alu instid0(SALU_CYCLE_1) | instskip(NEXT) | instid1(SALU_CYCLE_1)
	s_or_b32 exec_lo, exec_lo, s13
	s_or_b32 exec_lo, exec_lo, s76
	s_and_b32 s75, s75, s33
	s_delay_alu instid0(SALU_CYCLE_1)
	s_and_saveexec_b32 s13, s75
	s_cbranch_execz .LBB22_11
.LBB22_61:                              ;   in Loop: Header=BB22_12 Depth=3
	s_mov_b32 s75, exec_lo
	v_cmpx_ge_i32_e64 v18, v40
	s_xor_b32 s75, exec_lo, s75
	s_cbranch_execnz .LBB22_67
; %bb.62:                               ;   in Loop: Header=BB22_12 Depth=3
	s_and_not1_saveexec_b32 s75, s75
	s_cbranch_execnz .LBB22_76
.LBB22_63:                              ;   in Loop: Header=BB22_12 Depth=3
	s_or_b32 exec_lo, exec_lo, s75
	s_delay_alu instid0(SALU_CYCLE_1)
	s_mov_b32 s75, exec_lo
	v_cmpx_eq_u32_e64 v7, v11
	s_cbranch_execz .LBB22_65
.LBB22_64:                              ;   in Loop: Header=BB22_12 Depth=3
	v_lshlrev_b64 v[11:12], 3, v[11:12]
	s_delay_alu instid0(VALU_DEP_1) | instskip(NEXT) | instid1(VALU_DEP_2)
	v_add_co_u32 v11, vcc_lo, s52, v11
	v_add_co_ci_u32_e32 v12, vcc_lo, s53, v12, vcc_lo
	global_load_b64 v[11:12], v[11:12], off
	s_waitcnt vmcnt(0)
	v_add_f64 v[13:14], v[13:14], v[11:12]
.LBB22_65:                              ;   in Loop: Header=BB22_12 Depth=3
	s_or_b32 exec_lo, exec_lo, s75
	s_delay_alu instid0(VALU_DEP_1) | instskip(NEXT) | instid1(VALU_DEP_1)
	v_add_f64 v[11:12], v[15:16], -v[13:14]
	v_cmp_class_f64_e64 s76, v[11:12], 0x1f8
	s_delay_alu instid0(VALU_DEP_1)
	s_and_saveexec_b32 s75, s76
	s_cbranch_execz .LBB22_10
; %bb.66:                               ;   in Loop: Header=BB22_12 Depth=3
	v_cmp_lt_f64_e64 vcc_lo, v[1:2], |v[11:12]|
	v_and_b32_e32 v5, 0x7fffffff, v12
	s_delay_alu instid0(VALU_DEP_1)
	v_dual_cndmask_b32 v2, v2, v5 :: v_dual_cndmask_b32 v1, v1, v11
	s_branch .LBB22_10
.LBB22_67:                              ;   in Loop: Header=BB22_12 Depth=3
	s_mov_b32 s76, exec_lo
	v_cmpx_lt_i32_e64 v5, v35
	s_cbranch_execz .LBB22_75
; %bb.68:                               ;   in Loop: Header=BB22_12 Depth=3
	s_mov_b32 s77, 0
                                        ; implicit-def: $sgpr78
                                        ; implicit-def: $sgpr80
                                        ; implicit-def: $sgpr79
	s_set_inst_prefetch_distance 0x1
	s_branch .LBB22_70
	.p2align	6
.LBB22_69:                              ;   in Loop: Header=BB22_70 Depth=4
	s_or_b32 exec_lo, exec_lo, s81
	s_delay_alu instid0(SALU_CYCLE_1) | instskip(NEXT) | instid1(SALU_CYCLE_1)
	s_and_b32 s81, exec_lo, s80
	s_or_b32 s77, s81, s77
	s_and_not1_b32 s78, s78, exec_lo
	s_and_b32 s81, s79, exec_lo
	s_delay_alu instid0(SALU_CYCLE_1)
	s_or_b32 s78, s78, s81
	s_and_not1_b32 exec_lo, exec_lo, s77
	s_cbranch_execz .LBB22_72
.LBB22_70:                              ;   Parent Loop BB22_3 Depth=1
                                        ;     Parent Loop BB22_7 Depth=2
                                        ;       Parent Loop BB22_12 Depth=3
                                        ; =>      This Inner Loop Header: Depth=4
	v_add_nc_u32_e32 v17, v10, v5
	s_or_b32 s79, s79, exec_lo
	s_or_b32 s80, s80, exec_lo
	s_mov_b32 s81, exec_lo
	s_delay_alu instid0(VALU_DEP_1) | instskip(NEXT) | instid1(VALU_DEP_1)
	v_ashrrev_i32_e32 v18, 31, v17
	v_lshlrev_b64 v[19:20], 2, v[17:18]
	s_delay_alu instid0(VALU_DEP_1) | instskip(NEXT) | instid1(VALU_DEP_2)
	v_add_co_u32 v19, vcc_lo, s28, v19
	v_add_co_ci_u32_e32 v20, vcc_lo, s29, v20, vcc_lo
	global_load_b32 v9, v[19:20], off
	s_waitcnt vmcnt(0)
	v_subrev_nc_u32_e32 v9, s65, v9
	s_delay_alu instid0(VALU_DEP_1)
	v_cmpx_ne_u32_e64 v9, v11
	s_cbranch_execz .LBB22_69
; %bb.71:                               ;   in Loop: Header=BB22_70 Depth=4
	v_add_nc_u32_e32 v5, 1, v5
	s_and_not1_b32 s80, s80, exec_lo
	s_and_not1_b32 s79, s79, exec_lo
	s_delay_alu instid0(VALU_DEP_1) | instskip(SKIP_1) | instid1(SALU_CYCLE_1)
	v_cmp_ge_i32_e32 vcc_lo, v5, v35
	s_and_b32 s82, vcc_lo, exec_lo
	s_or_b32 s80, s80, s82
	s_branch .LBB22_69
.LBB22_72:                              ;   in Loop: Header=BB22_12 Depth=3
	s_set_inst_prefetch_distance 0x2
	s_or_b32 exec_lo, exec_lo, s77
	s_and_saveexec_b32 s77, s78
	s_delay_alu instid0(SALU_CYCLE_1)
	s_xor_b32 s77, exec_lo, s77
	s_cbranch_execz .LBB22_74
; %bb.73:                               ;   in Loop: Header=BB22_12 Depth=3
	v_lshlrev_b64 v[17:18], 3, v[17:18]
	v_lshlrev_b64 v[19:20], 3, v[11:12]
	s_delay_alu instid0(VALU_DEP_2) | instskip(NEXT) | instid1(VALU_DEP_3)
	v_add_co_u32 v17, vcc_lo, s30, v17
	v_add_co_ci_u32_e32 v18, vcc_lo, s31, v18, vcc_lo
	s_delay_alu instid0(VALU_DEP_3) | instskip(NEXT) | instid1(VALU_DEP_4)
	v_add_co_u32 v19, vcc_lo, s52, v19
	v_add_co_ci_u32_e32 v20, vcc_lo, s53, v20, vcc_lo
	global_load_b64 v[17:18], v[17:18], off
	global_load_b64 v[19:20], v[19:20], off
	s_waitcnt vmcnt(0)
	v_fma_f64 v[13:14], v[17:18], v[19:20], v[13:14]
.LBB22_74:                              ;   in Loop: Header=BB22_12 Depth=3
	s_or_b32 exec_lo, exec_lo, s77
.LBB22_75:                              ;   in Loop: Header=BB22_12 Depth=3
	s_delay_alu instid0(SALU_CYCLE_1)
	s_or_b32 exec_lo, exec_lo, s76
                                        ; implicit-def: $vgpr18
                                        ; implicit-def: $vgpr17
                                        ; implicit-def: $vgpr40
	s_and_not1_saveexec_b32 s75, s75
	s_cbranch_execz .LBB22_63
.LBB22_76:                              ;   in Loop: Header=BB22_12 Depth=3
	s_mov_b32 s76, 0
                                        ; implicit-def: $sgpr77
                                        ; implicit-def: $sgpr79
                                        ; implicit-def: $sgpr78
	s_set_inst_prefetch_distance 0x1
	s_branch .LBB22_78
	.p2align	6
.LBB22_77:                              ;   in Loop: Header=BB22_78 Depth=4
	s_or_b32 exec_lo, exec_lo, s80
	s_delay_alu instid0(SALU_CYCLE_1) | instskip(NEXT) | instid1(SALU_CYCLE_1)
	s_and_b32 s80, exec_lo, s79
	s_or_b32 s76, s80, s76
	s_and_not1_b32 s77, s77, exec_lo
	s_and_b32 s80, s78, exec_lo
	s_delay_alu instid0(SALU_CYCLE_1)
	s_or_b32 s77, s77, s80
	s_and_not1_b32 exec_lo, exec_lo, s76
	s_cbranch_execz .LBB22_80
.LBB22_78:                              ;   Parent Loop BB22_3 Depth=1
                                        ;     Parent Loop BB22_7 Depth=2
                                        ;       Parent Loop BB22_12 Depth=3
                                        ; =>      This Inner Loop Header: Depth=4
	v_add_nc_u32_e32 v19, v17, v18
	s_or_b32 s78, s78, exec_lo
	s_or_b32 s79, s79, exec_lo
	s_mov_b32 s80, exec_lo
	s_delay_alu instid0(VALU_DEP_1) | instskip(NEXT) | instid1(VALU_DEP_1)
	v_ashrrev_i32_e32 v20, 31, v19
	v_lshlrev_b64 v[21:22], 2, v[19:20]
	s_delay_alu instid0(VALU_DEP_1) | instskip(NEXT) | instid1(VALU_DEP_2)
	v_add_co_u32 v21, vcc_lo, s20, v21
	v_add_co_ci_u32_e32 v22, vcc_lo, s21, v22, vcc_lo
	global_load_b32 v5, v[21:22], off
	s_waitcnt vmcnt(0)
	v_subrev_nc_u32_e32 v5, s66, v5
	s_delay_alu instid0(VALU_DEP_1)
	v_cmpx_ne_u32_e64 v5, v7
	s_cbranch_execz .LBB22_77
; %bb.79:                               ;   in Loop: Header=BB22_78 Depth=4
	v_add_nc_u32_e32 v18, 1, v18
	s_and_not1_b32 s79, s79, exec_lo
	s_and_not1_b32 s78, s78, exec_lo
	s_delay_alu instid0(VALU_DEP_1) | instskip(SKIP_1) | instid1(SALU_CYCLE_1)
	v_cmp_ge_i32_e32 vcc_lo, v18, v40
	s_and_b32 s81, vcc_lo, exec_lo
	s_or_b32 s79, s79, s81
	s_branch .LBB22_77
.LBB22_80:                              ;   in Loop: Header=BB22_12 Depth=3
	s_set_inst_prefetch_distance 0x2
	s_or_b32 exec_lo, exec_lo, s76
	s_and_saveexec_b32 s76, s77
	s_delay_alu instid0(SALU_CYCLE_1)
	s_xor_b32 s76, exec_lo, s76
	s_cbranch_execz .LBB22_82
; %bb.81:                               ;   in Loop: Header=BB22_12 Depth=3
	v_lshlrev_b64 v[17:18], 3, v[19:20]
	s_delay_alu instid0(VALU_DEP_1) | instskip(NEXT) | instid1(VALU_DEP_2)
	v_add_co_u32 v17, vcc_lo, s22, v17
	v_add_co_ci_u32_e32 v18, vcc_lo, s23, v18, vcc_lo
	global_load_b64 v[17:18], v[17:18], off
	s_waitcnt vmcnt(0)
	v_add_f64 v[13:14], v[13:14], v[17:18]
.LBB22_82:                              ;   in Loop: Header=BB22_12 Depth=3
	s_or_b32 exec_lo, exec_lo, s76
	s_delay_alu instid0(SALU_CYCLE_1) | instskip(NEXT) | instid1(SALU_CYCLE_1)
	s_or_b32 exec_lo, exec_lo, s75
	s_mov_b32 s75, exec_lo
	v_cmpx_eq_u32_e64 v7, v11
	s_cbranch_execnz .LBB22_64
	s_branch .LBB22_65
.LBB22_83:                              ;   in Loop: Header=BB22_3 Depth=1
	v_xor_b32_e32 v5, 1, v28
	s_and_b32 vcc_lo, exec_lo, s60
	s_cbranch_vccnz .LBB22_86
; %bb.84:                               ;   in Loop: Header=BB22_3 Depth=1
	s_and_not1_b32 vcc_lo, exec_lo, s33
	s_cbranch_vccz .LBB22_107
.LBB22_85:                              ;   in Loop: Header=BB22_3 Depth=1
	s_and_saveexec_b32 s13, s7
	s_cbranch_execnz .LBB22_128
	s_branch .LBB22_139
.LBB22_86:                              ;   in Loop: Header=BB22_3 Depth=1
	s_delay_alu instid0(VALU_DEP_1) | instskip(SKIP_1) | instid1(VALU_DEP_1)
	v_cmp_gt_i32_e32 vcc_lo, 32, v5
	v_cndmask_b32_e32 v7, v28, v5, vcc_lo
	v_lshlrev_b32_e32 v8, 2, v7
	ds_bpermute_b32 v7, v8, v3
	ds_bpermute_b32 v8, v8, v4
	s_and_saveexec_b32 s12, s1
	s_cbranch_execz .LBB22_88
; %bb.87:                               ;   in Loop: Header=BB22_3 Depth=1
	s_waitcnt lgkmcnt(0)
	v_cmp_lt_f64_e32 vcc_lo, v[3:4], v[7:8]
	v_dual_cndmask_b32 v4, v4, v8 :: v_dual_cndmask_b32 v3, v3, v7
	ds_store_b64 v30, v[3:4]
.LBB22_88:                              ;   in Loop: Header=BB22_3 Depth=1
	s_or_b32 exec_lo, exec_lo, s12
	s_waitcnt lgkmcnt(0)
	s_waitcnt_vscnt null, 0x0
	s_barrier
	buffer_gl0_inv
	s_and_saveexec_b32 s12, s2
	s_cbranch_execz .LBB22_90
; %bb.89:                               ;   in Loop: Header=BB22_3 Depth=1
	ds_load_2addr_stride64_b64 v[7:10], v27 offset1:4
	s_waitcnt lgkmcnt(0)
	v_cmp_lt_f64_e32 vcc_lo, v[7:8], v[9:10]
	v_dual_cndmask_b32 v4, v8, v10 :: v_dual_cndmask_b32 v3, v7, v9
	ds_store_b64 v27, v[3:4]
.LBB22_90:                              ;   in Loop: Header=BB22_3 Depth=1
	s_or_b32 exec_lo, exec_lo, s12
	s_waitcnt lgkmcnt(0)
	s_barrier
	buffer_gl0_inv
	s_and_saveexec_b32 s12, s3
	s_cbranch_execz .LBB22_92
; %bb.91:                               ;   in Loop: Header=BB22_3 Depth=1
	ds_load_2addr_stride64_b64 v[7:10], v27 offset1:2
	s_waitcnt lgkmcnt(0)
	v_cmp_lt_f64_e32 vcc_lo, v[7:8], v[9:10]
	v_dual_cndmask_b32 v4, v8, v10 :: v_dual_cndmask_b32 v3, v7, v9
	ds_store_b64 v27, v[3:4]
.LBB22_92:                              ;   in Loop: Header=BB22_3 Depth=1
	s_or_b32 exec_lo, exec_lo, s12
	s_waitcnt lgkmcnt(0)
	;; [unrolled: 13-line block ×3, first 2 shown]
	s_barrier
	buffer_gl0_inv
	s_and_saveexec_b32 s12, s5
	s_cbranch_execz .LBB22_96
; %bb.95:                               ;   in Loop: Header=BB22_3 Depth=1
	ds_load_2addr_b64 v[7:10], v27 offset1:32
	s_waitcnt lgkmcnt(0)
	v_cmp_lt_f64_e32 vcc_lo, v[7:8], v[9:10]
	v_dual_cndmask_b32 v4, v8, v10 :: v_dual_cndmask_b32 v3, v7, v9
	ds_store_b64 v27, v[3:4]
.LBB22_96:                              ;   in Loop: Header=BB22_3 Depth=1
	s_or_b32 exec_lo, exec_lo, s12
	s_waitcnt lgkmcnt(0)
	s_barrier
	buffer_gl0_inv
	s_and_saveexec_b32 s12, s6
	s_cbranch_execz .LBB22_98
; %bb.97:                               ;   in Loop: Header=BB22_3 Depth=1
	ds_load_2addr_b64 v[7:10], v27 offset1:16
	s_waitcnt lgkmcnt(0)
	v_cmp_lt_f64_e32 vcc_lo, v[7:8], v[9:10]
	v_dual_cndmask_b32 v4, v8, v10 :: v_dual_cndmask_b32 v3, v7, v9
	ds_store_b64 v27, v[3:4]
.LBB22_98:                              ;   in Loop: Header=BB22_3 Depth=1
	s_or_b32 exec_lo, exec_lo, s12
	s_waitcnt lgkmcnt(0)
	s_barrier
	buffer_gl0_inv
	s_and_saveexec_b32 s12, s8
	s_cbranch_execz .LBB22_100
; %bb.99:                               ;   in Loop: Header=BB22_3 Depth=1
	ds_load_2addr_b64 v[7:10], v27 offset1:8
	s_waitcnt lgkmcnt(0)
	v_cmp_lt_f64_e32 vcc_lo, v[7:8], v[9:10]
	v_dual_cndmask_b32 v4, v8, v10 :: v_dual_cndmask_b32 v3, v7, v9
	ds_store_b64 v27, v[3:4]
.LBB22_100:                             ;   in Loop: Header=BB22_3 Depth=1
	s_or_b32 exec_lo, exec_lo, s12
	s_waitcnt lgkmcnt(0)
	s_barrier
	buffer_gl0_inv
	s_and_saveexec_b32 s12, s9
	s_cbranch_execz .LBB22_102
; %bb.101:                              ;   in Loop: Header=BB22_3 Depth=1
	ds_load_2addr_b64 v[7:10], v27 offset1:4
	s_waitcnt lgkmcnt(0)
	v_cmp_lt_f64_e32 vcc_lo, v[7:8], v[9:10]
	v_dual_cndmask_b32 v4, v8, v10 :: v_dual_cndmask_b32 v3, v7, v9
	ds_store_b64 v27, v[3:4]
.LBB22_102:                             ;   in Loop: Header=BB22_3 Depth=1
	s_or_b32 exec_lo, exec_lo, s12
	s_waitcnt lgkmcnt(0)
	s_barrier
	buffer_gl0_inv
	s_and_saveexec_b32 s12, s10
	s_cbranch_execz .LBB22_104
; %bb.103:                              ;   in Loop: Header=BB22_3 Depth=1
	ds_load_2addr_b64 v[7:10], v27 offset1:2
	s_waitcnt lgkmcnt(0)
	v_cmp_lt_f64_e32 vcc_lo, v[7:8], v[9:10]
	v_dual_cndmask_b32 v4, v8, v10 :: v_dual_cndmask_b32 v3, v7, v9
	ds_store_b64 v27, v[3:4]
.LBB22_104:                             ;   in Loop: Header=BB22_3 Depth=1
	s_or_b32 exec_lo, exec_lo, s12
	s_waitcnt lgkmcnt(0)
	s_barrier
	buffer_gl0_inv
	s_and_saveexec_b32 s12, s11
	s_cbranch_execz .LBB22_106
; %bb.105:                              ;   in Loop: Header=BB22_3 Depth=1
	ds_load_b128 v[7:10], v6
	s_waitcnt lgkmcnt(0)
	v_cmp_lt_f64_e32 vcc_lo, v[7:8], v[9:10]
	v_dual_cndmask_b32 v4, v8, v10 :: v_dual_cndmask_b32 v3, v7, v9
	ds_store_b64 v6, v[3:4]
.LBB22_106:                             ;   in Loop: Header=BB22_3 Depth=1
	s_or_b32 exec_lo, exec_lo, s12
	s_waitcnt lgkmcnt(0)
	s_barrier
	buffer_gl0_inv
	ds_load_b64 v[3:4], v6
	s_load_b64 s[12:13], s[14:15], 0x0
	s_waitcnt lgkmcnt(0)
	v_div_scale_f64 v[7:8], null, s[12:13], s[12:13], v[3:4]
	s_delay_alu instid0(VALU_DEP_1) | instskip(SKIP_2) | instid1(VALU_DEP_1)
	v_rcp_f64_e32 v[9:10], v[7:8]
	s_waitcnt_depctr 0xfff
	v_fma_f64 v[11:12], -v[7:8], v[9:10], 1.0
	v_fma_f64 v[9:10], v[9:10], v[11:12], v[9:10]
	s_delay_alu instid0(VALU_DEP_1) | instskip(NEXT) | instid1(VALU_DEP_1)
	v_fma_f64 v[11:12], -v[7:8], v[9:10], 1.0
	v_fma_f64 v[9:10], v[9:10], v[11:12], v[9:10]
	v_div_scale_f64 v[11:12], vcc_lo, v[3:4], s[12:13], v[3:4]
	s_delay_alu instid0(VALU_DEP_1) | instskip(NEXT) | instid1(VALU_DEP_1)
	v_mul_f64 v[13:14], v[11:12], v[9:10]
	v_fma_f64 v[7:8], -v[7:8], v[13:14], v[11:12]
	s_delay_alu instid0(VALU_DEP_1) | instskip(NEXT) | instid1(VALU_DEP_1)
	v_div_fmas_f64 v[7:8], v[7:8], v[9:10], v[13:14]
	v_div_fixup_f64 v[3:4], v[7:8], s[12:13], v[3:4]
	s_and_not1_b32 vcc_lo, exec_lo, s33
	s_cbranch_vccnz .LBB22_85
.LBB22_107:                             ;   in Loop: Header=BB22_3 Depth=1
	v_cmp_gt_i32_e32 vcc_lo, 32, v5
	v_cndmask_b32_e32 v5, v28, v5, vcc_lo
	s_delay_alu instid0(VALU_DEP_1)
	v_lshlrev_b32_e32 v5, 2, v5
	ds_bpermute_b32 v7, v5, v1
	ds_bpermute_b32 v8, v5, v2
	s_and_saveexec_b32 s12, s1
	s_cbranch_execz .LBB22_109
; %bb.108:                              ;   in Loop: Header=BB22_3 Depth=1
	s_waitcnt lgkmcnt(0)
	v_cmp_lt_f64_e32 vcc_lo, v[1:2], v[7:8]
	v_dual_cndmask_b32 v2, v2, v8 :: v_dual_cndmask_b32 v1, v1, v7
	ds_store_b64 v30, v[1:2]
.LBB22_109:                             ;   in Loop: Header=BB22_3 Depth=1
	s_or_b32 exec_lo, exec_lo, s12
	s_waitcnt lgkmcnt(0)
	s_waitcnt_vscnt null, 0x0
	s_barrier
	buffer_gl0_inv
	s_and_saveexec_b32 s12, s2
	s_cbranch_execz .LBB22_111
; %bb.110:                              ;   in Loop: Header=BB22_3 Depth=1
	ds_load_2addr_stride64_b64 v[7:10], v27 offset1:4
	s_waitcnt lgkmcnt(0)
	v_cmp_lt_f64_e32 vcc_lo, v[7:8], v[9:10]
	v_dual_cndmask_b32 v2, v8, v10 :: v_dual_cndmask_b32 v1, v7, v9
	ds_store_b64 v27, v[1:2]
.LBB22_111:                             ;   in Loop: Header=BB22_3 Depth=1
	s_or_b32 exec_lo, exec_lo, s12
	s_waitcnt lgkmcnt(0)
	s_barrier
	buffer_gl0_inv
	s_and_saveexec_b32 s12, s3
	s_cbranch_execz .LBB22_113
; %bb.112:                              ;   in Loop: Header=BB22_3 Depth=1
	ds_load_2addr_stride64_b64 v[7:10], v27 offset1:2
	s_waitcnt lgkmcnt(0)
	v_cmp_lt_f64_e32 vcc_lo, v[7:8], v[9:10]
	v_dual_cndmask_b32 v2, v8, v10 :: v_dual_cndmask_b32 v1, v7, v9
	ds_store_b64 v27, v[1:2]
.LBB22_113:                             ;   in Loop: Header=BB22_3 Depth=1
	s_or_b32 exec_lo, exec_lo, s12
	s_waitcnt lgkmcnt(0)
	;; [unrolled: 13-line block ×3, first 2 shown]
	s_barrier
	buffer_gl0_inv
	s_and_saveexec_b32 s12, s5
	s_cbranch_execz .LBB22_117
; %bb.116:                              ;   in Loop: Header=BB22_3 Depth=1
	ds_load_2addr_b64 v[7:10], v27 offset1:32
	s_waitcnt lgkmcnt(0)
	v_cmp_lt_f64_e32 vcc_lo, v[7:8], v[9:10]
	v_dual_cndmask_b32 v2, v8, v10 :: v_dual_cndmask_b32 v1, v7, v9
	ds_store_b64 v27, v[1:2]
.LBB22_117:                             ;   in Loop: Header=BB22_3 Depth=1
	s_or_b32 exec_lo, exec_lo, s12
	s_waitcnt lgkmcnt(0)
	s_barrier
	buffer_gl0_inv
	s_and_saveexec_b32 s12, s6
	s_cbranch_execz .LBB22_119
; %bb.118:                              ;   in Loop: Header=BB22_3 Depth=1
	ds_load_2addr_b64 v[7:10], v27 offset1:16
	s_waitcnt lgkmcnt(0)
	v_cmp_lt_f64_e32 vcc_lo, v[7:8], v[9:10]
	v_dual_cndmask_b32 v2, v8, v10 :: v_dual_cndmask_b32 v1, v7, v9
	ds_store_b64 v27, v[1:2]
.LBB22_119:                             ;   in Loop: Header=BB22_3 Depth=1
	s_or_b32 exec_lo, exec_lo, s12
	s_waitcnt lgkmcnt(0)
	;; [unrolled: 13-line block ×5, first 2 shown]
	s_barrier
	buffer_gl0_inv
	s_and_saveexec_b32 s12, s11
	s_cbranch_execz .LBB22_127
; %bb.126:                              ;   in Loop: Header=BB22_3 Depth=1
	ds_load_b128 v[7:10], v6
	s_waitcnt lgkmcnt(0)
	v_cmp_lt_f64_e32 vcc_lo, v[7:8], v[9:10]
	v_dual_cndmask_b32 v2, v8, v10 :: v_dual_cndmask_b32 v1, v7, v9
	ds_store_b64 v6, v[1:2]
.LBB22_127:                             ;   in Loop: Header=BB22_3 Depth=1
	s_or_b32 exec_lo, exec_lo, s12
	s_waitcnt lgkmcnt(0)
	s_barrier
	buffer_gl0_inv
	ds_load_b64 v[1:2], v6
	s_load_b64 s[12:13], s[14:15], 0x0
	s_waitcnt lgkmcnt(0)
	v_div_scale_f64 v[7:8], null, s[12:13], s[12:13], v[1:2]
	s_delay_alu instid0(VALU_DEP_1) | instskip(SKIP_2) | instid1(VALU_DEP_1)
	v_rcp_f64_e32 v[9:10], v[7:8]
	s_waitcnt_depctr 0xfff
	v_fma_f64 v[11:12], -v[7:8], v[9:10], 1.0
	v_fma_f64 v[9:10], v[9:10], v[11:12], v[9:10]
	s_delay_alu instid0(VALU_DEP_1) | instskip(NEXT) | instid1(VALU_DEP_1)
	v_fma_f64 v[11:12], -v[7:8], v[9:10], 1.0
	v_fma_f64 v[9:10], v[9:10], v[11:12], v[9:10]
	v_div_scale_f64 v[11:12], vcc_lo, v[1:2], s[12:13], v[1:2]
	s_delay_alu instid0(VALU_DEP_1) | instskip(NEXT) | instid1(VALU_DEP_1)
	v_mul_f64 v[13:14], v[11:12], v[9:10]
	v_fma_f64 v[7:8], -v[7:8], v[13:14], v[11:12]
	s_delay_alu instid0(VALU_DEP_1) | instskip(NEXT) | instid1(VALU_DEP_1)
	v_div_fmas_f64 v[7:8], v[7:8], v[9:10], v[13:14]
	v_div_fixup_f64 v[1:2], v[7:8], s[12:13], v[1:2]
	s_and_saveexec_b32 s13, s7
	s_cbranch_execz .LBB22_139
.LBB22_128:                             ;   in Loop: Header=BB22_3 Depth=1
	v_mov_b32_e32 v7, v29
	s_branch .LBB22_130
.LBB22_129:                             ;   in Loop: Header=BB22_130 Depth=2
	s_or_b32 exec_lo, exec_lo, s72
	v_add_nc_u32_e32 v7, 0x200, v7
	s_delay_alu instid0(VALU_DEP_1) | instskip(SKIP_1) | instid1(SALU_CYCLE_1)
	v_cmp_le_u32_e32 vcc_lo, s67, v7
	s_or_b32 s71, vcc_lo, s71
	s_and_not1_b32 exec_lo, exec_lo, s71
	s_cbranch_execz .LBB22_139
.LBB22_130:                             ;   Parent Loop BB22_3 Depth=1
                                        ; =>  This Loop Header: Depth=2
                                        ;       Child Loop BB22_133 Depth 3
                                        ;       Child Loop BB22_136 Depth 3
	s_mov_b32 s72, exec_lo
	s_delay_alu instid0(VALU_DEP_1)
	v_cmpx_gt_i32_e64 s61, v7
	s_cbranch_execz .LBB22_129
; %bb.131:                              ;   in Loop: Header=BB22_130 Depth=2
	v_ashrrev_i32_e32 v8, 31, v7
	s_mov_b32 s73, exec_lo
	s_delay_alu instid0(VALU_DEP_1) | instskip(NEXT) | instid1(VALU_DEP_1)
	v_lshlrev_b64 v[9:10], 2, v[7:8]
	v_add_co_u32 v11, vcc_lo, s24, v9
	s_delay_alu instid0(VALU_DEP_2)
	v_add_co_ci_u32_e32 v12, vcc_lo, s25, v10, vcc_lo
	v_add_co_u32 v13, vcc_lo, s26, v9
	v_add_co_ci_u32_e32 v14, vcc_lo, s27, v10, vcc_lo
	global_load_b32 v5, v[11:12], off
	global_load_b32 v12, v[13:14], off
	s_waitcnt vmcnt(1)
	v_add_nc_u32_e32 v11, v32, v5
	s_waitcnt vmcnt(0)
	v_subrev_nc_u32_e32 v5, s65, v12
	s_delay_alu instid0(VALU_DEP_1)
	v_cmpx_lt_i32_e64 v11, v5
	s_cbranch_execz .LBB22_134
; %bb.132:                              ;   in Loop: Header=BB22_130 Depth=2
	v_ashrrev_i32_e32 v12, 31, v11
	s_mov_b32 s74, 0
	s_delay_alu instid0(VALU_DEP_1) | instskip(NEXT) | instid1(VALU_DEP_1)
	v_lshlrev_b64 v[14:15], 3, v[11:12]
	v_add_co_u32 v12, vcc_lo, s56, v14
	s_delay_alu instid0(VALU_DEP_2)
	v_add_co_ci_u32_e32 v13, vcc_lo, s57, v15, vcc_lo
	v_add_co_u32 v14, vcc_lo, s30, v14
	v_add_co_ci_u32_e32 v15, vcc_lo, s31, v15, vcc_lo
.LBB22_133:                             ;   Parent Loop BB22_3 Depth=1
                                        ;     Parent Loop BB22_130 Depth=2
                                        ; =>    This Inner Loop Header: Depth=3
	global_load_b64 v[16:17], v[12:13], off
	v_add_nc_u32_e32 v11, 2, v11
	v_add_co_u32 v12, vcc_lo, v12, 16
	v_add_co_ci_u32_e32 v13, vcc_lo, 0, v13, vcc_lo
	s_delay_alu instid0(VALU_DEP_3) | instskip(SKIP_4) | instid1(VALU_DEP_1)
	v_cmp_ge_i32_e32 vcc_lo, v11, v5
	s_or_b32 s74, vcc_lo, s74
	s_waitcnt vmcnt(0)
	global_store_b64 v[14:15], v[16:17], off
	v_add_co_u32 v14, s12, v14, 16
	v_add_co_ci_u32_e64 v15, s12, 0, v15, s12
	s_and_not1_b32 exec_lo, exec_lo, s74
	s_cbranch_execnz .LBB22_133
.LBB22_134:                             ;   in Loop: Header=BB22_130 Depth=2
	s_or_b32 exec_lo, exec_lo, s73
	v_add_co_u32 v11, vcc_lo, s16, v9
	v_add_co_ci_u32_e32 v12, vcc_lo, s17, v10, vcc_lo
	v_add_co_u32 v9, vcc_lo, s18, v9
	v_add_co_ci_u32_e32 v10, vcc_lo, s19, v10, vcc_lo
	s_mov_b32 s73, exec_lo
	global_load_b32 v5, v[11:12], off
	global_load_b32 v10, v[9:10], off
	s_waitcnt vmcnt(1)
	v_add_nc_u32_e32 v9, v33, v5
	s_waitcnt vmcnt(0)
	v_subrev_nc_u32_e32 v5, s66, v10
	s_delay_alu instid0(VALU_DEP_1)
	v_cmpx_lt_i32_e64 v9, v5
	s_cbranch_execz .LBB22_137
; %bb.135:                              ;   in Loop: Header=BB22_130 Depth=2
	v_ashrrev_i32_e32 v10, 31, v9
	s_mov_b32 s74, 0
	s_delay_alu instid0(VALU_DEP_1) | instskip(NEXT) | instid1(VALU_DEP_1)
	v_lshlrev_b64 v[12:13], 3, v[9:10]
	v_add_co_u32 v10, vcc_lo, s58, v12
	s_delay_alu instid0(VALU_DEP_2)
	v_add_co_ci_u32_e32 v11, vcc_lo, s59, v13, vcc_lo
	v_add_co_u32 v12, vcc_lo, s22, v12
	v_add_co_ci_u32_e32 v13, vcc_lo, s23, v13, vcc_lo
.LBB22_136:                             ;   Parent Loop BB22_3 Depth=1
                                        ;     Parent Loop BB22_130 Depth=2
                                        ; =>    This Inner Loop Header: Depth=3
	global_load_b64 v[14:15], v[10:11], off
	v_add_nc_u32_e32 v9, 2, v9
	v_add_co_u32 v10, vcc_lo, v10, 16
	v_add_co_ci_u32_e32 v11, vcc_lo, 0, v11, vcc_lo
	s_delay_alu instid0(VALU_DEP_3) | instskip(SKIP_4) | instid1(VALU_DEP_1)
	v_cmp_ge_i32_e32 vcc_lo, v9, v5
	s_or_b32 s74, vcc_lo, s74
	s_waitcnt vmcnt(0)
	global_store_b64 v[12:13], v[14:15], off
	v_add_co_u32 v12, s12, v12, 16
	v_add_co_ci_u32_e64 v13, s12, 0, v13, s12
	s_and_not1_b32 exec_lo, exec_lo, s74
	s_cbranch_execnz .LBB22_136
.LBB22_137:                             ;   in Loop: Header=BB22_130 Depth=2
	s_or_b32 exec_lo, exec_lo, s73
	s_delay_alu instid0(SALU_CYCLE_1)
	s_and_b32 exec_lo, exec_lo, s0
	s_cbranch_execz .LBB22_129
; %bb.138:                              ;   in Loop: Header=BB22_130 Depth=2
	v_lshlrev_b64 v[8:9], 3, v[7:8]
	s_delay_alu instid0(VALU_DEP_1) | instskip(NEXT) | instid1(VALU_DEP_2)
	v_add_co_u32 v10, vcc_lo, s54, v8
	v_add_co_ci_u32_e32 v11, vcc_lo, s55, v9, vcc_lo
	v_add_co_u32 v8, vcc_lo, s52, v8
	v_add_co_ci_u32_e32 v9, vcc_lo, s53, v9, vcc_lo
	global_load_b64 v[10:11], v[10:11], off
	s_waitcnt vmcnt(0)
	global_store_b64 v[8:9], v[10:11], off
	s_branch .LBB22_129
.LBB22_139:                             ;   in Loop: Header=BB22_3 Depth=1
	s_or_b32 exec_lo, exec_lo, s13
	s_delay_alu instid0(SALU_CYCLE_1)
	s_and_b32 vcc_lo, exec_lo, s62
	s_mov_b32 s13, -1
	s_cbranch_vccz .LBB22_149
; %bb.140:                              ;   in Loop: Header=BB22_3 Depth=1
	s_and_b32 vcc_lo, exec_lo, s69
	s_mov_b32 s12, -1
                                        ; implicit-def: $sgpr71
	s_cbranch_vccz .LBB22_146
; %bb.141:                              ;   in Loop: Header=BB22_3 Depth=1
	s_and_b32 vcc_lo, exec_lo, s68
                                        ; implicit-def: $sgpr71
	s_cbranch_vccz .LBB22_143
; %bb.142:                              ;   in Loop: Header=BB22_3 Depth=1
	s_delay_alu instid0(VALU_DEP_1)
	v_cmp_ge_f64_e32 vcc_lo, s[50:51], v[1:2]
	s_mov_b32 s12, 0
	s_and_b32 s71, vcc_lo, exec_lo
.LBB22_143:                             ;   in Loop: Header=BB22_3 Depth=1
	s_and_not1_b32 vcc_lo, exec_lo, s12
	s_cbranch_vccnz .LBB22_145
; %bb.144:                              ;   in Loop: Header=BB22_3 Depth=1
	s_delay_alu instid0(VALU_DEP_1) | instskip(SKIP_2) | instid1(SALU_CYCLE_1)
	v_cmp_ge_f64_e32 vcc_lo, s[50:51], v[3:4]
	s_and_not1_b32 s12, s71, exec_lo
	s_and_b32 s71, vcc_lo, exec_lo
	s_or_b32 s71, s12, s71
.LBB22_145:                             ;   in Loop: Header=BB22_3 Depth=1
	s_mov_b32 s12, 0
.LBB22_146:                             ;   in Loop: Header=BB22_3 Depth=1
	s_delay_alu instid0(SALU_CYCLE_1)
	s_and_not1_b32 vcc_lo, exec_lo, s12
	s_cbranch_vccnz .LBB22_148
; %bb.147:                              ;   in Loop: Header=BB22_3 Depth=1
	s_delay_alu instid0(VALU_DEP_1) | instskip(NEXT) | instid1(VALU_DEP_2)
	v_cmp_ge_f64_e32 vcc_lo, s[50:51], v[3:4]
	v_cmp_ge_f64_e64 s12, s[50:51], v[1:2]
	s_and_not1_b32 s71, s71, exec_lo
	s_delay_alu instid0(VALU_DEP_1) | instskip(NEXT) | instid1(SALU_CYCLE_1)
	s_and_b32 s12, vcc_lo, s12
	s_and_b32 s12, s12, exec_lo
	s_delay_alu instid0(SALU_CYCLE_1)
	s_or_b32 s71, s71, s12
.LBB22_148:                             ;   in Loop: Header=BB22_3 Depth=1
	s_delay_alu instid0(SALU_CYCLE_1)
	s_xor_b32 s12, s71, -1
	v_mov_b32_e32 v5, s70
	s_and_saveexec_b32 s71, s12
	s_cbranch_execz .LBB22_2
	s_branch .LBB22_150
.LBB22_149:                             ;   in Loop: Header=BB22_3 Depth=1
	s_mov_b32 s12, -1
	v_mov_b32_e32 v5, s70
	s_and_saveexec_b32 s71, s12
	s_cbranch_execz .LBB22_2
.LBB22_150:                             ;   in Loop: Header=BB22_3 Depth=1
	s_add_i32 s70, s70, 1
	v_mov_b32_e32 v5, s35
	s_cmp_eq_u32 s70, s35
	s_cselect_b32 s12, -1, 0
	s_delay_alu instid0(SALU_CYCLE_1)
	s_or_not1_b32 s13, s12, exec_lo
	s_branch .LBB22_2
.LBB22_151:
	s_or_b32 exec_lo, exec_lo, s34
.LBB22_152:
	s_delay_alu instid0(SALU_CYCLE_1) | instskip(NEXT) | instid1(SALU_CYCLE_1)
	s_or_b32 exec_lo, exec_lo, s63
	s_and_not1_b32 vcc_lo, exec_lo, s62
	s_cbranch_vccnz .LBB22_177
; %bb.153:
	v_xor_b32_e32 v6, 1, v28
	s_mov_b32 s0, exec_lo
	s_delay_alu instid0(VALU_DEP_1) | instskip(SKIP_1) | instid1(VALU_DEP_1)
	v_cmp_gt_i32_e32 vcc_lo, 32, v6
	v_cndmask_b32_e32 v6, v28, v6, vcc_lo
	v_lshlrev_b32_e32 v6, 2, v6
	ds_bpermute_b32 v6, v6, v5
	v_cmpx_ne_u32_e32 0, v26
	s_cbranch_execz .LBB22_155
; %bb.154:
	v_lshlrev_b32_e32 v7, 2, v25
	s_waitcnt lgkmcnt(0)
	v_max_i32_e32 v5, v5, v6
	ds_store_b32 v7, v5 offset:4096
.LBB22_155:
	s_or_b32 exec_lo, exec_lo, s0
	v_lshlrev_b32_e32 v5, 2, v0
	s_mov_b32 s0, exec_lo
	s_waitcnt lgkmcnt(0)
	s_waitcnt_vscnt null, 0x0
	s_barrier
	buffer_gl0_inv
	v_cmpx_gt_u32_e32 0x100, v0
	s_cbranch_execz .LBB22_157
; %bb.156:
	ds_load_2addr_stride64_b32 v[6:7], v5 offset0:16 offset1:20
	s_waitcnt lgkmcnt(0)
	v_max_i32_e32 v6, v6, v7
	ds_store_b32 v5, v6 offset:4096
.LBB22_157:
	s_or_b32 exec_lo, exec_lo, s0
	s_delay_alu instid0(SALU_CYCLE_1)
	s_mov_b32 s0, exec_lo
	s_waitcnt lgkmcnt(0)
	s_barrier
	buffer_gl0_inv
	v_cmpx_gt_u32_e32 0x80, v0
	s_cbranch_execz .LBB22_159
; %bb.158:
	ds_load_2addr_stride64_b32 v[6:7], v5 offset0:16 offset1:18
	s_waitcnt lgkmcnt(0)
	v_max_i32_e32 v6, v6, v7
	ds_store_b32 v5, v6 offset:4096
.LBB22_159:
	s_or_b32 exec_lo, exec_lo, s0
	s_delay_alu instid0(SALU_CYCLE_1)
	s_mov_b32 s0, exec_lo
	s_waitcnt lgkmcnt(0)
	;; [unrolled: 14-line block ×3, first 2 shown]
	s_barrier
	buffer_gl0_inv
	v_cmpx_gt_u32_e32 32, v0
	s_cbranch_execz .LBB22_163
; %bb.162:
	v_add_nc_u32_e32 v6, 0x1000, v5
	ds_load_2addr_b32 v[6:7], v6 offset1:32
	s_waitcnt lgkmcnt(0)
	v_max_i32_e32 v6, v6, v7
	ds_store_b32 v5, v6 offset:4096
.LBB22_163:
	s_or_b32 exec_lo, exec_lo, s0
	s_delay_alu instid0(SALU_CYCLE_1)
	s_mov_b32 s0, exec_lo
	s_waitcnt lgkmcnt(0)
	s_barrier
	buffer_gl0_inv
	v_cmpx_gt_u32_e32 16, v0
	s_cbranch_execz .LBB22_165
; %bb.164:
	v_add_nc_u32_e32 v6, 0x1000, v5
	ds_load_2addr_b32 v[6:7], v6 offset1:16
	s_waitcnt lgkmcnt(0)
	v_max_i32_e32 v6, v6, v7
	ds_store_b32 v5, v6 offset:4096
.LBB22_165:
	s_or_b32 exec_lo, exec_lo, s0
	s_delay_alu instid0(SALU_CYCLE_1)
	s_mov_b32 s0, exec_lo
	s_waitcnt lgkmcnt(0)
	;; [unrolled: 15-line block ×4, first 2 shown]
	s_barrier
	buffer_gl0_inv
	v_cmpx_gt_u32_e32 2, v0
	s_cbranch_execz .LBB22_171
; %bb.170:
	v_add_nc_u32_e32 v6, 0x1000, v5
	ds_load_2addr_b32 v[6:7], v6 offset1:2
	s_waitcnt lgkmcnt(0)
	v_max_i32_e32 v6, v6, v7
	ds_store_b32 v5, v6 offset:4096
.LBB22_171:
	s_or_b32 exec_lo, exec_lo, s0
	v_cmp_eq_u32_e32 vcc_lo, 0, v0
	s_waitcnt lgkmcnt(0)
	s_barrier
	buffer_gl0_inv
	s_and_saveexec_b32 s0, vcc_lo
	s_cbranch_execz .LBB22_173
; %bb.172:
	v_mov_b32_e32 v7, 0
	ds_load_b64 v[5:6], v7 offset:4096
	s_waitcnt lgkmcnt(0)
	v_max_i32_e32 v5, v5, v6
	ds_store_b32 v7, v5 offset:4096
.LBB22_173:
	s_or_b32 exec_lo, exec_lo, s0
	s_waitcnt lgkmcnt(0)
	s_barrier
	buffer_gl0_inv
	s_and_saveexec_b32 s0, vcc_lo
	s_cbranch_execz .LBB22_176
; %bb.174:
	v_mbcnt_lo_u32_b32 v5, exec_lo, 0
	s_delay_alu instid0(VALU_DEP_1)
	v_cmp_eq_u32_e32 vcc_lo, 0, v5
	s_and_b32 exec_lo, exec_lo, vcc_lo
	s_cbranch_execz .LBB22_176
; %bb.175:
	v_mov_b32_e32 v5, 0
	ds_load_b32 v6, v5 offset:4096
	s_waitcnt lgkmcnt(0)
	v_add_nc_u32_e32 v6, 1, v6
	global_atomic_max_i32 v5, v6, s[48:49]
.LBB22_176:
	s_or_b32 exec_lo, exec_lo, s0
.LBB22_177:
	v_cmp_eq_u32_e32 vcc_lo, 0, v0
	s_mov_b32 s2, 0
	s_and_b32 s0, vcc_lo, s60
	s_delay_alu instid0(SALU_CYCLE_1)
	s_and_saveexec_b32 s4, s0
	s_cbranch_execz .LBB22_182
; %bb.178:
	v_mov_b32_e32 v0, 0
	s_delay_alu instid0(VALU_DEP_4)
	v_cmp_eq_f64_e64 s0, 0, v[3:4]
	s_brev_b32 s3, 1
                                        ; implicit-def: $sgpr5
	global_load_b64 v[5:6], v0, s[44:45] glc
	s_waitcnt vmcnt(0)
	v_cmp_eq_u64_e64 s6, s[2:3], v[5:6]
                                        ; implicit-def: $sgpr3
	s_set_inst_prefetch_distance 0x1
	s_branch .LBB22_180
	.p2align	6
.LBB22_179:                             ;   in Loop: Header=BB22_180 Depth=1
	s_or_b32 exec_lo, exec_lo, s7
	s_delay_alu instid0(SALU_CYCLE_1) | instskip(NEXT) | instid1(SALU_CYCLE_1)
	s_and_b32 s1, exec_lo, s3
	s_or_b32 s2, s1, s2
	s_and_not1_b32 s1, s6, exec_lo
	s_and_b32 s6, s5, exec_lo
	s_delay_alu instid0(SALU_CYCLE_1)
	s_or_b32 s6, s1, s6
	s_and_not1_b32 exec_lo, exec_lo, s2
	s_cbranch_execz .LBB22_182
.LBB22_180:                             ; =>This Inner Loop Header: Depth=1
	v_cmp_lt_f64_e64 s1, v[5:6], v[3:4]
	s_delay_alu instid0(VALU_DEP_2) | instskip(SKIP_2) | instid1(VALU_DEP_1)
	s_and_b32 s7, s0, s6
	s_and_not1_b32 s5, s5, exec_lo
	s_or_b32 s3, s3, exec_lo
	s_or_b32 s1, s1, s7
	s_delay_alu instid0(SALU_CYCLE_1)
	s_and_saveexec_b32 s7, s1
	s_cbranch_execz .LBB22_179
; %bb.181:                              ;   in Loop: Header=BB22_180 Depth=1
	global_atomic_cmpswap_b64 v[7:8], v0, v[3:6], s[44:45] glc
	s_and_not1_b32 s5, s5, exec_lo
	s_and_not1_b32 s3, s3, exec_lo
	s_waitcnt vmcnt(0)
	v_cmp_eq_u64_e64 s1, v[7:8], v[5:6]
	s_delay_alu instid0(VALU_DEP_1) | instskip(SKIP_2) | instid1(SALU_CYCLE_1)
	v_cndmask_b32_e64 v6, v8, v6, s1
	v_cndmask_b32_e64 v5, v7, v5, s1
	s_and_b32 s1, s1, exec_lo
	s_or_b32 s3, s3, s1
	s_delay_alu instid0(VALU_DEP_1) | instskip(SKIP_1) | instid1(VALU_DEP_2)
	v_cmp_class_f64_e64 s6, v[5:6], 32
	v_dual_mov_b32 v5, v7 :: v_dual_mov_b32 v6, v8
	s_and_b32 s6, s6, exec_lo
	s_delay_alu instid0(SALU_CYCLE_1)
	s_or_b32 s5, s5, s6
                                        ; implicit-def: $sgpr6
	s_branch .LBB22_179
.LBB22_182:
	s_set_inst_prefetch_distance 0x2
	s_or_b32 exec_lo, exec_lo, s4
	s_and_b32 s0, vcc_lo, s33
	s_delay_alu instid0(SALU_CYCLE_1)
	s_and_saveexec_b32 s1, s0
	s_cbranch_execz .LBB22_187
; %bb.183:
	v_mov_b32_e32 v0, 0
	s_delay_alu instid0(VALU_DEP_4)
	v_cmp_eq_f64_e32 vcc_lo, 0, v[1:2]
	s_brev_b32 s3, 1
	s_mov_b32 s2, 0
                                        ; implicit-def: $sgpr1
	global_load_b64 v[3:4], v0, s[46:47] glc
	s_waitcnt vmcnt(0)
	v_cmp_eq_u64_e64 s4, s[2:3], v[3:4]
                                        ; implicit-def: $sgpr3
	s_set_inst_prefetch_distance 0x1
	s_branch .LBB22_185
	.p2align	6
.LBB22_184:                             ;   in Loop: Header=BB22_185 Depth=1
	s_or_b32 exec_lo, exec_lo, s5
	s_delay_alu instid0(SALU_CYCLE_1) | instskip(NEXT) | instid1(SALU_CYCLE_1)
	s_and_b32 s0, exec_lo, s1
	s_or_b32 s2, s0, s2
	s_and_not1_b32 s0, s4, exec_lo
	s_and_b32 s4, s3, exec_lo
	s_delay_alu instid0(SALU_CYCLE_1)
	s_or_b32 s4, s0, s4
	s_and_not1_b32 exec_lo, exec_lo, s2
	s_cbranch_execz .LBB22_187
.LBB22_185:                             ; =>This Inner Loop Header: Depth=1
	v_cmp_lt_f64_e64 s0, v[3:4], v[1:2]
	s_delay_alu instid0(VALU_DEP_2) | instskip(SKIP_2) | instid1(VALU_DEP_1)
	s_and_b32 s5, vcc_lo, s4
	s_and_not1_b32 s3, s3, exec_lo
	s_or_b32 s1, s1, exec_lo
	s_or_b32 s0, s0, s5
	s_delay_alu instid0(SALU_CYCLE_1)
	s_and_saveexec_b32 s5, s0
	s_cbranch_execz .LBB22_184
; %bb.186:                              ;   in Loop: Header=BB22_185 Depth=1
	global_atomic_cmpswap_b64 v[5:6], v0, v[1:4], s[46:47] glc
	s_and_not1_b32 s3, s3, exec_lo
	s_and_not1_b32 s1, s1, exec_lo
	s_waitcnt vmcnt(0)
	v_cmp_eq_u64_e64 s0, v[5:6], v[3:4]
	s_delay_alu instid0(VALU_DEP_1) | instskip(SKIP_2) | instid1(SALU_CYCLE_1)
	v_cndmask_b32_e64 v4, v6, v4, s0
	v_cndmask_b32_e64 v3, v5, v3, s0
	s_and_b32 s0, s0, exec_lo
	s_or_b32 s1, s1, s0
	s_delay_alu instid0(VALU_DEP_1) | instskip(SKIP_1) | instid1(VALU_DEP_2)
	v_cmp_class_f64_e64 s4, v[3:4], 32
	v_dual_mov_b32 v3, v5 :: v_dual_mov_b32 v4, v6
	s_and_b32 s4, s4, exec_lo
	s_delay_alu instid0(SALU_CYCLE_1)
	s_or_b32 s3, s3, s4
                                        ; implicit-def: $sgpr4
	s_branch .LBB22_184
.LBB22_187:
	s_set_inst_prefetch_distance 0x2
	s_nop 0
	s_sendmsg sendmsg(MSG_DEALLOC_VGPRS)
	s_endpgm
	.section	.rodata,"a",@progbits
	.p2align	6, 0x0
	.amdhsa_kernel _ZN9rocsparseL6kernelILi1024ELi2EdiiEEvbbbT3_PS1_NS_15floating_traitsIT1_E6data_tES1_T2_PKS7_S9_PKS1_PKS4_21rocsparse_index_base_S9_S9_SB_PS4_SF_SE_S9_S9_SB_SF_SF_SE_SF_SF_PS6_SG_PKS6_
		.amdhsa_group_segment_fixed_size 6144
		.amdhsa_private_segment_fixed_size 0
		.amdhsa_kernarg_size 208
		.amdhsa_user_sgpr_count 15
		.amdhsa_user_sgpr_dispatch_ptr 0
		.amdhsa_user_sgpr_queue_ptr 0
		.amdhsa_user_sgpr_kernarg_segment_ptr 1
		.amdhsa_user_sgpr_dispatch_id 0
		.amdhsa_user_sgpr_private_segment_size 0
		.amdhsa_wavefront_size32 1
		.amdhsa_uses_dynamic_stack 0
		.amdhsa_enable_private_segment 0
		.amdhsa_system_sgpr_workgroup_id_x 1
		.amdhsa_system_sgpr_workgroup_id_y 0
		.amdhsa_system_sgpr_workgroup_id_z 0
		.amdhsa_system_sgpr_workgroup_info 0
		.amdhsa_system_vgpr_workitem_id 0
		.amdhsa_next_free_vgpr 47
		.amdhsa_next_free_sgpr 85
		.amdhsa_reserve_vcc 1
		.amdhsa_float_round_mode_32 0
		.amdhsa_float_round_mode_16_64 0
		.amdhsa_float_denorm_mode_32 3
		.amdhsa_float_denorm_mode_16_64 3
		.amdhsa_dx10_clamp 1
		.amdhsa_ieee_mode 1
		.amdhsa_fp16_overflow 0
		.amdhsa_workgroup_processor_mode 1
		.amdhsa_memory_ordered 1
		.amdhsa_forward_progress 0
		.amdhsa_shared_vgpr_count 0
		.amdhsa_exception_fp_ieee_invalid_op 0
		.amdhsa_exception_fp_denorm_src 0
		.amdhsa_exception_fp_ieee_div_zero 0
		.amdhsa_exception_fp_ieee_overflow 0
		.amdhsa_exception_fp_ieee_underflow 0
		.amdhsa_exception_fp_ieee_inexact 0
		.amdhsa_exception_int_div_zero 0
	.end_amdhsa_kernel
	.section	.text._ZN9rocsparseL6kernelILi1024ELi2EdiiEEvbbbT3_PS1_NS_15floating_traitsIT1_E6data_tES1_T2_PKS7_S9_PKS1_PKS4_21rocsparse_index_base_S9_S9_SB_PS4_SF_SE_S9_S9_SB_SF_SF_SE_SF_SF_PS6_SG_PKS6_,"axG",@progbits,_ZN9rocsparseL6kernelILi1024ELi2EdiiEEvbbbT3_PS1_NS_15floating_traitsIT1_E6data_tES1_T2_PKS7_S9_PKS1_PKS4_21rocsparse_index_base_S9_S9_SB_PS4_SF_SE_S9_S9_SB_SF_SF_SE_SF_SF_PS6_SG_PKS6_,comdat
.Lfunc_end22:
	.size	_ZN9rocsparseL6kernelILi1024ELi2EdiiEEvbbbT3_PS1_NS_15floating_traitsIT1_E6data_tES1_T2_PKS7_S9_PKS1_PKS4_21rocsparse_index_base_S9_S9_SB_PS4_SF_SE_S9_S9_SB_SF_SF_SE_SF_SF_PS6_SG_PKS6_, .Lfunc_end22-_ZN9rocsparseL6kernelILi1024ELi2EdiiEEvbbbT3_PS1_NS_15floating_traitsIT1_E6data_tES1_T2_PKS7_S9_PKS1_PKS4_21rocsparse_index_base_S9_S9_SB_PS4_SF_SE_S9_S9_SB_SF_SF_SE_SF_SF_PS6_SG_PKS6_
                                        ; -- End function
	.section	.AMDGPU.csdata,"",@progbits
; Kernel info:
; codeLenInByte = 6904
; NumSgprs: 87
; NumVgprs: 47
; ScratchSize: 0
; MemoryBound: 1
; FloatMode: 240
; IeeeMode: 1
; LDSByteSize: 6144 bytes/workgroup (compile time only)
; SGPRBlocks: 10
; VGPRBlocks: 5
; NumSGPRsForWavesPerEU: 87
; NumVGPRsForWavesPerEU: 47
; Occupancy: 16
; WaveLimiterHint : 1
; COMPUTE_PGM_RSRC2:SCRATCH_EN: 0
; COMPUTE_PGM_RSRC2:USER_SGPR: 15
; COMPUTE_PGM_RSRC2:TRAP_HANDLER: 0
; COMPUTE_PGM_RSRC2:TGID_X_EN: 1
; COMPUTE_PGM_RSRC2:TGID_Y_EN: 0
; COMPUTE_PGM_RSRC2:TGID_Z_EN: 0
; COMPUTE_PGM_RSRC2:TIDIG_COMP_CNT: 0
	.section	.text._ZN9rocsparseL6kernelILi1024ELi4EdiiEEvbbbT3_PS1_NS_15floating_traitsIT1_E6data_tES1_T2_PKS7_S9_PKS1_PKS4_21rocsparse_index_base_S9_S9_SB_PS4_SF_SE_S9_S9_SB_SF_SF_SE_SF_SF_PS6_SG_PKS6_,"axG",@progbits,_ZN9rocsparseL6kernelILi1024ELi4EdiiEEvbbbT3_PS1_NS_15floating_traitsIT1_E6data_tES1_T2_PKS7_S9_PKS1_PKS4_21rocsparse_index_base_S9_S9_SB_PS4_SF_SE_S9_S9_SB_SF_SF_SE_SF_SF_PS6_SG_PKS6_,comdat
	.globl	_ZN9rocsparseL6kernelILi1024ELi4EdiiEEvbbbT3_PS1_NS_15floating_traitsIT1_E6data_tES1_T2_PKS7_S9_PKS1_PKS4_21rocsparse_index_base_S9_S9_SB_PS4_SF_SE_S9_S9_SB_SF_SF_SE_SF_SF_PS6_SG_PKS6_ ; -- Begin function _ZN9rocsparseL6kernelILi1024ELi4EdiiEEvbbbT3_PS1_NS_15floating_traitsIT1_E6data_tES1_T2_PKS7_S9_PKS1_PKS4_21rocsparse_index_base_S9_S9_SB_PS4_SF_SE_S9_S9_SB_SF_SF_SE_SF_SF_PS6_SG_PKS6_
	.p2align	8
	.type	_ZN9rocsparseL6kernelILi1024ELi4EdiiEEvbbbT3_PS1_NS_15floating_traitsIT1_E6data_tES1_T2_PKS7_S9_PKS1_PKS4_21rocsparse_index_base_S9_S9_SB_PS4_SF_SE_S9_S9_SB_SF_SF_SE_SF_SF_PS6_SG_PKS6_,@function
_ZN9rocsparseL6kernelILi1024ELi4EdiiEEvbbbT3_PS1_NS_15floating_traitsIT1_E6data_tES1_T2_PKS7_S9_PKS1_PKS4_21rocsparse_index_base_S9_S9_SB_PS4_SF_SE_S9_S9_SB_SF_SF_SE_SF_SF_PS6_SG_PKS6_: ; @_ZN9rocsparseL6kernelILi1024ELi4EdiiEEvbbbT3_PS1_NS_15floating_traitsIT1_E6data_tES1_T2_PKS7_S9_PKS1_PKS4_21rocsparse_index_base_S9_S9_SB_PS4_SF_SE_S9_S9_SB_SF_SF_SE_SF_SF_PS6_SG_PKS6_
; %bb.0:
	s_clause 0x4
	s_load_b32 s2, s[0:1], 0x0
	s_load_b64 s[12:13], s[0:1], 0x0
	s_load_b32 s59, s[0:1], 0x18
	s_load_b128 s[48:51], s[0:1], 0x8
	s_load_b128 s[44:47], s[0:1], 0xb8
	v_dual_mov_b32 v5, 0 :: v_dual_lshlrev_b32 v28, 3, v0
	v_lshrrev_b32_e32 v25, 2, v0
	v_mov_b32_e32 v1, 0
	v_mov_b32_e32 v2, 0
	s_delay_alu instid0(VALU_DEP_4)
	v_mov_b32_e32 v6, v5
	v_and_b32_e32 v26, 3, v0
	v_mbcnt_lo_u32_b32 v27, -1, 0
	s_mov_b32 s61, 0
	v_dual_mov_b32 v4, v2 :: v_dual_mov_b32 v3, v1
	ds_store_b64 v28, v[5:6]
	s_waitcnt lgkmcnt(0)
	s_barrier
	buffer_gl0_inv
	s_bitcmp1_b32 s2, 0
	s_cselect_b32 s60, -1, 0
	s_bitcmp1_b32 s2, 8
	s_cselect_b32 s58, -1, 0
	;; [unrolled: 2-line block ×3, first 2 shown]
	s_lshl_b32 s66, s15, 10
	s_cmp_gt_i32 s13, 0
	v_or_b32_e32 v29, s66, v25
	s_cselect_b32 s2, -1, 0
	s_delay_alu instid0(VALU_DEP_1) | instskip(SKIP_1) | instid1(SALU_CYCLE_1)
	v_cmp_gt_i32_e32 vcc_lo, s59, v29
	s_and_b32 s2, s2, vcc_lo
	s_and_saveexec_b32 s62, s2
	s_cbranch_execz .LBB23_148
; %bb.1:
	s_clause 0x9
	s_load_b32 s63, s[0:1], 0x40
	s_load_b64 s[14:15], s[0:1], 0x68
	s_load_b32 s64, s[0:1], 0x70
	s_load_b64 s[34:35], s[0:1], 0x98
	;; [unrolled: 2-line block ×3, first 2 shown]
	s_load_b128 s[52:55], s[0:1], 0xa8
	s_load_b256 s[16:23], s[0:1], 0x78
	s_load_b256 s[24:31], s[0:1], 0x48
	;; [unrolled: 1-line block ×3, first 2 shown]
	v_dual_mov_b32 v3, 0 :: v_dual_lshlrev_b32 v30, 3, v25
	v_mov_b32_e32 v4, 0
	s_addk_i32 s66, 0x400
	s_delay_alu instid0(VALU_DEP_2)
	v_dual_mov_b32 v6, 0 :: v_dual_mov_b32 v1, v3
	v_cmp_eq_u32_e64 s0, 3, v26
	v_cmp_gt_u32_e64 s1, 0x80, v0
	v_cmp_gt_u32_e64 s2, 64, v0
	;; [unrolled: 1-line block ×7, first 2 shown]
	s_waitcnt lgkmcnt(0)
	v_subrev_nc_u32_e32 v31, s63, v26
	v_cmp_gt_u32_e64 s8, 2, v0
	v_cmp_eq_u32_e64 s9, 0, v0
	v_subrev_nc_u32_e32 v32, s64, v26
	v_subrev_nc_u32_e32 v33, s65, v26
	v_cmp_eq_u32_e64 s10, 0, v26
	v_mov_b32_e32 v2, v4
	s_and_b32 s11, s58, s33
	s_xor_b32 s67, s58, -1
	s_xor_b32 s68, s11, -1
	s_mov_b32 s69, 0
	s_branch .LBB23_3
.LBB23_2:                               ;   in Loop: Header=BB23_3 Depth=1
	s_or_b32 exec_lo, exec_lo, s70
	s_delay_alu instid0(SALU_CYCLE_1) | instskip(NEXT) | instid1(SALU_CYCLE_1)
	s_and_b32 s11, exec_lo, s12
	s_or_b32 s61, s11, s61
	s_delay_alu instid0(SALU_CYCLE_1)
	s_and_not1_b32 exec_lo, exec_lo, s61
	s_cbranch_execz .LBB23_147
.LBB23_3:                               ; =>This Loop Header: Depth=1
                                        ;     Child Loop BB23_7 Depth 2
                                        ;       Child Loop BB23_12 Depth 3
                                        ;         Child Loop BB23_16 Depth 4
                                        ;         Child Loop BB23_37 Depth 4
	;; [unrolled: 1-line block ×5, first 2 shown]
                                        ;     Child Loop BB23_126 Depth 2
                                        ;       Child Loop BB23_129 Depth 3
                                        ;       Child Loop BB23_132 Depth 3
	s_delay_alu instid0(VALU_DEP_2) | instskip(NEXT) | instid1(VALU_DEP_3)
	v_cndmask_b32_e64 v4, v4, 0, s58
	v_cndmask_b32_e64 v3, v3, 0, s58
	s_delay_alu instid0(VALU_DEP_4)
	v_cndmask_b32_e64 v2, v2, 0, s33
	v_cndmask_b32_e64 v1, v1, 0, s33
	s_mov_b32 s70, 0
	s_branch .LBB23_7
.LBB23_4:                               ;   in Loop: Header=BB23_7 Depth=2
	s_or_b32 exec_lo, exec_lo, s73
.LBB23_5:                               ;   in Loop: Header=BB23_7 Depth=2
	s_delay_alu instid0(SALU_CYCLE_1)
	s_or_b32 exec_lo, exec_lo, s72
.LBB23_6:                               ;   in Loop: Header=BB23_7 Depth=2
	s_delay_alu instid0(SALU_CYCLE_1) | instskip(SKIP_1) | instid1(SALU_CYCLE_1)
	s_or_b32 exec_lo, exec_lo, s71
	s_add_i32 s70, s70, 1
	s_cmp_eq_u32 s70, 4
	s_cbranch_scc1 .LBB23_83
.LBB23_7:                               ;   Parent Loop BB23_3 Depth=1
                                        ; =>  This Loop Header: Depth=2
                                        ;       Child Loop BB23_12 Depth 3
                                        ;         Child Loop BB23_16 Depth 4
                                        ;         Child Loop BB23_37 Depth 4
	;; [unrolled: 1-line block ×5, first 2 shown]
	v_lshl_add_u32 v7, s70, 8, v29
	s_mov_b32 s71, exec_lo
	s_delay_alu instid0(VALU_DEP_1)
	v_cmpx_gt_i32_e64 s59, v7
	s_cbranch_execz .LBB23_6
; %bb.8:                                ;   in Loop: Header=BB23_7 Depth=2
	v_ashrrev_i32_e32 v8, 31, v7
	s_mov_b32 s72, exec_lo
	s_delay_alu instid0(VALU_DEP_1) | instskip(NEXT) | instid1(VALU_DEP_1)
	v_lshlrev_b64 v[9:10], 2, v[7:8]
	v_add_co_u32 v11, vcc_lo, s36, v9
	s_delay_alu instid0(VALU_DEP_2)
	v_add_co_ci_u32_e32 v12, vcc_lo, s37, v10, vcc_lo
	v_add_co_u32 v13, vcc_lo, s38, v9
	v_add_co_ci_u32_e32 v14, vcc_lo, s39, v10, vcc_lo
	global_load_b32 v5, v[11:12], off
	global_load_b32 v11, v[13:14], off
	s_waitcnt vmcnt(1)
	v_add_nc_u32_e32 v8, v31, v5
	s_waitcnt vmcnt(0)
	v_subrev_nc_u32_e32 v34, s63, v11
	s_delay_alu instid0(VALU_DEP_1)
	v_cmpx_lt_i32_e64 v8, v34
	s_cbranch_execz .LBB23_5
; %bb.9:                                ;   in Loop: Header=BB23_7 Depth=2
	v_add_co_u32 v11, vcc_lo, s24, v9
	v_add_co_ci_u32_e32 v12, vcc_lo, s25, v10, vcc_lo
	v_add_co_u32 v9, vcc_lo, s26, v9
	v_add_co_ci_u32_e32 v10, vcc_lo, s27, v10, vcc_lo
	global_load_b32 v5, v[11:12], off
	s_mov_b32 s73, 0
	global_load_b32 v9, v[9:10], off
	s_waitcnt vmcnt(1)
	v_subrev_nc_u32_e32 v10, s64, v5
	s_waitcnt vmcnt(0)
	v_sub_nc_u32_e32 v35, v9, v5
	s_delay_alu instid0(VALU_DEP_2) | instskip(NEXT) | instid1(VALU_DEP_2)
	v_ashrrev_i32_e32 v11, 31, v10
	v_cmp_lt_i32_e64 s11, 0, v35
	s_delay_alu instid0(VALU_DEP_2) | instskip(SKIP_1) | instid1(VALU_DEP_2)
	v_lshlrev_b64 v[12:13], 2, v[10:11]
	v_lshlrev_b64 v[14:15], 3, v[10:11]
	v_add_co_u32 v36, vcc_lo, s28, v12
	s_delay_alu instid0(VALU_DEP_3) | instskip(NEXT) | instid1(VALU_DEP_3)
	v_add_co_ci_u32_e32 v37, vcc_lo, s29, v13, vcc_lo
	v_add_co_u32 v38, vcc_lo, s30, v14
	s_delay_alu instid0(VALU_DEP_4)
	v_add_co_ci_u32_e32 v39, vcc_lo, s31, v15, vcc_lo
	s_branch .LBB23_12
.LBB23_10:                              ;   in Loop: Header=BB23_12 Depth=3
	s_or_b32 exec_lo, exec_lo, s74
.LBB23_11:                              ;   in Loop: Header=BB23_12 Depth=3
	s_delay_alu instid0(SALU_CYCLE_1) | instskip(SKIP_1) | instid1(VALU_DEP_1)
	s_or_b32 exec_lo, exec_lo, s12
	v_add_nc_u32_e32 v8, 4, v8
	v_cmp_ge_i32_e32 vcc_lo, v8, v34
	s_or_b32 s73, vcc_lo, s73
	s_delay_alu instid0(SALU_CYCLE_1)
	s_and_not1_b32 exec_lo, exec_lo, s73
	s_cbranch_execz .LBB23_4
.LBB23_12:                              ;   Parent Loop BB23_3 Depth=1
                                        ;     Parent Loop BB23_7 Depth=2
                                        ; =>    This Loop Header: Depth=3
                                        ;         Child Loop BB23_16 Depth 4
                                        ;         Child Loop BB23_37 Depth 4
	;; [unrolled: 1-line block ×5, first 2 shown]
	v_ashrrev_i32_e32 v9, 31, v8
	v_mov_b32_e32 v18, 0
	s_delay_alu instid0(VALU_DEP_2) | instskip(NEXT) | instid1(VALU_DEP_1)
	v_lshlrev_b64 v[11:12], 2, v[8:9]
	v_add_co_u32 v11, vcc_lo, s40, v11
	s_delay_alu instid0(VALU_DEP_2) | instskip(SKIP_3) | instid1(VALU_DEP_1)
	v_add_co_ci_u32_e32 v12, vcc_lo, s41, v12, vcc_lo
	global_load_b32 v5, v[11:12], off
	s_waitcnt vmcnt(0)
	v_subrev_nc_u32_e32 v11, s63, v5
	v_ashrrev_i32_e32 v12, 31, v11
	s_delay_alu instid0(VALU_DEP_1) | instskip(NEXT) | instid1(VALU_DEP_1)
	v_lshlrev_b64 v[13:14], 2, v[11:12]
	v_add_co_u32 v15, vcc_lo, s16, v13
	s_delay_alu instid0(VALU_DEP_2)
	v_add_co_ci_u32_e32 v16, vcc_lo, s17, v14, vcc_lo
	v_add_co_u32 v13, vcc_lo, s18, v13
	v_add_co_ci_u32_e32 v14, vcc_lo, s19, v14, vcc_lo
	global_load_b32 v5, v[15:16], off
	global_load_b32 v15, v[13:14], off
	v_mov_b32_e32 v13, 0
	v_mov_b32_e32 v14, 0
	s_waitcnt vmcnt(1)
	v_subrev_nc_u32_e32 v17, s65, v5
	s_waitcnt vmcnt(0)
	v_sub_nc_u32_e32 v40, v15, v5
	v_mov_b32_e32 v5, 0
	s_and_saveexec_b32 s74, s11
	s_cbranch_execz .LBB23_20
; %bb.13:                               ;   in Loop: Header=BB23_12 Depth=3
	v_ashrrev_i32_e32 v18, 31, v17
	v_mov_b32_e32 v5, 0
	s_mov_b32 s75, 0
                                        ; implicit-def: $sgpr76
	s_delay_alu instid0(VALU_DEP_2) | instskip(SKIP_1) | instid1(VALU_DEP_2)
	v_lshlrev_b64 v[13:14], 2, v[17:18]
	v_lshlrev_b64 v[18:19], 3, v[17:18]
	v_add_co_u32 v15, vcc_lo, s20, v13
	s_delay_alu instid0(VALU_DEP_3) | instskip(NEXT) | instid1(VALU_DEP_3)
	v_add_co_ci_u32_e32 v16, vcc_lo, s21, v14, vcc_lo
	v_add_co_u32 v20, vcc_lo, s22, v18
	v_mov_b32_e32 v13, 0
	v_add_co_ci_u32_e32 v21, vcc_lo, s23, v19, vcc_lo
	v_mov_b32_e32 v14, 0
	v_mov_b32_e32 v18, v5
	s_branch .LBB23_16
.LBB23_14:                              ;   in Loop: Header=BB23_16 Depth=4
	s_or_b32 exec_lo, exec_lo, s12
	v_cmp_le_i32_e32 vcc_lo, v22, v23
	v_cmp_ge_i32_e64 s12, v22, v23
	v_add_co_ci_u32_e32 v5, vcc_lo, 0, v5, vcc_lo
	s_delay_alu instid0(VALU_DEP_2) | instskip(SKIP_1) | instid1(VALU_DEP_2)
	v_add_co_ci_u32_e64 v18, s12, 0, v18, s12
	s_and_not1_b32 s12, s76, exec_lo
	v_cmp_ge_i32_e32 vcc_lo, v5, v35
	s_and_b32 s76, vcc_lo, exec_lo
	s_delay_alu instid0(SALU_CYCLE_1)
	s_or_b32 s76, s12, s76
.LBB23_15:                              ;   in Loop: Header=BB23_16 Depth=4
	s_or_b32 exec_lo, exec_lo, s77
	s_delay_alu instid0(SALU_CYCLE_1) | instskip(NEXT) | instid1(SALU_CYCLE_1)
	s_and_b32 s12, exec_lo, s76
	s_or_b32 s75, s12, s75
	s_delay_alu instid0(SALU_CYCLE_1)
	s_and_not1_b32 exec_lo, exec_lo, s75
	s_cbranch_execz .LBB23_19
.LBB23_16:                              ;   Parent Loop BB23_3 Depth=1
                                        ;     Parent Loop BB23_7 Depth=2
                                        ;       Parent Loop BB23_12 Depth=3
                                        ; =>      This Inner Loop Header: Depth=4
	s_or_b32 s76, s76, exec_lo
	s_mov_b32 s77, exec_lo
	s_delay_alu instid0(VALU_DEP_1)
	v_cmpx_lt_i32_e64 v18, v40
	s_cbranch_execz .LBB23_15
; %bb.17:                               ;   in Loop: Header=BB23_16 Depth=4
	v_mov_b32_e32 v19, v6
	v_lshlrev_b64 v[22:23], 2, v[5:6]
	s_mov_b32 s12, exec_lo
	s_delay_alu instid0(VALU_DEP_2) | instskip(NEXT) | instid1(VALU_DEP_2)
	v_lshlrev_b64 v[41:42], 2, v[18:19]
	v_add_co_u32 v22, vcc_lo, v36, v22
	s_delay_alu instid0(VALU_DEP_3) | instskip(NEXT) | instid1(VALU_DEP_3)
	v_add_co_ci_u32_e32 v23, vcc_lo, v37, v23, vcc_lo
	v_add_co_u32 v41, vcc_lo, v15, v41
	s_delay_alu instid0(VALU_DEP_4)
	v_add_co_ci_u32_e32 v42, vcc_lo, v16, v42, vcc_lo
	global_load_b32 v22, v[22:23], off
	global_load_b32 v23, v[41:42], off
	s_waitcnt vmcnt(1)
	v_subrev_nc_u32_e32 v22, s64, v22
	s_waitcnt vmcnt(0)
	v_subrev_nc_u32_e32 v23, s65, v23
	s_delay_alu instid0(VALU_DEP_1)
	v_cmpx_eq_u32_e64 v22, v23
	s_cbranch_execz .LBB23_14
; %bb.18:                               ;   in Loop: Header=BB23_16 Depth=4
	v_lshlrev_b64 v[41:42], 3, v[5:6]
	v_lshlrev_b64 v[43:44], 3, v[18:19]
	s_delay_alu instid0(VALU_DEP_2) | instskip(NEXT) | instid1(VALU_DEP_3)
	v_add_co_u32 v41, vcc_lo, v38, v41
	v_add_co_ci_u32_e32 v42, vcc_lo, v39, v42, vcc_lo
	s_delay_alu instid0(VALU_DEP_3) | instskip(NEXT) | instid1(VALU_DEP_4)
	v_add_co_u32 v43, vcc_lo, v20, v43
	v_add_co_ci_u32_e32 v44, vcc_lo, v21, v44, vcc_lo
	global_load_b64 v[41:42], v[41:42], off
	global_load_b64 v[43:44], v[43:44], off
	s_waitcnt vmcnt(0)
	v_fma_f64 v[13:14], v[41:42], v[43:44], v[13:14]
	s_branch .LBB23_14
.LBB23_19:                              ;   in Loop: Header=BB23_12 Depth=3
	s_or_b32 exec_lo, exec_lo, s75
.LBB23_20:                              ;   in Loop: Header=BB23_12 Depth=3
	s_delay_alu instid0(SALU_CYCLE_1) | instskip(SKIP_3) | instid1(VALU_DEP_2)
	s_or_b32 exec_lo, exec_lo, s74
	v_lshlrev_b64 v[15:16], 3, v[8:9]
	v_cmp_le_i32_e64 s12, v7, v11
	s_mov_b32 s74, exec_lo
	v_add_co_u32 v15, vcc_lo, s42, v15
	s_delay_alu instid0(VALU_DEP_3)
	v_add_co_ci_u32_e32 v16, vcc_lo, s43, v16, vcc_lo
	global_load_b64 v[15:16], v[15:16], off
	s_waitcnt vmcnt(0)
	v_add_f64 v[19:20], v[15:16], -v[13:14]
	v_cmpx_gt_i32_e64 v7, v11
	s_cbranch_execnz .LBB23_23
; %bb.21:                               ;   in Loop: Header=BB23_12 Depth=3
	s_or_b32 exec_lo, exec_lo, s74
	s_delay_alu instid0(VALU_DEP_2) | instskip(NEXT) | instid1(VALU_DEP_1)
	v_cmp_class_f64_e64 s74, v[19:20], 0x1f8
	s_and_saveexec_b32 s75, s74
	s_cbranch_execnz .LBB23_26
.LBB23_22:                              ;   in Loop: Header=BB23_12 Depth=3
	s_or_b32 exec_lo, exec_lo, s75
	s_and_b32 s74, s74, s33
	s_delay_alu instid0(SALU_CYCLE_1)
	s_and_saveexec_b32 s12, s74
	s_cbranch_execz .LBB23_11
	s_branch .LBB23_61
.LBB23_23:                              ;   in Loop: Header=BB23_12 Depth=3
	v_lshlrev_b64 v[21:22], 3, v[11:12]
	v_mov_b32_e32 v23, 0
	v_mov_b32_e32 v24, 0
	s_mov_b32 s75, exec_lo
	s_delay_alu instid0(VALU_DEP_3) | instskip(NEXT) | instid1(VALU_DEP_4)
	v_add_co_u32 v21, vcc_lo, s52, v21
	v_add_co_ci_u32_e32 v22, vcc_lo, s53, v22, vcc_lo
	global_load_b64 v[21:22], v[21:22], off
	s_waitcnt vmcnt(0)
	v_cmpx_lg_f64_e32 0, v[21:22]
; %bb.24:                               ;   in Loop: Header=BB23_12 Depth=3
	v_div_scale_f64 v[23:24], null, v[21:22], v[21:22], v[19:20]
	s_delay_alu instid0(VALU_DEP_1) | instskip(SKIP_2) | instid1(VALU_DEP_1)
	v_rcp_f64_e32 v[41:42], v[23:24]
	s_waitcnt_depctr 0xfff
	v_fma_f64 v[43:44], -v[23:24], v[41:42], 1.0
	v_fma_f64 v[41:42], v[41:42], v[43:44], v[41:42]
	s_delay_alu instid0(VALU_DEP_1) | instskip(NEXT) | instid1(VALU_DEP_1)
	v_fma_f64 v[43:44], -v[23:24], v[41:42], 1.0
	v_fma_f64 v[41:42], v[41:42], v[43:44], v[41:42]
	v_div_scale_f64 v[43:44], vcc_lo, v[19:20], v[21:22], v[19:20]
	s_delay_alu instid0(VALU_DEP_1) | instskip(NEXT) | instid1(VALU_DEP_1)
	v_mul_f64 v[45:46], v[43:44], v[41:42]
	v_fma_f64 v[23:24], -v[23:24], v[45:46], v[43:44]
	s_delay_alu instid0(VALU_DEP_1) | instskip(NEXT) | instid1(VALU_DEP_1)
	v_div_fmas_f64 v[23:24], v[23:24], v[41:42], v[45:46]
	v_div_fixup_f64 v[23:24], v[23:24], v[21:22], v[19:20]
; %bb.25:                               ;   in Loop: Header=BB23_12 Depth=3
	s_or_b32 exec_lo, exec_lo, s75
	s_delay_alu instid0(VALU_DEP_1) | instskip(SKIP_1) | instid1(VALU_DEP_1)
	v_dual_mov_b32 v19, v23 :: v_dual_mov_b32 v20, v24
	s_or_b32 exec_lo, exec_lo, s74
	v_cmp_class_f64_e64 s74, v[19:20], 0x1f8
	s_delay_alu instid0(VALU_DEP_1)
	s_and_saveexec_b32 s75, s74
	s_cbranch_execz .LBB23_22
.LBB23_26:                              ;   in Loop: Header=BB23_12 Depth=3
	s_and_saveexec_b32 s76, s12
	s_delay_alu instid0(SALU_CYCLE_1)
	s_xor_b32 s12, exec_lo, s76
	s_cbranch_execz .LBB23_47
; %bb.27:                               ;   in Loop: Header=BB23_12 Depth=3
	s_mov_b32 s76, exec_lo
	v_cmpx_ge_i32_e64 v7, v11
	s_xor_b32 s76, exec_lo, s76
	s_cbranch_execz .LBB23_33
; %bb.28:                               ;   in Loop: Header=BB23_12 Depth=3
	v_lshlrev_b64 v[21:22], 3, v[11:12]
	s_delay_alu instid0(VALU_DEP_1) | instskip(NEXT) | instid1(VALU_DEP_2)
	v_add_co_u32 v23, vcc_lo, s54, v21
	v_add_co_ci_u32_e32 v24, vcc_lo, s55, v22, vcc_lo
	s_and_not1_b32 vcc_lo, exec_lo, s58
	global_store_b64 v[23:24], v[19:20], off
	s_cbranch_vccnz .LBB23_32
; %bb.29:                               ;   in Loop: Header=BB23_12 Depth=3
	v_add_co_u32 v21, vcc_lo, s52, v21
	v_add_co_ci_u32_e32 v22, vcc_lo, s53, v22, vcc_lo
	global_load_b64 v[21:22], v[21:22], off
	s_waitcnt vmcnt(0)
	v_add_f64 v[19:20], v[21:22], -v[19:20]
	s_delay_alu instid0(VALU_DEP_1) | instskip(NEXT) | instid1(VALU_DEP_1)
	v_cmp_class_f64_e64 s78, v[19:20], 0x1f8
	s_and_saveexec_b32 s77, s78
; %bb.30:                               ;   in Loop: Header=BB23_12 Depth=3
	v_cmp_lt_f64_e64 vcc_lo, v[3:4], |v[19:20]|
	v_and_b32_e32 v9, 0x7fffffff, v20
	s_delay_alu instid0(VALU_DEP_1)
	v_dual_cndmask_b32 v4, v4, v9 :: v_dual_cndmask_b32 v3, v3, v19
; %bb.31:                               ;   in Loop: Header=BB23_12 Depth=3
	s_or_b32 exec_lo, exec_lo, s77
.LBB23_32:                              ;   in Loop: Header=BB23_12 Depth=3
                                        ; implicit-def: $vgpr19_vgpr20
.LBB23_33:                              ;   in Loop: Header=BB23_12 Depth=3
	s_and_not1_saveexec_b32 s76, s76
	s_cbranch_execz .LBB23_46
; %bb.34:                               ;   in Loop: Header=BB23_12 Depth=3
	s_mov_b32 s77, exec_lo
	v_cmpx_lt_i32_e64 v18, v40
	s_cbranch_execz .LBB23_45
; %bb.35:                               ;   in Loop: Header=BB23_12 Depth=3
	v_mov_b32_e32 v9, v18
	s_mov_b32 s78, 0
                                        ; implicit-def: $sgpr79
                                        ; implicit-def: $sgpr81
                                        ; implicit-def: $sgpr80
	s_set_inst_prefetch_distance 0x1
	s_branch .LBB23_37
	.p2align	6
.LBB23_36:                              ;   in Loop: Header=BB23_37 Depth=4
	s_or_b32 exec_lo, exec_lo, s82
	s_delay_alu instid0(SALU_CYCLE_1) | instskip(NEXT) | instid1(SALU_CYCLE_1)
	s_and_b32 s82, exec_lo, s81
	s_or_b32 s78, s82, s78
	s_and_not1_b32 s79, s79, exec_lo
	s_and_b32 s82, s80, exec_lo
	s_delay_alu instid0(SALU_CYCLE_1)
	s_or_b32 s79, s79, s82
	s_and_not1_b32 exec_lo, exec_lo, s78
	s_cbranch_execz .LBB23_39
.LBB23_37:                              ;   Parent Loop BB23_3 Depth=1
                                        ;     Parent Loop BB23_7 Depth=2
                                        ;       Parent Loop BB23_12 Depth=3
                                        ; =>      This Inner Loop Header: Depth=4
	s_delay_alu instid0(VALU_DEP_1) | instskip(SKIP_3) | instid1(VALU_DEP_1)
	v_add_nc_u32_e32 v21, v17, v9
	s_or_b32 s80, s80, exec_lo
	s_or_b32 s81, s81, exec_lo
	s_mov_b32 s82, exec_lo
	v_ashrrev_i32_e32 v22, 31, v21
	s_delay_alu instid0(VALU_DEP_1) | instskip(NEXT) | instid1(VALU_DEP_1)
	v_lshlrev_b64 v[23:24], 2, v[21:22]
	v_add_co_u32 v23, vcc_lo, s20, v23
	s_delay_alu instid0(VALU_DEP_2) | instskip(SKIP_3) | instid1(VALU_DEP_1)
	v_add_co_ci_u32_e32 v24, vcc_lo, s21, v24, vcc_lo
	global_load_b32 v23, v[23:24], off
	s_waitcnt vmcnt(0)
	v_subrev_nc_u32_e32 v23, s65, v23
	v_cmpx_ne_u32_e64 v23, v7
	s_cbranch_execz .LBB23_36
; %bb.38:                               ;   in Loop: Header=BB23_37 Depth=4
	v_add_nc_u32_e32 v9, 1, v9
	s_and_not1_b32 s81, s81, exec_lo
	s_and_not1_b32 s80, s80, exec_lo
	s_delay_alu instid0(VALU_DEP_1) | instskip(SKIP_1) | instid1(SALU_CYCLE_1)
	v_cmp_ge_i32_e32 vcc_lo, v9, v40
	s_and_b32 s83, vcc_lo, exec_lo
	s_or_b32 s81, s81, s83
	s_branch .LBB23_36
.LBB23_39:                              ;   in Loop: Header=BB23_12 Depth=3
	s_set_inst_prefetch_distance 0x2
	s_or_b32 exec_lo, exec_lo, s78
	s_and_saveexec_b32 s78, s79
	s_delay_alu instid0(SALU_CYCLE_1)
	s_xor_b32 s78, exec_lo, s78
	s_cbranch_execz .LBB23_44
; %bb.40:                               ;   in Loop: Header=BB23_12 Depth=3
	v_lshlrev_b64 v[21:22], 3, v[21:22]
	s_delay_alu instid0(VALU_DEP_1) | instskip(NEXT) | instid1(VALU_DEP_2)
	v_add_co_u32 v23, vcc_lo, s34, v21
	v_add_co_ci_u32_e32 v24, vcc_lo, s35, v22, vcc_lo
	s_and_not1_b32 vcc_lo, exec_lo, s58
	global_store_b64 v[23:24], v[19:20], off
	s_cbranch_vccnz .LBB23_44
; %bb.41:                               ;   in Loop: Header=BB23_12 Depth=3
	v_add_co_u32 v21, vcc_lo, s22, v21
	v_add_co_ci_u32_e32 v22, vcc_lo, s23, v22, vcc_lo
	global_load_b64 v[21:22], v[21:22], off
	s_waitcnt vmcnt(0)
	v_add_f64 v[19:20], v[21:22], -v[19:20]
	s_delay_alu instid0(VALU_DEP_1) | instskip(NEXT) | instid1(VALU_DEP_1)
	v_cmp_class_f64_e64 s80, v[19:20], 0x1f8
	s_and_saveexec_b32 s79, s80
; %bb.42:                               ;   in Loop: Header=BB23_12 Depth=3
	v_cmp_lt_f64_e64 vcc_lo, v[3:4], |v[19:20]|
	v_and_b32_e32 v9, 0x7fffffff, v20
	s_delay_alu instid0(VALU_DEP_1)
	v_dual_cndmask_b32 v4, v4, v9 :: v_dual_cndmask_b32 v3, v3, v19
; %bb.43:                               ;   in Loop: Header=BB23_12 Depth=3
	s_or_b32 exec_lo, exec_lo, s79
.LBB23_44:                              ;   in Loop: Header=BB23_12 Depth=3
	s_delay_alu instid0(SALU_CYCLE_1)
	s_or_b32 exec_lo, exec_lo, s78
.LBB23_45:                              ;   in Loop: Header=BB23_12 Depth=3
	s_delay_alu instid0(SALU_CYCLE_1)
	s_or_b32 exec_lo, exec_lo, s77
.LBB23_46:                              ;   in Loop: Header=BB23_12 Depth=3
	s_delay_alu instid0(SALU_CYCLE_1)
	s_or_b32 exec_lo, exec_lo, s76
                                        ; implicit-def: $vgpr19_vgpr20
.LBB23_47:                              ;   in Loop: Header=BB23_12 Depth=3
	s_and_not1_saveexec_b32 s12, s12
	s_cbranch_execz .LBB23_60
; %bb.48:                               ;   in Loop: Header=BB23_12 Depth=3
	s_mov_b32 s76, exec_lo
	v_cmpx_lt_i32_e64 v5, v35
	s_cbranch_execz .LBB23_59
; %bb.49:                               ;   in Loop: Header=BB23_12 Depth=3
	v_mov_b32_e32 v9, v5
	s_mov_b32 s77, 0
                                        ; implicit-def: $sgpr78
                                        ; implicit-def: $sgpr80
                                        ; implicit-def: $sgpr79
	s_set_inst_prefetch_distance 0x1
	s_branch .LBB23_51
	.p2align	6
.LBB23_50:                              ;   in Loop: Header=BB23_51 Depth=4
	s_or_b32 exec_lo, exec_lo, s81
	s_delay_alu instid0(SALU_CYCLE_1) | instskip(NEXT) | instid1(SALU_CYCLE_1)
	s_and_b32 s81, exec_lo, s80
	s_or_b32 s77, s81, s77
	s_and_not1_b32 s78, s78, exec_lo
	s_and_b32 s81, s79, exec_lo
	s_delay_alu instid0(SALU_CYCLE_1)
	s_or_b32 s78, s78, s81
	s_and_not1_b32 exec_lo, exec_lo, s77
	s_cbranch_execz .LBB23_53
.LBB23_51:                              ;   Parent Loop BB23_3 Depth=1
                                        ;     Parent Loop BB23_7 Depth=2
                                        ;       Parent Loop BB23_12 Depth=3
                                        ; =>      This Inner Loop Header: Depth=4
	s_delay_alu instid0(VALU_DEP_1) | instskip(SKIP_3) | instid1(VALU_DEP_1)
	v_add_nc_u32_e32 v21, v10, v9
	s_or_b32 s79, s79, exec_lo
	s_or_b32 s80, s80, exec_lo
	s_mov_b32 s81, exec_lo
	v_ashrrev_i32_e32 v22, 31, v21
	s_delay_alu instid0(VALU_DEP_1) | instskip(NEXT) | instid1(VALU_DEP_1)
	v_lshlrev_b64 v[23:24], 2, v[21:22]
	v_add_co_u32 v23, vcc_lo, s28, v23
	s_delay_alu instid0(VALU_DEP_2) | instskip(SKIP_3) | instid1(VALU_DEP_1)
	v_add_co_ci_u32_e32 v24, vcc_lo, s29, v24, vcc_lo
	global_load_b32 v23, v[23:24], off
	s_waitcnt vmcnt(0)
	v_subrev_nc_u32_e32 v23, s64, v23
	v_cmpx_ne_u32_e64 v23, v11
	s_cbranch_execz .LBB23_50
; %bb.52:                               ;   in Loop: Header=BB23_51 Depth=4
	v_add_nc_u32_e32 v9, 1, v9
	s_and_not1_b32 s80, s80, exec_lo
	s_and_not1_b32 s79, s79, exec_lo
	s_delay_alu instid0(VALU_DEP_1) | instskip(SKIP_1) | instid1(SALU_CYCLE_1)
	v_cmp_ge_i32_e32 vcc_lo, v9, v35
	s_and_b32 s82, vcc_lo, exec_lo
	s_or_b32 s80, s80, s82
	s_branch .LBB23_50
.LBB23_53:                              ;   in Loop: Header=BB23_12 Depth=3
	s_set_inst_prefetch_distance 0x2
	s_or_b32 exec_lo, exec_lo, s77
	s_and_saveexec_b32 s77, s78
	s_delay_alu instid0(SALU_CYCLE_1)
	s_xor_b32 s77, exec_lo, s77
	s_cbranch_execz .LBB23_58
; %bb.54:                               ;   in Loop: Header=BB23_12 Depth=3
	v_lshlrev_b64 v[21:22], 3, v[21:22]
	s_delay_alu instid0(VALU_DEP_1) | instskip(NEXT) | instid1(VALU_DEP_2)
	v_add_co_u32 v23, vcc_lo, s14, v21
	v_add_co_ci_u32_e32 v24, vcc_lo, s15, v22, vcc_lo
	s_and_not1_b32 vcc_lo, exec_lo, s58
	global_store_b64 v[23:24], v[19:20], off
	s_cbranch_vccnz .LBB23_58
; %bb.55:                               ;   in Loop: Header=BB23_12 Depth=3
	v_add_co_u32 v21, vcc_lo, s30, v21
	v_add_co_ci_u32_e32 v22, vcc_lo, s31, v22, vcc_lo
	global_load_b64 v[21:22], v[21:22], off
	s_waitcnt vmcnt(0)
	v_add_f64 v[19:20], v[21:22], -v[19:20]
	s_delay_alu instid0(VALU_DEP_1) | instskip(NEXT) | instid1(VALU_DEP_1)
	v_cmp_class_f64_e64 s79, v[19:20], 0x1f8
	s_and_saveexec_b32 s78, s79
; %bb.56:                               ;   in Loop: Header=BB23_12 Depth=3
	v_cmp_lt_f64_e64 vcc_lo, v[3:4], |v[19:20]|
	v_and_b32_e32 v9, 0x7fffffff, v20
	s_delay_alu instid0(VALU_DEP_1)
	v_dual_cndmask_b32 v4, v4, v9 :: v_dual_cndmask_b32 v3, v3, v19
; %bb.57:                               ;   in Loop: Header=BB23_12 Depth=3
	s_or_b32 exec_lo, exec_lo, s78
.LBB23_58:                              ;   in Loop: Header=BB23_12 Depth=3
	s_delay_alu instid0(SALU_CYCLE_1)
	s_or_b32 exec_lo, exec_lo, s77
.LBB23_59:                              ;   in Loop: Header=BB23_12 Depth=3
	s_delay_alu instid0(SALU_CYCLE_1)
	s_or_b32 exec_lo, exec_lo, s76
.LBB23_60:                              ;   in Loop: Header=BB23_12 Depth=3
	s_delay_alu instid0(SALU_CYCLE_1) | instskip(NEXT) | instid1(SALU_CYCLE_1)
	s_or_b32 exec_lo, exec_lo, s12
	s_or_b32 exec_lo, exec_lo, s75
	s_and_b32 s74, s74, s33
	s_delay_alu instid0(SALU_CYCLE_1)
	s_and_saveexec_b32 s12, s74
	s_cbranch_execz .LBB23_11
.LBB23_61:                              ;   in Loop: Header=BB23_12 Depth=3
	s_mov_b32 s74, exec_lo
	v_cmpx_ge_i32_e64 v18, v40
	s_xor_b32 s74, exec_lo, s74
	s_cbranch_execnz .LBB23_67
; %bb.62:                               ;   in Loop: Header=BB23_12 Depth=3
	s_and_not1_saveexec_b32 s74, s74
	s_cbranch_execnz .LBB23_76
.LBB23_63:                              ;   in Loop: Header=BB23_12 Depth=3
	s_or_b32 exec_lo, exec_lo, s74
	s_delay_alu instid0(SALU_CYCLE_1)
	s_mov_b32 s74, exec_lo
	v_cmpx_eq_u32_e64 v7, v11
	s_cbranch_execz .LBB23_65
.LBB23_64:                              ;   in Loop: Header=BB23_12 Depth=3
	v_lshlrev_b64 v[11:12], 3, v[11:12]
	s_delay_alu instid0(VALU_DEP_1) | instskip(NEXT) | instid1(VALU_DEP_2)
	v_add_co_u32 v11, vcc_lo, s52, v11
	v_add_co_ci_u32_e32 v12, vcc_lo, s53, v12, vcc_lo
	global_load_b64 v[11:12], v[11:12], off
	s_waitcnt vmcnt(0)
	v_add_f64 v[13:14], v[13:14], v[11:12]
.LBB23_65:                              ;   in Loop: Header=BB23_12 Depth=3
	s_or_b32 exec_lo, exec_lo, s74
	s_delay_alu instid0(VALU_DEP_1) | instskip(NEXT) | instid1(VALU_DEP_1)
	v_add_f64 v[11:12], v[15:16], -v[13:14]
	v_cmp_class_f64_e64 s75, v[11:12], 0x1f8
	s_delay_alu instid0(VALU_DEP_1)
	s_and_saveexec_b32 s74, s75
	s_cbranch_execz .LBB23_10
; %bb.66:                               ;   in Loop: Header=BB23_12 Depth=3
	v_cmp_lt_f64_e64 vcc_lo, v[1:2], |v[11:12]|
	v_and_b32_e32 v5, 0x7fffffff, v12
	s_delay_alu instid0(VALU_DEP_1)
	v_dual_cndmask_b32 v2, v2, v5 :: v_dual_cndmask_b32 v1, v1, v11
	s_branch .LBB23_10
.LBB23_67:                              ;   in Loop: Header=BB23_12 Depth=3
	s_mov_b32 s75, exec_lo
	v_cmpx_lt_i32_e64 v5, v35
	s_cbranch_execz .LBB23_75
; %bb.68:                               ;   in Loop: Header=BB23_12 Depth=3
	s_mov_b32 s76, 0
                                        ; implicit-def: $sgpr77
                                        ; implicit-def: $sgpr79
                                        ; implicit-def: $sgpr78
	s_set_inst_prefetch_distance 0x1
	s_branch .LBB23_70
	.p2align	6
.LBB23_69:                              ;   in Loop: Header=BB23_70 Depth=4
	s_or_b32 exec_lo, exec_lo, s80
	s_delay_alu instid0(SALU_CYCLE_1) | instskip(NEXT) | instid1(SALU_CYCLE_1)
	s_and_b32 s80, exec_lo, s79
	s_or_b32 s76, s80, s76
	s_and_not1_b32 s77, s77, exec_lo
	s_and_b32 s80, s78, exec_lo
	s_delay_alu instid0(SALU_CYCLE_1)
	s_or_b32 s77, s77, s80
	s_and_not1_b32 exec_lo, exec_lo, s76
	s_cbranch_execz .LBB23_72
.LBB23_70:                              ;   Parent Loop BB23_3 Depth=1
                                        ;     Parent Loop BB23_7 Depth=2
                                        ;       Parent Loop BB23_12 Depth=3
                                        ; =>      This Inner Loop Header: Depth=4
	v_add_nc_u32_e32 v17, v10, v5
	s_or_b32 s78, s78, exec_lo
	s_or_b32 s79, s79, exec_lo
	s_mov_b32 s80, exec_lo
	s_delay_alu instid0(VALU_DEP_1) | instskip(NEXT) | instid1(VALU_DEP_1)
	v_ashrrev_i32_e32 v18, 31, v17
	v_lshlrev_b64 v[19:20], 2, v[17:18]
	s_delay_alu instid0(VALU_DEP_1) | instskip(NEXT) | instid1(VALU_DEP_2)
	v_add_co_u32 v19, vcc_lo, s28, v19
	v_add_co_ci_u32_e32 v20, vcc_lo, s29, v20, vcc_lo
	global_load_b32 v9, v[19:20], off
	s_waitcnt vmcnt(0)
	v_subrev_nc_u32_e32 v9, s64, v9
	s_delay_alu instid0(VALU_DEP_1)
	v_cmpx_ne_u32_e64 v9, v11
	s_cbranch_execz .LBB23_69
; %bb.71:                               ;   in Loop: Header=BB23_70 Depth=4
	v_add_nc_u32_e32 v5, 1, v5
	s_and_not1_b32 s79, s79, exec_lo
	s_and_not1_b32 s78, s78, exec_lo
	s_delay_alu instid0(VALU_DEP_1) | instskip(SKIP_1) | instid1(SALU_CYCLE_1)
	v_cmp_ge_i32_e32 vcc_lo, v5, v35
	s_and_b32 s81, vcc_lo, exec_lo
	s_or_b32 s79, s79, s81
	s_branch .LBB23_69
.LBB23_72:                              ;   in Loop: Header=BB23_12 Depth=3
	s_set_inst_prefetch_distance 0x2
	s_or_b32 exec_lo, exec_lo, s76
	s_and_saveexec_b32 s76, s77
	s_delay_alu instid0(SALU_CYCLE_1)
	s_xor_b32 s76, exec_lo, s76
	s_cbranch_execz .LBB23_74
; %bb.73:                               ;   in Loop: Header=BB23_12 Depth=3
	v_lshlrev_b64 v[17:18], 3, v[17:18]
	v_lshlrev_b64 v[19:20], 3, v[11:12]
	s_delay_alu instid0(VALU_DEP_2) | instskip(NEXT) | instid1(VALU_DEP_3)
	v_add_co_u32 v17, vcc_lo, s30, v17
	v_add_co_ci_u32_e32 v18, vcc_lo, s31, v18, vcc_lo
	s_delay_alu instid0(VALU_DEP_3) | instskip(NEXT) | instid1(VALU_DEP_4)
	v_add_co_u32 v19, vcc_lo, s52, v19
	v_add_co_ci_u32_e32 v20, vcc_lo, s53, v20, vcc_lo
	global_load_b64 v[17:18], v[17:18], off
	global_load_b64 v[19:20], v[19:20], off
	s_waitcnt vmcnt(0)
	v_fma_f64 v[13:14], v[17:18], v[19:20], v[13:14]
.LBB23_74:                              ;   in Loop: Header=BB23_12 Depth=3
	s_or_b32 exec_lo, exec_lo, s76
.LBB23_75:                              ;   in Loop: Header=BB23_12 Depth=3
	s_delay_alu instid0(SALU_CYCLE_1)
	s_or_b32 exec_lo, exec_lo, s75
                                        ; implicit-def: $vgpr18
                                        ; implicit-def: $vgpr17
                                        ; implicit-def: $vgpr40
	s_and_not1_saveexec_b32 s74, s74
	s_cbranch_execz .LBB23_63
.LBB23_76:                              ;   in Loop: Header=BB23_12 Depth=3
	s_mov_b32 s75, 0
                                        ; implicit-def: $sgpr76
                                        ; implicit-def: $sgpr78
                                        ; implicit-def: $sgpr77
	s_set_inst_prefetch_distance 0x1
	s_branch .LBB23_78
	.p2align	6
.LBB23_77:                              ;   in Loop: Header=BB23_78 Depth=4
	s_or_b32 exec_lo, exec_lo, s79
	s_delay_alu instid0(SALU_CYCLE_1) | instskip(NEXT) | instid1(SALU_CYCLE_1)
	s_and_b32 s79, exec_lo, s78
	s_or_b32 s75, s79, s75
	s_and_not1_b32 s76, s76, exec_lo
	s_and_b32 s79, s77, exec_lo
	s_delay_alu instid0(SALU_CYCLE_1)
	s_or_b32 s76, s76, s79
	s_and_not1_b32 exec_lo, exec_lo, s75
	s_cbranch_execz .LBB23_80
.LBB23_78:                              ;   Parent Loop BB23_3 Depth=1
                                        ;     Parent Loop BB23_7 Depth=2
                                        ;       Parent Loop BB23_12 Depth=3
                                        ; =>      This Inner Loop Header: Depth=4
	v_add_nc_u32_e32 v19, v17, v18
	s_or_b32 s77, s77, exec_lo
	s_or_b32 s78, s78, exec_lo
	s_mov_b32 s79, exec_lo
	s_delay_alu instid0(VALU_DEP_1) | instskip(NEXT) | instid1(VALU_DEP_1)
	v_ashrrev_i32_e32 v20, 31, v19
	v_lshlrev_b64 v[21:22], 2, v[19:20]
	s_delay_alu instid0(VALU_DEP_1) | instskip(NEXT) | instid1(VALU_DEP_2)
	v_add_co_u32 v21, vcc_lo, s20, v21
	v_add_co_ci_u32_e32 v22, vcc_lo, s21, v22, vcc_lo
	global_load_b32 v5, v[21:22], off
	s_waitcnt vmcnt(0)
	v_subrev_nc_u32_e32 v5, s65, v5
	s_delay_alu instid0(VALU_DEP_1)
	v_cmpx_ne_u32_e64 v5, v7
	s_cbranch_execz .LBB23_77
; %bb.79:                               ;   in Loop: Header=BB23_78 Depth=4
	v_add_nc_u32_e32 v18, 1, v18
	s_and_not1_b32 s78, s78, exec_lo
	s_and_not1_b32 s77, s77, exec_lo
	s_delay_alu instid0(VALU_DEP_1) | instskip(SKIP_1) | instid1(SALU_CYCLE_1)
	v_cmp_ge_i32_e32 vcc_lo, v18, v40
	s_and_b32 s80, vcc_lo, exec_lo
	s_or_b32 s78, s78, s80
	s_branch .LBB23_77
.LBB23_80:                              ;   in Loop: Header=BB23_12 Depth=3
	s_set_inst_prefetch_distance 0x2
	s_or_b32 exec_lo, exec_lo, s75
	s_and_saveexec_b32 s75, s76
	s_delay_alu instid0(SALU_CYCLE_1)
	s_xor_b32 s75, exec_lo, s75
	s_cbranch_execz .LBB23_82
; %bb.81:                               ;   in Loop: Header=BB23_12 Depth=3
	v_lshlrev_b64 v[17:18], 3, v[19:20]
	s_delay_alu instid0(VALU_DEP_1) | instskip(NEXT) | instid1(VALU_DEP_2)
	v_add_co_u32 v17, vcc_lo, s22, v17
	v_add_co_ci_u32_e32 v18, vcc_lo, s23, v18, vcc_lo
	global_load_b64 v[17:18], v[17:18], off
	s_waitcnt vmcnt(0)
	v_add_f64 v[13:14], v[13:14], v[17:18]
.LBB23_82:                              ;   in Loop: Header=BB23_12 Depth=3
	s_or_b32 exec_lo, exec_lo, s75
	s_delay_alu instid0(SALU_CYCLE_1) | instskip(NEXT) | instid1(SALU_CYCLE_1)
	s_or_b32 exec_lo, exec_lo, s74
	s_mov_b32 s74, exec_lo
	v_cmpx_eq_u32_e64 v7, v11
	s_cbranch_execnz .LBB23_64
	s_branch .LBB23_65
.LBB23_83:                              ;   in Loop: Header=BB23_3 Depth=1
	v_xor_b32_e32 v9, 2, v27
	v_xor_b32_e32 v5, 1, v27
	s_and_b32 vcc_lo, exec_lo, s58
	s_cbranch_vccnz .LBB23_86
; %bb.84:                               ;   in Loop: Header=BB23_3 Depth=1
	s_and_not1_b32 vcc_lo, exec_lo, s33
	s_cbranch_vccz .LBB23_105
.LBB23_85:                              ;   in Loop: Header=BB23_3 Depth=1
	s_and_saveexec_b32 s12, s7
	s_cbranch_execnz .LBB23_124
	s_branch .LBB23_135
.LBB23_86:                              ;   in Loop: Header=BB23_3 Depth=1
	s_delay_alu instid0(VALU_DEP_2) | instskip(NEXT) | instid1(VALU_DEP_2)
	v_cmp_gt_i32_e32 vcc_lo, 32, v9
	v_cmp_gt_i32_e64 s11, 32, v5
	s_delay_alu instid0(VALU_DEP_1) | instskip(NEXT) | instid1(VALU_DEP_1)
	v_cndmask_b32_e64 v10, v27, v5, s11
	v_dual_cndmask_b32 v7, v27, v9 :: v_dual_lshlrev_b32 v10, 2, v10
	s_delay_alu instid0(VALU_DEP_1)
	v_lshlrev_b32_e32 v8, 2, v7
	ds_bpermute_b32 v7, v8, v3
	ds_bpermute_b32 v8, v8, v4
	s_waitcnt lgkmcnt(0)
	v_cmp_lt_f64_e32 vcc_lo, v[3:4], v[7:8]
	v_dual_cndmask_b32 v4, v4, v8 :: v_dual_cndmask_b32 v3, v3, v7
	ds_bpermute_b32 v8, v10, v4
	ds_bpermute_b32 v7, v10, v3
	s_and_saveexec_b32 s11, s0
	s_cbranch_execz .LBB23_88
; %bb.87:                               ;   in Loop: Header=BB23_3 Depth=1
	s_waitcnt lgkmcnt(0)
	v_cmp_lt_f64_e32 vcc_lo, v[3:4], v[7:8]
	v_dual_cndmask_b32 v4, v4, v8 :: v_dual_cndmask_b32 v3, v3, v7
	ds_store_b64 v30, v[3:4]
.LBB23_88:                              ;   in Loop: Header=BB23_3 Depth=1
	s_or_b32 exec_lo, exec_lo, s11
	s_waitcnt lgkmcnt(0)
	s_waitcnt_vscnt null, 0x0
	s_barrier
	buffer_gl0_inv
	s_and_saveexec_b32 s11, s1
	s_cbranch_execz .LBB23_90
; %bb.89:                               ;   in Loop: Header=BB23_3 Depth=1
	ds_load_2addr_stride64_b64 v[10:13], v28 offset1:2
	s_waitcnt lgkmcnt(0)
	v_cmp_lt_f64_e32 vcc_lo, v[10:11], v[12:13]
	v_dual_cndmask_b32 v4, v11, v13 :: v_dual_cndmask_b32 v3, v10, v12
	ds_store_b64 v28, v[3:4]
.LBB23_90:                              ;   in Loop: Header=BB23_3 Depth=1
	s_or_b32 exec_lo, exec_lo, s11
	s_waitcnt lgkmcnt(0)
	s_barrier
	buffer_gl0_inv
	s_and_saveexec_b32 s11, s2
	s_cbranch_execz .LBB23_92
; %bb.91:                               ;   in Loop: Header=BB23_3 Depth=1
	ds_load_2addr_stride64_b64 v[10:13], v28 offset1:1
	s_waitcnt lgkmcnt(0)
	v_cmp_lt_f64_e32 vcc_lo, v[10:11], v[12:13]
	v_dual_cndmask_b32 v4, v11, v13 :: v_dual_cndmask_b32 v3, v10, v12
	ds_store_b64 v28, v[3:4]
.LBB23_92:                              ;   in Loop: Header=BB23_3 Depth=1
	s_or_b32 exec_lo, exec_lo, s11
	s_waitcnt lgkmcnt(0)
	s_barrier
	buffer_gl0_inv
	s_and_saveexec_b32 s11, s3
	s_cbranch_execz .LBB23_94
; %bb.93:                               ;   in Loop: Header=BB23_3 Depth=1
	ds_load_2addr_b64 v[10:13], v28 offset1:32
	s_waitcnt lgkmcnt(0)
	v_cmp_lt_f64_e32 vcc_lo, v[10:11], v[12:13]
	v_dual_cndmask_b32 v4, v11, v13 :: v_dual_cndmask_b32 v3, v10, v12
	ds_store_b64 v28, v[3:4]
.LBB23_94:                              ;   in Loop: Header=BB23_3 Depth=1
	s_or_b32 exec_lo, exec_lo, s11
	s_waitcnt lgkmcnt(0)
	s_barrier
	buffer_gl0_inv
	s_and_saveexec_b32 s11, s4
	s_cbranch_execz .LBB23_96
; %bb.95:                               ;   in Loop: Header=BB23_3 Depth=1
	ds_load_2addr_b64 v[10:13], v28 offset1:16
	s_waitcnt lgkmcnt(0)
	v_cmp_lt_f64_e32 vcc_lo, v[10:11], v[12:13]
	v_dual_cndmask_b32 v4, v11, v13 :: v_dual_cndmask_b32 v3, v10, v12
	ds_store_b64 v28, v[3:4]
.LBB23_96:                              ;   in Loop: Header=BB23_3 Depth=1
	;; [unrolled: 13-line block ×3, first 2 shown]
	s_or_b32 exec_lo, exec_lo, s11
	s_waitcnt lgkmcnt(0)
	s_barrier
	buffer_gl0_inv
	s_and_saveexec_b32 s11, s6
	s_cbranch_execz .LBB23_100
; %bb.99:                               ;   in Loop: Header=BB23_3 Depth=1
	ds_load_2addr_b64 v[10:13], v28 offset1:4
	s_waitcnt lgkmcnt(0)
	v_cmp_lt_f64_e32 vcc_lo, v[10:11], v[12:13]
	v_dual_cndmask_b32 v4, v11, v13 :: v_dual_cndmask_b32 v3, v10, v12
	ds_store_b64 v28, v[3:4]
.LBB23_100:                             ;   in Loop: Header=BB23_3 Depth=1
	s_or_b32 exec_lo, exec_lo, s11
	s_waitcnt lgkmcnt(0)
	s_barrier
	buffer_gl0_inv
	s_and_saveexec_b32 s11, s8
	s_cbranch_execz .LBB23_102
; %bb.101:                              ;   in Loop: Header=BB23_3 Depth=1
	ds_load_2addr_b64 v[10:13], v28 offset1:2
	s_waitcnt lgkmcnt(0)
	v_cmp_lt_f64_e32 vcc_lo, v[10:11], v[12:13]
	v_dual_cndmask_b32 v4, v11, v13 :: v_dual_cndmask_b32 v3, v10, v12
	ds_store_b64 v28, v[3:4]
.LBB23_102:                             ;   in Loop: Header=BB23_3 Depth=1
	s_or_b32 exec_lo, exec_lo, s11
	s_waitcnt lgkmcnt(0)
	s_barrier
	buffer_gl0_inv
	s_and_saveexec_b32 s11, s9
	s_cbranch_execz .LBB23_104
; %bb.103:                              ;   in Loop: Header=BB23_3 Depth=1
	ds_load_b128 v[10:13], v6
	s_waitcnt lgkmcnt(0)
	v_cmp_lt_f64_e32 vcc_lo, v[10:11], v[12:13]
	v_dual_cndmask_b32 v4, v11, v13 :: v_dual_cndmask_b32 v3, v10, v12
	ds_store_b64 v6, v[3:4]
.LBB23_104:                             ;   in Loop: Header=BB23_3 Depth=1
	s_or_b32 exec_lo, exec_lo, s11
	s_waitcnt lgkmcnt(0)
	s_barrier
	buffer_gl0_inv
	ds_load_b64 v[3:4], v6
	s_load_b64 s[70:71], s[56:57], 0x0
	s_waitcnt lgkmcnt(0)
	v_div_scale_f64 v[7:8], null, s[70:71], s[70:71], v[3:4]
	s_delay_alu instid0(VALU_DEP_1) | instskip(SKIP_2) | instid1(VALU_DEP_1)
	v_rcp_f64_e32 v[10:11], v[7:8]
	s_waitcnt_depctr 0xfff
	v_fma_f64 v[12:13], -v[7:8], v[10:11], 1.0
	v_fma_f64 v[10:11], v[10:11], v[12:13], v[10:11]
	s_delay_alu instid0(VALU_DEP_1) | instskip(NEXT) | instid1(VALU_DEP_1)
	v_fma_f64 v[12:13], -v[7:8], v[10:11], 1.0
	v_fma_f64 v[10:11], v[10:11], v[12:13], v[10:11]
	v_div_scale_f64 v[12:13], vcc_lo, v[3:4], s[70:71], v[3:4]
	s_delay_alu instid0(VALU_DEP_1) | instskip(NEXT) | instid1(VALU_DEP_1)
	v_mul_f64 v[14:15], v[12:13], v[10:11]
	v_fma_f64 v[7:8], -v[7:8], v[14:15], v[12:13]
	s_delay_alu instid0(VALU_DEP_1) | instskip(NEXT) | instid1(VALU_DEP_1)
	v_div_fmas_f64 v[7:8], v[7:8], v[10:11], v[14:15]
	v_div_fixup_f64 v[3:4], v[7:8], s[70:71], v[3:4]
	s_and_not1_b32 vcc_lo, exec_lo, s33
	s_cbranch_vccnz .LBB23_85
.LBB23_105:                             ;   in Loop: Header=BB23_3 Depth=1
	v_cmp_gt_i32_e32 vcc_lo, 32, v9
	v_cmp_gt_i32_e64 s11, 32, v5
	v_cndmask_b32_e32 v7, v27, v9, vcc_lo
	s_delay_alu instid0(VALU_DEP_2) | instskip(NEXT) | instid1(VALU_DEP_2)
	v_cndmask_b32_e64 v5, v27, v5, s11
	v_lshlrev_b32_e32 v8, 2, v7
	s_delay_alu instid0(VALU_DEP_2)
	v_lshlrev_b32_e32 v5, 2, v5
	ds_bpermute_b32 v7, v8, v1
	ds_bpermute_b32 v8, v8, v2
	s_waitcnt lgkmcnt(0)
	v_cmp_lt_f64_e32 vcc_lo, v[1:2], v[7:8]
	v_dual_cndmask_b32 v2, v2, v8 :: v_dual_cndmask_b32 v1, v1, v7
	ds_bpermute_b32 v8, v5, v2
	ds_bpermute_b32 v7, v5, v1
	s_and_saveexec_b32 s11, s0
	s_cbranch_execz .LBB23_107
; %bb.106:                              ;   in Loop: Header=BB23_3 Depth=1
	s_waitcnt lgkmcnt(0)
	v_cmp_lt_f64_e32 vcc_lo, v[1:2], v[7:8]
	v_dual_cndmask_b32 v2, v2, v8 :: v_dual_cndmask_b32 v1, v1, v7
	ds_store_b64 v30, v[1:2]
.LBB23_107:                             ;   in Loop: Header=BB23_3 Depth=1
	s_or_b32 exec_lo, exec_lo, s11
	s_waitcnt lgkmcnt(0)
	s_waitcnt_vscnt null, 0x0
	s_barrier
	buffer_gl0_inv
	s_and_saveexec_b32 s11, s1
	s_cbranch_execz .LBB23_109
; %bb.108:                              ;   in Loop: Header=BB23_3 Depth=1
	ds_load_2addr_stride64_b64 v[7:10], v28 offset1:2
	s_waitcnt lgkmcnt(0)
	v_cmp_lt_f64_e32 vcc_lo, v[7:8], v[9:10]
	v_dual_cndmask_b32 v2, v8, v10 :: v_dual_cndmask_b32 v1, v7, v9
	ds_store_b64 v28, v[1:2]
.LBB23_109:                             ;   in Loop: Header=BB23_3 Depth=1
	s_or_b32 exec_lo, exec_lo, s11
	s_waitcnt lgkmcnt(0)
	s_barrier
	buffer_gl0_inv
	s_and_saveexec_b32 s11, s2
	s_cbranch_execz .LBB23_111
; %bb.110:                              ;   in Loop: Header=BB23_3 Depth=1
	ds_load_2addr_stride64_b64 v[7:10], v28 offset1:1
	s_waitcnt lgkmcnt(0)
	v_cmp_lt_f64_e32 vcc_lo, v[7:8], v[9:10]
	v_dual_cndmask_b32 v2, v8, v10 :: v_dual_cndmask_b32 v1, v7, v9
	ds_store_b64 v28, v[1:2]
.LBB23_111:                             ;   in Loop: Header=BB23_3 Depth=1
	s_or_b32 exec_lo, exec_lo, s11
	s_waitcnt lgkmcnt(0)
	s_barrier
	buffer_gl0_inv
	s_and_saveexec_b32 s11, s3
	s_cbranch_execz .LBB23_113
; %bb.112:                              ;   in Loop: Header=BB23_3 Depth=1
	ds_load_2addr_b64 v[7:10], v28 offset1:32
	s_waitcnt lgkmcnt(0)
	v_cmp_lt_f64_e32 vcc_lo, v[7:8], v[9:10]
	v_dual_cndmask_b32 v2, v8, v10 :: v_dual_cndmask_b32 v1, v7, v9
	ds_store_b64 v28, v[1:2]
.LBB23_113:                             ;   in Loop: Header=BB23_3 Depth=1
	s_or_b32 exec_lo, exec_lo, s11
	s_waitcnt lgkmcnt(0)
	s_barrier
	buffer_gl0_inv
	s_and_saveexec_b32 s11, s4
	s_cbranch_execz .LBB23_115
; %bb.114:                              ;   in Loop: Header=BB23_3 Depth=1
	ds_load_2addr_b64 v[7:10], v28 offset1:16
	s_waitcnt lgkmcnt(0)
	v_cmp_lt_f64_e32 vcc_lo, v[7:8], v[9:10]
	v_dual_cndmask_b32 v2, v8, v10 :: v_dual_cndmask_b32 v1, v7, v9
	ds_store_b64 v28, v[1:2]
.LBB23_115:                             ;   in Loop: Header=BB23_3 Depth=1
	;; [unrolled: 13-line block ×5, first 2 shown]
	s_or_b32 exec_lo, exec_lo, s11
	s_waitcnt lgkmcnt(0)
	s_barrier
	buffer_gl0_inv
	s_and_saveexec_b32 s11, s9
	s_cbranch_execz .LBB23_123
; %bb.122:                              ;   in Loop: Header=BB23_3 Depth=1
	ds_load_b128 v[7:10], v6
	s_waitcnt lgkmcnt(0)
	v_cmp_lt_f64_e32 vcc_lo, v[7:8], v[9:10]
	v_dual_cndmask_b32 v2, v8, v10 :: v_dual_cndmask_b32 v1, v7, v9
	ds_store_b64 v6, v[1:2]
.LBB23_123:                             ;   in Loop: Header=BB23_3 Depth=1
	s_or_b32 exec_lo, exec_lo, s11
	s_waitcnt lgkmcnt(0)
	s_barrier
	buffer_gl0_inv
	ds_load_b64 v[1:2], v6
	s_load_b64 s[70:71], s[56:57], 0x0
	s_waitcnt lgkmcnt(0)
	v_div_scale_f64 v[7:8], null, s[70:71], s[70:71], v[1:2]
	s_delay_alu instid0(VALU_DEP_1) | instskip(SKIP_2) | instid1(VALU_DEP_1)
	v_rcp_f64_e32 v[9:10], v[7:8]
	s_waitcnt_depctr 0xfff
	v_fma_f64 v[11:12], -v[7:8], v[9:10], 1.0
	v_fma_f64 v[9:10], v[9:10], v[11:12], v[9:10]
	s_delay_alu instid0(VALU_DEP_1) | instskip(NEXT) | instid1(VALU_DEP_1)
	v_fma_f64 v[11:12], -v[7:8], v[9:10], 1.0
	v_fma_f64 v[9:10], v[9:10], v[11:12], v[9:10]
	v_div_scale_f64 v[11:12], vcc_lo, v[1:2], s[70:71], v[1:2]
	s_delay_alu instid0(VALU_DEP_1) | instskip(NEXT) | instid1(VALU_DEP_1)
	v_mul_f64 v[13:14], v[11:12], v[9:10]
	v_fma_f64 v[7:8], -v[7:8], v[13:14], v[11:12]
	s_delay_alu instid0(VALU_DEP_1) | instskip(NEXT) | instid1(VALU_DEP_1)
	v_div_fmas_f64 v[7:8], v[7:8], v[9:10], v[13:14]
	v_div_fixup_f64 v[1:2], v[7:8], s[70:71], v[1:2]
	s_and_saveexec_b32 s12, s7
	s_cbranch_execz .LBB23_135
.LBB23_124:                             ;   in Loop: Header=BB23_3 Depth=1
	v_mov_b32_e32 v7, v29
	s_mov_b32 s70, 0
	s_branch .LBB23_126
.LBB23_125:                             ;   in Loop: Header=BB23_126 Depth=2
	s_or_b32 exec_lo, exec_lo, s71
	v_add_nc_u32_e32 v7, 0x100, v7
	s_delay_alu instid0(VALU_DEP_1) | instskip(SKIP_1) | instid1(SALU_CYCLE_1)
	v_cmp_le_u32_e32 vcc_lo, s66, v7
	s_or_b32 s70, vcc_lo, s70
	s_and_not1_b32 exec_lo, exec_lo, s70
	s_cbranch_execz .LBB23_135
.LBB23_126:                             ;   Parent Loop BB23_3 Depth=1
                                        ; =>  This Loop Header: Depth=2
                                        ;       Child Loop BB23_129 Depth 3
                                        ;       Child Loop BB23_132 Depth 3
	s_mov_b32 s71, exec_lo
	s_delay_alu instid0(VALU_DEP_1)
	v_cmpx_gt_i32_e64 s59, v7
	s_cbranch_execz .LBB23_125
; %bb.127:                              ;   in Loop: Header=BB23_126 Depth=2
	v_ashrrev_i32_e32 v8, 31, v7
	s_mov_b32 s72, exec_lo
	s_delay_alu instid0(VALU_DEP_1) | instskip(NEXT) | instid1(VALU_DEP_1)
	v_lshlrev_b64 v[9:10], 2, v[7:8]
	v_add_co_u32 v11, vcc_lo, s24, v9
	s_delay_alu instid0(VALU_DEP_2)
	v_add_co_ci_u32_e32 v12, vcc_lo, s25, v10, vcc_lo
	v_add_co_u32 v13, vcc_lo, s26, v9
	v_add_co_ci_u32_e32 v14, vcc_lo, s27, v10, vcc_lo
	global_load_b32 v5, v[11:12], off
	global_load_b32 v12, v[13:14], off
	s_waitcnt vmcnt(1)
	v_add_nc_u32_e32 v11, v32, v5
	s_waitcnt vmcnt(0)
	v_subrev_nc_u32_e32 v5, s64, v12
	s_delay_alu instid0(VALU_DEP_1)
	v_cmpx_lt_i32_e64 v11, v5
	s_cbranch_execz .LBB23_130
; %bb.128:                              ;   in Loop: Header=BB23_126 Depth=2
	v_ashrrev_i32_e32 v12, 31, v11
	s_mov_b32 s73, 0
	s_delay_alu instid0(VALU_DEP_1) | instskip(NEXT) | instid1(VALU_DEP_1)
	v_lshlrev_b64 v[14:15], 3, v[11:12]
	v_add_co_u32 v12, vcc_lo, s14, v14
	s_delay_alu instid0(VALU_DEP_2)
	v_add_co_ci_u32_e32 v13, vcc_lo, s15, v15, vcc_lo
	v_add_co_u32 v14, vcc_lo, s30, v14
	v_add_co_ci_u32_e32 v15, vcc_lo, s31, v15, vcc_lo
.LBB23_129:                             ;   Parent Loop BB23_3 Depth=1
                                        ;     Parent Loop BB23_126 Depth=2
                                        ; =>    This Inner Loop Header: Depth=3
	global_load_b64 v[16:17], v[12:13], off
	v_add_nc_u32_e32 v11, 4, v11
	v_add_co_u32 v12, vcc_lo, v12, 32
	v_add_co_ci_u32_e32 v13, vcc_lo, 0, v13, vcc_lo
	s_delay_alu instid0(VALU_DEP_3) | instskip(SKIP_4) | instid1(VALU_DEP_1)
	v_cmp_ge_i32_e32 vcc_lo, v11, v5
	s_or_b32 s73, vcc_lo, s73
	s_waitcnt vmcnt(0)
	global_store_b64 v[14:15], v[16:17], off
	v_add_co_u32 v14, s11, v14, 32
	v_add_co_ci_u32_e64 v15, s11, 0, v15, s11
	s_and_not1_b32 exec_lo, exec_lo, s73
	s_cbranch_execnz .LBB23_129
.LBB23_130:                             ;   in Loop: Header=BB23_126 Depth=2
	s_or_b32 exec_lo, exec_lo, s72
	v_add_co_u32 v11, vcc_lo, s16, v9
	v_add_co_ci_u32_e32 v12, vcc_lo, s17, v10, vcc_lo
	v_add_co_u32 v9, vcc_lo, s18, v9
	v_add_co_ci_u32_e32 v10, vcc_lo, s19, v10, vcc_lo
	s_mov_b32 s72, exec_lo
	global_load_b32 v5, v[11:12], off
	global_load_b32 v10, v[9:10], off
	s_waitcnt vmcnt(1)
	v_add_nc_u32_e32 v9, v33, v5
	s_waitcnt vmcnt(0)
	v_subrev_nc_u32_e32 v5, s65, v10
	s_delay_alu instid0(VALU_DEP_1)
	v_cmpx_lt_i32_e64 v9, v5
	s_cbranch_execz .LBB23_133
; %bb.131:                              ;   in Loop: Header=BB23_126 Depth=2
	v_ashrrev_i32_e32 v10, 31, v9
	s_mov_b32 s73, 0
	s_delay_alu instid0(VALU_DEP_1) | instskip(NEXT) | instid1(VALU_DEP_1)
	v_lshlrev_b64 v[12:13], 3, v[9:10]
	v_add_co_u32 v10, vcc_lo, s34, v12
	s_delay_alu instid0(VALU_DEP_2)
	v_add_co_ci_u32_e32 v11, vcc_lo, s35, v13, vcc_lo
	v_add_co_u32 v12, vcc_lo, s22, v12
	v_add_co_ci_u32_e32 v13, vcc_lo, s23, v13, vcc_lo
.LBB23_132:                             ;   Parent Loop BB23_3 Depth=1
                                        ;     Parent Loop BB23_126 Depth=2
                                        ; =>    This Inner Loop Header: Depth=3
	global_load_b64 v[14:15], v[10:11], off
	v_add_nc_u32_e32 v9, 4, v9
	v_add_co_u32 v10, vcc_lo, v10, 32
	v_add_co_ci_u32_e32 v11, vcc_lo, 0, v11, vcc_lo
	s_delay_alu instid0(VALU_DEP_3) | instskip(SKIP_4) | instid1(VALU_DEP_1)
	v_cmp_ge_i32_e32 vcc_lo, v9, v5
	s_or_b32 s73, vcc_lo, s73
	s_waitcnt vmcnt(0)
	global_store_b64 v[12:13], v[14:15], off
	v_add_co_u32 v12, s11, v12, 32
	v_add_co_ci_u32_e64 v13, s11, 0, v13, s11
	s_and_not1_b32 exec_lo, exec_lo, s73
	s_cbranch_execnz .LBB23_132
.LBB23_133:                             ;   in Loop: Header=BB23_126 Depth=2
	s_or_b32 exec_lo, exec_lo, s72
	s_delay_alu instid0(SALU_CYCLE_1)
	s_and_b32 exec_lo, exec_lo, s10
	s_cbranch_execz .LBB23_125
; %bb.134:                              ;   in Loop: Header=BB23_126 Depth=2
	v_lshlrev_b64 v[8:9], 3, v[7:8]
	s_delay_alu instid0(VALU_DEP_1) | instskip(NEXT) | instid1(VALU_DEP_2)
	v_add_co_u32 v10, vcc_lo, s54, v8
	v_add_co_ci_u32_e32 v11, vcc_lo, s55, v9, vcc_lo
	v_add_co_u32 v8, vcc_lo, s52, v8
	v_add_co_ci_u32_e32 v9, vcc_lo, s53, v9, vcc_lo
	global_load_b64 v[10:11], v[10:11], off
	s_waitcnt vmcnt(0)
	global_store_b64 v[8:9], v[10:11], off
	s_branch .LBB23_125
.LBB23_135:                             ;   in Loop: Header=BB23_3 Depth=1
	s_or_b32 exec_lo, exec_lo, s12
	s_mov_b32 s12, -1
	s_and_b32 vcc_lo, exec_lo, s60
	s_mov_b32 s11, -1
	s_cbranch_vccz .LBB23_145
; %bb.136:                              ;   in Loop: Header=BB23_3 Depth=1
	s_and_b32 vcc_lo, exec_lo, s68
                                        ; implicit-def: $sgpr70
	s_cbranch_vccz .LBB23_142
; %bb.137:                              ;   in Loop: Header=BB23_3 Depth=1
	s_and_b32 vcc_lo, exec_lo, s67
                                        ; implicit-def: $sgpr70
	s_cbranch_vccz .LBB23_139
; %bb.138:                              ;   in Loop: Header=BB23_3 Depth=1
	s_delay_alu instid0(VALU_DEP_1)
	v_cmp_ge_f64_e32 vcc_lo, s[50:51], v[1:2]
	s_mov_b32 s11, 0
	s_and_b32 s70, vcc_lo, exec_lo
.LBB23_139:                             ;   in Loop: Header=BB23_3 Depth=1
	s_and_not1_b32 vcc_lo, exec_lo, s11
	s_cbranch_vccnz .LBB23_141
; %bb.140:                              ;   in Loop: Header=BB23_3 Depth=1
	s_delay_alu instid0(VALU_DEP_1) | instskip(SKIP_2) | instid1(SALU_CYCLE_1)
	v_cmp_ge_f64_e32 vcc_lo, s[50:51], v[3:4]
	s_and_not1_b32 s11, s70, exec_lo
	s_and_b32 s70, vcc_lo, exec_lo
	s_or_b32 s70, s11, s70
.LBB23_141:                             ;   in Loop: Header=BB23_3 Depth=1
	s_mov_b32 s11, 0
.LBB23_142:                             ;   in Loop: Header=BB23_3 Depth=1
	s_delay_alu instid0(SALU_CYCLE_1)
	s_and_not1_b32 vcc_lo, exec_lo, s11
	s_cbranch_vccnz .LBB23_144
; %bb.143:                              ;   in Loop: Header=BB23_3 Depth=1
	s_delay_alu instid0(VALU_DEP_1) | instskip(NEXT) | instid1(VALU_DEP_2)
	v_cmp_ge_f64_e32 vcc_lo, s[50:51], v[3:4]
	v_cmp_ge_f64_e64 s11, s[50:51], v[1:2]
	s_and_not1_b32 s70, s70, exec_lo
	s_delay_alu instid0(VALU_DEP_1) | instskip(NEXT) | instid1(SALU_CYCLE_1)
	s_and_b32 s11, vcc_lo, s11
	s_and_b32 s11, s11, exec_lo
	s_delay_alu instid0(SALU_CYCLE_1)
	s_or_b32 s70, s70, s11
.LBB23_144:                             ;   in Loop: Header=BB23_3 Depth=1
	s_delay_alu instid0(SALU_CYCLE_1)
	s_xor_b32 s11, s70, -1
.LBB23_145:                             ;   in Loop: Header=BB23_3 Depth=1
	v_mov_b32_e32 v5, s69
	s_and_saveexec_b32 s70, s11
	s_cbranch_execz .LBB23_2
; %bb.146:                              ;   in Loop: Header=BB23_3 Depth=1
	s_add_i32 s69, s69, 1
	v_mov_b32_e32 v5, s13
	s_cmp_eq_u32 s69, s13
	s_cselect_b32 s11, -1, 0
	s_delay_alu instid0(SALU_CYCLE_1)
	s_or_not1_b32 s12, s11, exec_lo
	s_branch .LBB23_2
.LBB23_147:
	s_or_b32 exec_lo, exec_lo, s61
.LBB23_148:
	s_delay_alu instid0(SALU_CYCLE_1) | instskip(NEXT) | instid1(SALU_CYCLE_1)
	s_or_b32 exec_lo, exec_lo, s62
	s_and_not1_b32 vcc_lo, exec_lo, s60
	s_cbranch_vccnz .LBB23_171
; %bb.149:
	v_xor_b32_e32 v6, 2, v27
	v_xor_b32_e32 v7, 1, v27
	s_mov_b32 s0, exec_lo
	s_delay_alu instid0(VALU_DEP_2) | instskip(SKIP_1) | instid1(VALU_DEP_3)
	v_cmp_gt_i32_e32 vcc_lo, 32, v6
	v_cndmask_b32_e32 v6, v27, v6, vcc_lo
	v_cmp_gt_i32_e32 vcc_lo, 32, v7
	s_delay_alu instid0(VALU_DEP_2)
	v_dual_cndmask_b32 v7, v27, v7 :: v_dual_lshlrev_b32 v6, 2, v6
	ds_bpermute_b32 v6, v6, v5
	s_waitcnt lgkmcnt(0)
	v_max_i32_e32 v5, v5, v6
	v_lshlrev_b32_e32 v6, 2, v7
	ds_bpermute_b32 v6, v6, v5
	v_cmpx_eq_u32_e32 3, v26
	s_cbranch_execz .LBB23_151
; %bb.150:
	v_lshlrev_b32_e32 v7, 2, v25
	s_waitcnt lgkmcnt(0)
	v_max_i32_e32 v5, v5, v6
	ds_store_b32 v7, v5 offset:2048
.LBB23_151:
	s_or_b32 exec_lo, exec_lo, s0
	v_lshlrev_b32_e32 v5, 2, v0
	s_mov_b32 s0, exec_lo
	s_waitcnt lgkmcnt(0)
	s_waitcnt_vscnt null, 0x0
	s_barrier
	buffer_gl0_inv
	v_cmpx_gt_u32_e32 0x80, v0
	s_cbranch_execz .LBB23_153
; %bb.152:
	ds_load_2addr_stride64_b32 v[6:7], v5 offset0:8 offset1:10
	s_waitcnt lgkmcnt(0)
	v_max_i32_e32 v6, v6, v7
	ds_store_b32 v5, v6 offset:2048
.LBB23_153:
	s_or_b32 exec_lo, exec_lo, s0
	s_delay_alu instid0(SALU_CYCLE_1)
	s_mov_b32 s0, exec_lo
	s_waitcnt lgkmcnt(0)
	s_barrier
	buffer_gl0_inv
	v_cmpx_gt_u32_e32 64, v0
	s_cbranch_execz .LBB23_155
; %bb.154:
	ds_load_2addr_stride64_b32 v[6:7], v5 offset0:8 offset1:9
	s_waitcnt lgkmcnt(0)
	v_max_i32_e32 v6, v6, v7
	ds_store_b32 v5, v6 offset:2048
.LBB23_155:
	s_or_b32 exec_lo, exec_lo, s0
	s_delay_alu instid0(SALU_CYCLE_1)
	s_mov_b32 s0, exec_lo
	s_waitcnt lgkmcnt(0)
	s_barrier
	buffer_gl0_inv
	v_cmpx_gt_u32_e32 32, v0
	s_cbranch_execz .LBB23_157
; %bb.156:
	v_add_nc_u32_e32 v6, 0x800, v5
	ds_load_2addr_b32 v[6:7], v6 offset1:32
	s_waitcnt lgkmcnt(0)
	v_max_i32_e32 v6, v6, v7
	ds_store_b32 v5, v6 offset:2048
.LBB23_157:
	s_or_b32 exec_lo, exec_lo, s0
	s_delay_alu instid0(SALU_CYCLE_1)
	s_mov_b32 s0, exec_lo
	s_waitcnt lgkmcnt(0)
	s_barrier
	buffer_gl0_inv
	v_cmpx_gt_u32_e32 16, v0
	s_cbranch_execz .LBB23_159
; %bb.158:
	v_add_nc_u32_e32 v6, 0x800, v5
	ds_load_2addr_b32 v[6:7], v6 offset1:16
	s_waitcnt lgkmcnt(0)
	v_max_i32_e32 v6, v6, v7
	ds_store_b32 v5, v6 offset:2048
.LBB23_159:
	;; [unrolled: 15-line block ×5, first 2 shown]
	s_or_b32 exec_lo, exec_lo, s0
	v_cmp_eq_u32_e32 vcc_lo, 0, v0
	s_waitcnt lgkmcnt(0)
	s_barrier
	buffer_gl0_inv
	s_and_saveexec_b32 s0, vcc_lo
	s_cbranch_execz .LBB23_167
; %bb.166:
	v_mov_b32_e32 v7, 0
	ds_load_b64 v[5:6], v7 offset:2048
	s_waitcnt lgkmcnt(0)
	v_max_i32_e32 v5, v5, v6
	ds_store_b32 v7, v5 offset:2048
.LBB23_167:
	s_or_b32 exec_lo, exec_lo, s0
	s_waitcnt lgkmcnt(0)
	s_barrier
	buffer_gl0_inv
	s_and_saveexec_b32 s0, vcc_lo
	s_cbranch_execz .LBB23_170
; %bb.168:
	v_mbcnt_lo_u32_b32 v5, exec_lo, 0
	s_delay_alu instid0(VALU_DEP_1)
	v_cmp_eq_u32_e32 vcc_lo, 0, v5
	s_and_b32 exec_lo, exec_lo, vcc_lo
	s_cbranch_execz .LBB23_170
; %bb.169:
	v_mov_b32_e32 v5, 0
	ds_load_b32 v6, v5 offset:2048
	s_waitcnt lgkmcnt(0)
	v_add_nc_u32_e32 v6, 1, v6
	global_atomic_max_i32 v5, v6, s[48:49]
.LBB23_170:
	s_or_b32 exec_lo, exec_lo, s0
.LBB23_171:
	v_cmp_eq_u32_e32 vcc_lo, 0, v0
	s_mov_b32 s2, 0
	s_and_b32 s0, vcc_lo, s58
	s_delay_alu instid0(SALU_CYCLE_1)
	s_and_saveexec_b32 s4, s0
	s_cbranch_execz .LBB23_176
; %bb.172:
	v_mov_b32_e32 v0, 0
	s_delay_alu instid0(VALU_DEP_4)
	v_cmp_eq_f64_e64 s0, 0, v[3:4]
	s_brev_b32 s3, 1
                                        ; implicit-def: $sgpr5
	global_load_b64 v[5:6], v0, s[44:45] glc
	s_waitcnt vmcnt(0)
	v_cmp_eq_u64_e64 s6, s[2:3], v[5:6]
                                        ; implicit-def: $sgpr3
	s_set_inst_prefetch_distance 0x1
	s_branch .LBB23_174
	.p2align	6
.LBB23_173:                             ;   in Loop: Header=BB23_174 Depth=1
	s_or_b32 exec_lo, exec_lo, s7
	s_delay_alu instid0(SALU_CYCLE_1) | instskip(NEXT) | instid1(SALU_CYCLE_1)
	s_and_b32 s1, exec_lo, s3
	s_or_b32 s2, s1, s2
	s_and_not1_b32 s1, s6, exec_lo
	s_and_b32 s6, s5, exec_lo
	s_delay_alu instid0(SALU_CYCLE_1)
	s_or_b32 s6, s1, s6
	s_and_not1_b32 exec_lo, exec_lo, s2
	s_cbranch_execz .LBB23_176
.LBB23_174:                             ; =>This Inner Loop Header: Depth=1
	v_cmp_lt_f64_e64 s1, v[5:6], v[3:4]
	s_delay_alu instid0(VALU_DEP_2) | instskip(SKIP_2) | instid1(VALU_DEP_1)
	s_and_b32 s7, s0, s6
	s_and_not1_b32 s5, s5, exec_lo
	s_or_b32 s3, s3, exec_lo
	s_or_b32 s1, s1, s7
	s_delay_alu instid0(SALU_CYCLE_1)
	s_and_saveexec_b32 s7, s1
	s_cbranch_execz .LBB23_173
; %bb.175:                              ;   in Loop: Header=BB23_174 Depth=1
	global_atomic_cmpswap_b64 v[7:8], v0, v[3:6], s[44:45] glc
	s_and_not1_b32 s5, s5, exec_lo
	s_and_not1_b32 s3, s3, exec_lo
	s_waitcnt vmcnt(0)
	v_cmp_eq_u64_e64 s1, v[7:8], v[5:6]
	s_delay_alu instid0(VALU_DEP_1) | instskip(SKIP_2) | instid1(SALU_CYCLE_1)
	v_cndmask_b32_e64 v6, v8, v6, s1
	v_cndmask_b32_e64 v5, v7, v5, s1
	s_and_b32 s1, s1, exec_lo
	s_or_b32 s3, s3, s1
	s_delay_alu instid0(VALU_DEP_1) | instskip(SKIP_1) | instid1(VALU_DEP_2)
	v_cmp_class_f64_e64 s6, v[5:6], 32
	v_dual_mov_b32 v5, v7 :: v_dual_mov_b32 v6, v8
	s_and_b32 s6, s6, exec_lo
	s_delay_alu instid0(SALU_CYCLE_1)
	s_or_b32 s5, s5, s6
                                        ; implicit-def: $sgpr6
	s_branch .LBB23_173
.LBB23_176:
	s_set_inst_prefetch_distance 0x2
	s_or_b32 exec_lo, exec_lo, s4
	s_and_b32 s0, vcc_lo, s33
	s_delay_alu instid0(SALU_CYCLE_1)
	s_and_saveexec_b32 s1, s0
	s_cbranch_execz .LBB23_181
; %bb.177:
	v_mov_b32_e32 v0, 0
	s_delay_alu instid0(VALU_DEP_4)
	v_cmp_eq_f64_e32 vcc_lo, 0, v[1:2]
	s_brev_b32 s3, 1
	s_mov_b32 s2, 0
                                        ; implicit-def: $sgpr1
	global_load_b64 v[3:4], v0, s[46:47] glc
	s_waitcnt vmcnt(0)
	v_cmp_eq_u64_e64 s4, s[2:3], v[3:4]
                                        ; implicit-def: $sgpr3
	s_set_inst_prefetch_distance 0x1
	s_branch .LBB23_179
	.p2align	6
.LBB23_178:                             ;   in Loop: Header=BB23_179 Depth=1
	s_or_b32 exec_lo, exec_lo, s5
	s_delay_alu instid0(SALU_CYCLE_1) | instskip(NEXT) | instid1(SALU_CYCLE_1)
	s_and_b32 s0, exec_lo, s1
	s_or_b32 s2, s0, s2
	s_and_not1_b32 s0, s4, exec_lo
	s_and_b32 s4, s3, exec_lo
	s_delay_alu instid0(SALU_CYCLE_1)
	s_or_b32 s4, s0, s4
	s_and_not1_b32 exec_lo, exec_lo, s2
	s_cbranch_execz .LBB23_181
.LBB23_179:                             ; =>This Inner Loop Header: Depth=1
	v_cmp_lt_f64_e64 s0, v[3:4], v[1:2]
	s_delay_alu instid0(VALU_DEP_2) | instskip(SKIP_2) | instid1(VALU_DEP_1)
	s_and_b32 s5, vcc_lo, s4
	s_and_not1_b32 s3, s3, exec_lo
	s_or_b32 s1, s1, exec_lo
	s_or_b32 s0, s0, s5
	s_delay_alu instid0(SALU_CYCLE_1)
	s_and_saveexec_b32 s5, s0
	s_cbranch_execz .LBB23_178
; %bb.180:                              ;   in Loop: Header=BB23_179 Depth=1
	global_atomic_cmpswap_b64 v[5:6], v0, v[1:4], s[46:47] glc
	s_and_not1_b32 s3, s3, exec_lo
	s_and_not1_b32 s1, s1, exec_lo
	s_waitcnt vmcnt(0)
	v_cmp_eq_u64_e64 s0, v[5:6], v[3:4]
	s_delay_alu instid0(VALU_DEP_1) | instskip(SKIP_2) | instid1(SALU_CYCLE_1)
	v_cndmask_b32_e64 v4, v6, v4, s0
	v_cndmask_b32_e64 v3, v5, v3, s0
	s_and_b32 s0, s0, exec_lo
	s_or_b32 s1, s1, s0
	s_delay_alu instid0(VALU_DEP_1) | instskip(SKIP_1) | instid1(VALU_DEP_2)
	v_cmp_class_f64_e64 s4, v[3:4], 32
	v_dual_mov_b32 v3, v5 :: v_dual_mov_b32 v4, v6
	s_and_b32 s4, s4, exec_lo
	s_delay_alu instid0(SALU_CYCLE_1)
	s_or_b32 s3, s3, s4
                                        ; implicit-def: $sgpr4
	s_branch .LBB23_178
.LBB23_181:
	s_set_inst_prefetch_distance 0x2
	s_nop 0
	s_sendmsg sendmsg(MSG_DEALLOC_VGPRS)
	s_endpgm
	.section	.rodata,"a",@progbits
	.p2align	6, 0x0
	.amdhsa_kernel _ZN9rocsparseL6kernelILi1024ELi4EdiiEEvbbbT3_PS1_NS_15floating_traitsIT1_E6data_tES1_T2_PKS7_S9_PKS1_PKS4_21rocsparse_index_base_S9_S9_SB_PS4_SF_SE_S9_S9_SB_SF_SF_SE_SF_SF_PS6_SG_PKS6_
		.amdhsa_group_segment_fixed_size 3072
		.amdhsa_private_segment_fixed_size 0
		.amdhsa_kernarg_size 208
		.amdhsa_user_sgpr_count 15
		.amdhsa_user_sgpr_dispatch_ptr 0
		.amdhsa_user_sgpr_queue_ptr 0
		.amdhsa_user_sgpr_kernarg_segment_ptr 1
		.amdhsa_user_sgpr_dispatch_id 0
		.amdhsa_user_sgpr_private_segment_size 0
		.amdhsa_wavefront_size32 1
		.amdhsa_uses_dynamic_stack 0
		.amdhsa_enable_private_segment 0
		.amdhsa_system_sgpr_workgroup_id_x 1
		.amdhsa_system_sgpr_workgroup_id_y 0
		.amdhsa_system_sgpr_workgroup_id_z 0
		.amdhsa_system_sgpr_workgroup_info 0
		.amdhsa_system_vgpr_workitem_id 0
		.amdhsa_next_free_vgpr 47
		.amdhsa_next_free_sgpr 84
		.amdhsa_reserve_vcc 1
		.amdhsa_float_round_mode_32 0
		.amdhsa_float_round_mode_16_64 0
		.amdhsa_float_denorm_mode_32 3
		.amdhsa_float_denorm_mode_16_64 3
		.amdhsa_dx10_clamp 1
		.amdhsa_ieee_mode 1
		.amdhsa_fp16_overflow 0
		.amdhsa_workgroup_processor_mode 1
		.amdhsa_memory_ordered 1
		.amdhsa_forward_progress 0
		.amdhsa_shared_vgpr_count 0
		.amdhsa_exception_fp_ieee_invalid_op 0
		.amdhsa_exception_fp_denorm_src 0
		.amdhsa_exception_fp_ieee_div_zero 0
		.amdhsa_exception_fp_ieee_overflow 0
		.amdhsa_exception_fp_ieee_underflow 0
		.amdhsa_exception_fp_ieee_inexact 0
		.amdhsa_exception_int_div_zero 0
	.end_amdhsa_kernel
	.section	.text._ZN9rocsparseL6kernelILi1024ELi4EdiiEEvbbbT3_PS1_NS_15floating_traitsIT1_E6data_tES1_T2_PKS7_S9_PKS1_PKS4_21rocsparse_index_base_S9_S9_SB_PS4_SF_SE_S9_S9_SB_SF_SF_SE_SF_SF_PS6_SG_PKS6_,"axG",@progbits,_ZN9rocsparseL6kernelILi1024ELi4EdiiEEvbbbT3_PS1_NS_15floating_traitsIT1_E6data_tES1_T2_PKS7_S9_PKS1_PKS4_21rocsparse_index_base_S9_S9_SB_PS4_SF_SE_S9_S9_SB_SF_SF_SE_SF_SF_PS6_SG_PKS6_,comdat
.Lfunc_end23:
	.size	_ZN9rocsparseL6kernelILi1024ELi4EdiiEEvbbbT3_PS1_NS_15floating_traitsIT1_E6data_tES1_T2_PKS7_S9_PKS1_PKS4_21rocsparse_index_base_S9_S9_SB_PS4_SF_SE_S9_S9_SB_SF_SF_SE_SF_SF_PS6_SG_PKS6_, .Lfunc_end23-_ZN9rocsparseL6kernelILi1024ELi4EdiiEEvbbbT3_PS1_NS_15floating_traitsIT1_E6data_tES1_T2_PKS7_S9_PKS1_PKS4_21rocsparse_index_base_S9_S9_SB_PS4_SF_SE_S9_S9_SB_SF_SF_SE_SF_SF_PS6_SG_PKS6_
                                        ; -- End function
	.section	.AMDGPU.csdata,"",@progbits
; Kernel info:
; codeLenInByte = 6836
; NumSgprs: 86
; NumVgprs: 47
; ScratchSize: 0
; MemoryBound: 1
; FloatMode: 240
; IeeeMode: 1
; LDSByteSize: 3072 bytes/workgroup (compile time only)
; SGPRBlocks: 10
; VGPRBlocks: 5
; NumSGPRsForWavesPerEU: 86
; NumVGPRsForWavesPerEU: 47
; Occupancy: 16
; WaveLimiterHint : 1
; COMPUTE_PGM_RSRC2:SCRATCH_EN: 0
; COMPUTE_PGM_RSRC2:USER_SGPR: 15
; COMPUTE_PGM_RSRC2:TRAP_HANDLER: 0
; COMPUTE_PGM_RSRC2:TGID_X_EN: 1
; COMPUTE_PGM_RSRC2:TGID_Y_EN: 0
; COMPUTE_PGM_RSRC2:TGID_Z_EN: 0
; COMPUTE_PGM_RSRC2:TIDIG_COMP_CNT: 0
	.section	.text._ZN9rocsparseL6kernelILi1024ELi8EdiiEEvbbbT3_PS1_NS_15floating_traitsIT1_E6data_tES1_T2_PKS7_S9_PKS1_PKS4_21rocsparse_index_base_S9_S9_SB_PS4_SF_SE_S9_S9_SB_SF_SF_SE_SF_SF_PS6_SG_PKS6_,"axG",@progbits,_ZN9rocsparseL6kernelILi1024ELi8EdiiEEvbbbT3_PS1_NS_15floating_traitsIT1_E6data_tES1_T2_PKS7_S9_PKS1_PKS4_21rocsparse_index_base_S9_S9_SB_PS4_SF_SE_S9_S9_SB_SF_SF_SE_SF_SF_PS6_SG_PKS6_,comdat
	.globl	_ZN9rocsparseL6kernelILi1024ELi8EdiiEEvbbbT3_PS1_NS_15floating_traitsIT1_E6data_tES1_T2_PKS7_S9_PKS1_PKS4_21rocsparse_index_base_S9_S9_SB_PS4_SF_SE_S9_S9_SB_SF_SF_SE_SF_SF_PS6_SG_PKS6_ ; -- Begin function _ZN9rocsparseL6kernelILi1024ELi8EdiiEEvbbbT3_PS1_NS_15floating_traitsIT1_E6data_tES1_T2_PKS7_S9_PKS1_PKS4_21rocsparse_index_base_S9_S9_SB_PS4_SF_SE_S9_S9_SB_SF_SF_SE_SF_SF_PS6_SG_PKS6_
	.p2align	8
	.type	_ZN9rocsparseL6kernelILi1024ELi8EdiiEEvbbbT3_PS1_NS_15floating_traitsIT1_E6data_tES1_T2_PKS7_S9_PKS1_PKS4_21rocsparse_index_base_S9_S9_SB_PS4_SF_SE_S9_S9_SB_SF_SF_SE_SF_SF_PS6_SG_PKS6_,@function
_ZN9rocsparseL6kernelILi1024ELi8EdiiEEvbbbT3_PS1_NS_15floating_traitsIT1_E6data_tES1_T2_PKS7_S9_PKS1_PKS4_21rocsparse_index_base_S9_S9_SB_PS4_SF_SE_S9_S9_SB_SF_SF_SE_SF_SF_PS6_SG_PKS6_: ; @_ZN9rocsparseL6kernelILi1024ELi8EdiiEEvbbbT3_PS1_NS_15floating_traitsIT1_E6data_tES1_T2_PKS7_S9_PKS1_PKS4_21rocsparse_index_base_S9_S9_SB_PS4_SF_SE_S9_S9_SB_SF_SF_SE_SF_SF_PS6_SG_PKS6_
; %bb.0:
	s_clause 0x4
	s_load_b32 s2, s[0:1], 0x0
	s_load_b64 s[34:35], s[0:1], 0x0
	s_load_b32 s59, s[0:1], 0x18
	s_load_b128 s[44:47], s[0:1], 0x8
	s_load_b128 s[28:31], s[0:1], 0xb8
	v_dual_mov_b32 v5, 0 :: v_dual_lshlrev_b32 v28, 3, v0
	v_lshrrev_b32_e32 v25, 3, v0
	v_mov_b32_e32 v1, 0
	v_mov_b32_e32 v2, 0
	s_delay_alu instid0(VALU_DEP_4) | instskip(SKIP_2) | instid1(VALU_DEP_4)
	v_mov_b32_e32 v6, v5
	v_and_b32_e32 v26, 7, v0
	v_mbcnt_lo_u32_b32 v27, -1, 0
	v_dual_mov_b32 v4, v2 :: v_dual_mov_b32 v3, v1
	ds_store_b64 v28, v[5:6]
	s_waitcnt lgkmcnt(0)
	s_barrier
	buffer_gl0_inv
	s_bitcmp1_b32 s2, 0
	s_cselect_b32 s60, -1, 0
	s_bitcmp1_b32 s2, 8
	s_cselect_b32 s58, -1, 0
	s_bitcmp1_b32 s34, 16
	s_mov_b32 s34, 0
	s_cselect_b32 s33, -1, 0
	s_lshl_b32 s65, s15, 10
	s_cmp_gt_i32 s35, 0
	v_or_b32_e32 v29, s65, v25
	s_cselect_b32 s2, -1, 0
	s_delay_alu instid0(VALU_DEP_1) | instskip(SKIP_1) | instid1(SALU_CYCLE_1)
	v_cmp_gt_i32_e32 vcc_lo, s59, v29
	s_and_b32 s2, s2, vcc_lo
	s_and_saveexec_b32 s61, s2
	s_cbranch_execz .LBB24_144
; %bb.1:
	s_clause 0x9
	s_load_b32 s62, s[0:1], 0x40
	s_load_b64 s[52:53], s[0:1], 0x68
	s_load_b32 s63, s[0:1], 0x70
	s_load_b64 s[54:55], s[0:1], 0x98
	;; [unrolled: 2-line block ×3, first 2 shown]
	s_load_b128 s[48:51], s[0:1], 0xa8
	s_load_b256 s[12:19], s[0:1], 0x78
	s_load_b256 s[20:27], s[0:1], 0x48
	;; [unrolled: 1-line block ×3, first 2 shown]
	v_dual_mov_b32 v3, 0 :: v_dual_lshlrev_b32 v30, 3, v25
	v_mov_b32_e32 v4, 0
	s_addk_i32 s65, 0x400
	s_delay_alu instid0(VALU_DEP_2)
	v_dual_mov_b32 v6, 0 :: v_dual_mov_b32 v1, v3
	v_cmp_eq_u32_e64 s0, 7, v26
	v_cmp_gt_u32_e64 s1, 64, v0
	v_cmp_gt_u32_e64 s2, 32, v0
	;; [unrolled: 1-line block ×7, first 2 shown]
	s_waitcnt lgkmcnt(0)
	v_subrev_nc_u32_e32 v31, s62, v26
	v_cmp_eq_u32_e64 s8, 0, v0
	v_subrev_nc_u32_e32 v32, s63, v26
	v_subrev_nc_u32_e32 v33, s64, v26
	v_cmp_eq_u32_e64 s9, 0, v26
	v_mov_b32_e32 v2, v4
	s_and_b32 s10, s58, s33
	s_xor_b32 s66, s58, -1
	s_xor_b32 s67, s10, -1
	s_mov_b32 s68, 0
	s_branch .LBB24_3
.LBB24_2:                               ;   in Loop: Header=BB24_3 Depth=1
	s_or_b32 exec_lo, exec_lo, s69
	s_delay_alu instid0(SALU_CYCLE_1) | instskip(NEXT) | instid1(SALU_CYCLE_1)
	s_and_b32 s10, exec_lo, s11
	s_or_b32 s34, s10, s34
	s_delay_alu instid0(SALU_CYCLE_1)
	s_and_not1_b32 exec_lo, exec_lo, s34
	s_cbranch_execz .LBB24_143
.LBB24_3:                               ; =>This Loop Header: Depth=1
                                        ;     Child Loop BB24_7 Depth 2
                                        ;       Child Loop BB24_12 Depth 3
                                        ;         Child Loop BB24_16 Depth 4
                                        ;         Child Loop BB24_37 Depth 4
	;; [unrolled: 1-line block ×5, first 2 shown]
                                        ;     Child Loop BB24_122 Depth 2
                                        ;       Child Loop BB24_125 Depth 3
                                        ;       Child Loop BB24_128 Depth 3
	s_delay_alu instid0(VALU_DEP_2) | instskip(NEXT) | instid1(VALU_DEP_3)
	v_cndmask_b32_e64 v4, v4, 0, s58
	v_cndmask_b32_e64 v3, v3, 0, s58
	s_delay_alu instid0(VALU_DEP_4)
	v_cndmask_b32_e64 v2, v2, 0, s33
	v_cndmask_b32_e64 v1, v1, 0, s33
	s_mov_b32 s69, 0
	s_branch .LBB24_7
.LBB24_4:                               ;   in Loop: Header=BB24_7 Depth=2
	s_or_b32 exec_lo, exec_lo, s72
.LBB24_5:                               ;   in Loop: Header=BB24_7 Depth=2
	s_delay_alu instid0(SALU_CYCLE_1)
	s_or_b32 exec_lo, exec_lo, s71
.LBB24_6:                               ;   in Loop: Header=BB24_7 Depth=2
	s_delay_alu instid0(SALU_CYCLE_1) | instskip(SKIP_1) | instid1(SALU_CYCLE_1)
	s_or_b32 exec_lo, exec_lo, s70
	s_add_i32 s69, s69, 1
	s_cmp_eq_u32 s69, 8
	s_cbranch_scc1 .LBB24_83
.LBB24_7:                               ;   Parent Loop BB24_3 Depth=1
                                        ; =>  This Loop Header: Depth=2
                                        ;       Child Loop BB24_12 Depth 3
                                        ;         Child Loop BB24_16 Depth 4
                                        ;         Child Loop BB24_37 Depth 4
	;; [unrolled: 1-line block ×5, first 2 shown]
	v_lshl_add_u32 v7, s69, 7, v29
	s_mov_b32 s70, exec_lo
	s_delay_alu instid0(VALU_DEP_1)
	v_cmpx_gt_i32_e64 s59, v7
	s_cbranch_execz .LBB24_6
; %bb.8:                                ;   in Loop: Header=BB24_7 Depth=2
	v_ashrrev_i32_e32 v8, 31, v7
	s_mov_b32 s71, exec_lo
	s_delay_alu instid0(VALU_DEP_1) | instskip(NEXT) | instid1(VALU_DEP_1)
	v_lshlrev_b64 v[9:10], 2, v[7:8]
	v_add_co_u32 v11, vcc_lo, s36, v9
	s_delay_alu instid0(VALU_DEP_2)
	v_add_co_ci_u32_e32 v12, vcc_lo, s37, v10, vcc_lo
	v_add_co_u32 v13, vcc_lo, s38, v9
	v_add_co_ci_u32_e32 v14, vcc_lo, s39, v10, vcc_lo
	global_load_b32 v5, v[11:12], off
	global_load_b32 v11, v[13:14], off
	s_waitcnt vmcnt(1)
	v_add_nc_u32_e32 v8, v31, v5
	s_waitcnt vmcnt(0)
	v_subrev_nc_u32_e32 v34, s62, v11
	s_delay_alu instid0(VALU_DEP_1)
	v_cmpx_lt_i32_e64 v8, v34
	s_cbranch_execz .LBB24_5
; %bb.9:                                ;   in Loop: Header=BB24_7 Depth=2
	v_add_co_u32 v11, vcc_lo, s20, v9
	v_add_co_ci_u32_e32 v12, vcc_lo, s21, v10, vcc_lo
	v_add_co_u32 v9, vcc_lo, s22, v9
	v_add_co_ci_u32_e32 v10, vcc_lo, s23, v10, vcc_lo
	global_load_b32 v5, v[11:12], off
	s_mov_b32 s72, 0
	global_load_b32 v9, v[9:10], off
	s_waitcnt vmcnt(1)
	v_subrev_nc_u32_e32 v10, s63, v5
	s_waitcnt vmcnt(0)
	v_sub_nc_u32_e32 v35, v9, v5
	s_delay_alu instid0(VALU_DEP_2) | instskip(NEXT) | instid1(VALU_DEP_2)
	v_ashrrev_i32_e32 v11, 31, v10
	v_cmp_lt_i32_e64 s10, 0, v35
	s_delay_alu instid0(VALU_DEP_2) | instskip(SKIP_1) | instid1(VALU_DEP_2)
	v_lshlrev_b64 v[12:13], 2, v[10:11]
	v_lshlrev_b64 v[14:15], 3, v[10:11]
	v_add_co_u32 v36, vcc_lo, s24, v12
	s_delay_alu instid0(VALU_DEP_3) | instskip(NEXT) | instid1(VALU_DEP_3)
	v_add_co_ci_u32_e32 v37, vcc_lo, s25, v13, vcc_lo
	v_add_co_u32 v38, vcc_lo, s26, v14
	s_delay_alu instid0(VALU_DEP_4)
	v_add_co_ci_u32_e32 v39, vcc_lo, s27, v15, vcc_lo
	s_branch .LBB24_12
.LBB24_10:                              ;   in Loop: Header=BB24_12 Depth=3
	s_or_b32 exec_lo, exec_lo, s73
.LBB24_11:                              ;   in Loop: Header=BB24_12 Depth=3
	s_delay_alu instid0(SALU_CYCLE_1) | instskip(SKIP_1) | instid1(VALU_DEP_1)
	s_or_b32 exec_lo, exec_lo, s11
	v_add_nc_u32_e32 v8, 8, v8
	v_cmp_ge_i32_e32 vcc_lo, v8, v34
	s_or_b32 s72, vcc_lo, s72
	s_delay_alu instid0(SALU_CYCLE_1)
	s_and_not1_b32 exec_lo, exec_lo, s72
	s_cbranch_execz .LBB24_4
.LBB24_12:                              ;   Parent Loop BB24_3 Depth=1
                                        ;     Parent Loop BB24_7 Depth=2
                                        ; =>    This Loop Header: Depth=3
                                        ;         Child Loop BB24_16 Depth 4
                                        ;         Child Loop BB24_37 Depth 4
	;; [unrolled: 1-line block ×5, first 2 shown]
	v_ashrrev_i32_e32 v9, 31, v8
	v_mov_b32_e32 v18, 0
	s_delay_alu instid0(VALU_DEP_2) | instskip(NEXT) | instid1(VALU_DEP_1)
	v_lshlrev_b64 v[11:12], 2, v[8:9]
	v_add_co_u32 v11, vcc_lo, s40, v11
	s_delay_alu instid0(VALU_DEP_2) | instskip(SKIP_3) | instid1(VALU_DEP_1)
	v_add_co_ci_u32_e32 v12, vcc_lo, s41, v12, vcc_lo
	global_load_b32 v5, v[11:12], off
	s_waitcnt vmcnt(0)
	v_subrev_nc_u32_e32 v11, s62, v5
	v_ashrrev_i32_e32 v12, 31, v11
	s_delay_alu instid0(VALU_DEP_1) | instskip(NEXT) | instid1(VALU_DEP_1)
	v_lshlrev_b64 v[13:14], 2, v[11:12]
	v_add_co_u32 v15, vcc_lo, s12, v13
	s_delay_alu instid0(VALU_DEP_2)
	v_add_co_ci_u32_e32 v16, vcc_lo, s13, v14, vcc_lo
	v_add_co_u32 v13, vcc_lo, s14, v13
	v_add_co_ci_u32_e32 v14, vcc_lo, s15, v14, vcc_lo
	global_load_b32 v5, v[15:16], off
	global_load_b32 v15, v[13:14], off
	v_mov_b32_e32 v13, 0
	v_mov_b32_e32 v14, 0
	s_waitcnt vmcnt(1)
	v_subrev_nc_u32_e32 v17, s64, v5
	s_waitcnt vmcnt(0)
	v_sub_nc_u32_e32 v40, v15, v5
	v_mov_b32_e32 v5, 0
	s_and_saveexec_b32 s73, s10
	s_cbranch_execz .LBB24_20
; %bb.13:                               ;   in Loop: Header=BB24_12 Depth=3
	v_ashrrev_i32_e32 v18, 31, v17
	v_mov_b32_e32 v5, 0
	s_mov_b32 s74, 0
                                        ; implicit-def: $sgpr75
	s_delay_alu instid0(VALU_DEP_2) | instskip(SKIP_1) | instid1(VALU_DEP_2)
	v_lshlrev_b64 v[13:14], 2, v[17:18]
	v_lshlrev_b64 v[18:19], 3, v[17:18]
	v_add_co_u32 v15, vcc_lo, s16, v13
	s_delay_alu instid0(VALU_DEP_3) | instskip(NEXT) | instid1(VALU_DEP_3)
	v_add_co_ci_u32_e32 v16, vcc_lo, s17, v14, vcc_lo
	v_add_co_u32 v20, vcc_lo, s18, v18
	v_mov_b32_e32 v13, 0
	v_add_co_ci_u32_e32 v21, vcc_lo, s19, v19, vcc_lo
	v_mov_b32_e32 v14, 0
	v_mov_b32_e32 v18, v5
	s_branch .LBB24_16
.LBB24_14:                              ;   in Loop: Header=BB24_16 Depth=4
	s_or_b32 exec_lo, exec_lo, s11
	v_cmp_le_i32_e32 vcc_lo, v22, v23
	v_cmp_ge_i32_e64 s11, v22, v23
	v_add_co_ci_u32_e32 v5, vcc_lo, 0, v5, vcc_lo
	s_delay_alu instid0(VALU_DEP_2) | instskip(SKIP_1) | instid1(VALU_DEP_2)
	v_add_co_ci_u32_e64 v18, s11, 0, v18, s11
	s_and_not1_b32 s11, s75, exec_lo
	v_cmp_ge_i32_e32 vcc_lo, v5, v35
	s_and_b32 s75, vcc_lo, exec_lo
	s_delay_alu instid0(SALU_CYCLE_1)
	s_or_b32 s75, s11, s75
.LBB24_15:                              ;   in Loop: Header=BB24_16 Depth=4
	s_or_b32 exec_lo, exec_lo, s76
	s_delay_alu instid0(SALU_CYCLE_1) | instskip(NEXT) | instid1(SALU_CYCLE_1)
	s_and_b32 s11, exec_lo, s75
	s_or_b32 s74, s11, s74
	s_delay_alu instid0(SALU_CYCLE_1)
	s_and_not1_b32 exec_lo, exec_lo, s74
	s_cbranch_execz .LBB24_19
.LBB24_16:                              ;   Parent Loop BB24_3 Depth=1
                                        ;     Parent Loop BB24_7 Depth=2
                                        ;       Parent Loop BB24_12 Depth=3
                                        ; =>      This Inner Loop Header: Depth=4
	s_or_b32 s75, s75, exec_lo
	s_mov_b32 s76, exec_lo
	s_delay_alu instid0(VALU_DEP_1)
	v_cmpx_lt_i32_e64 v18, v40
	s_cbranch_execz .LBB24_15
; %bb.17:                               ;   in Loop: Header=BB24_16 Depth=4
	v_mov_b32_e32 v19, v6
	v_lshlrev_b64 v[22:23], 2, v[5:6]
	s_mov_b32 s11, exec_lo
	s_delay_alu instid0(VALU_DEP_2) | instskip(NEXT) | instid1(VALU_DEP_2)
	v_lshlrev_b64 v[41:42], 2, v[18:19]
	v_add_co_u32 v22, vcc_lo, v36, v22
	s_delay_alu instid0(VALU_DEP_3) | instskip(NEXT) | instid1(VALU_DEP_3)
	v_add_co_ci_u32_e32 v23, vcc_lo, v37, v23, vcc_lo
	v_add_co_u32 v41, vcc_lo, v15, v41
	s_delay_alu instid0(VALU_DEP_4)
	v_add_co_ci_u32_e32 v42, vcc_lo, v16, v42, vcc_lo
	global_load_b32 v22, v[22:23], off
	global_load_b32 v23, v[41:42], off
	s_waitcnt vmcnt(1)
	v_subrev_nc_u32_e32 v22, s63, v22
	s_waitcnt vmcnt(0)
	v_subrev_nc_u32_e32 v23, s64, v23
	s_delay_alu instid0(VALU_DEP_1)
	v_cmpx_eq_u32_e64 v22, v23
	s_cbranch_execz .LBB24_14
; %bb.18:                               ;   in Loop: Header=BB24_16 Depth=4
	v_lshlrev_b64 v[41:42], 3, v[5:6]
	v_lshlrev_b64 v[43:44], 3, v[18:19]
	s_delay_alu instid0(VALU_DEP_2) | instskip(NEXT) | instid1(VALU_DEP_3)
	v_add_co_u32 v41, vcc_lo, v38, v41
	v_add_co_ci_u32_e32 v42, vcc_lo, v39, v42, vcc_lo
	s_delay_alu instid0(VALU_DEP_3) | instskip(NEXT) | instid1(VALU_DEP_4)
	v_add_co_u32 v43, vcc_lo, v20, v43
	v_add_co_ci_u32_e32 v44, vcc_lo, v21, v44, vcc_lo
	global_load_b64 v[41:42], v[41:42], off
	global_load_b64 v[43:44], v[43:44], off
	s_waitcnt vmcnt(0)
	v_fma_f64 v[13:14], v[41:42], v[43:44], v[13:14]
	s_branch .LBB24_14
.LBB24_19:                              ;   in Loop: Header=BB24_12 Depth=3
	s_or_b32 exec_lo, exec_lo, s74
.LBB24_20:                              ;   in Loop: Header=BB24_12 Depth=3
	s_delay_alu instid0(SALU_CYCLE_1) | instskip(SKIP_3) | instid1(VALU_DEP_2)
	s_or_b32 exec_lo, exec_lo, s73
	v_lshlrev_b64 v[15:16], 3, v[8:9]
	v_cmp_le_i32_e64 s11, v7, v11
	s_mov_b32 s73, exec_lo
	v_add_co_u32 v15, vcc_lo, s42, v15
	s_delay_alu instid0(VALU_DEP_3)
	v_add_co_ci_u32_e32 v16, vcc_lo, s43, v16, vcc_lo
	global_load_b64 v[15:16], v[15:16], off
	s_waitcnt vmcnt(0)
	v_add_f64 v[19:20], v[15:16], -v[13:14]
	v_cmpx_gt_i32_e64 v7, v11
	s_cbranch_execnz .LBB24_23
; %bb.21:                               ;   in Loop: Header=BB24_12 Depth=3
	s_or_b32 exec_lo, exec_lo, s73
	s_delay_alu instid0(VALU_DEP_2) | instskip(NEXT) | instid1(VALU_DEP_1)
	v_cmp_class_f64_e64 s73, v[19:20], 0x1f8
	s_and_saveexec_b32 s74, s73
	s_cbranch_execnz .LBB24_26
.LBB24_22:                              ;   in Loop: Header=BB24_12 Depth=3
	s_or_b32 exec_lo, exec_lo, s74
	s_and_b32 s73, s73, s33
	s_delay_alu instid0(SALU_CYCLE_1)
	s_and_saveexec_b32 s11, s73
	s_cbranch_execz .LBB24_11
	s_branch .LBB24_61
.LBB24_23:                              ;   in Loop: Header=BB24_12 Depth=3
	v_lshlrev_b64 v[21:22], 3, v[11:12]
	v_mov_b32_e32 v23, 0
	v_mov_b32_e32 v24, 0
	s_mov_b32 s74, exec_lo
	s_delay_alu instid0(VALU_DEP_3) | instskip(NEXT) | instid1(VALU_DEP_4)
	v_add_co_u32 v21, vcc_lo, s48, v21
	v_add_co_ci_u32_e32 v22, vcc_lo, s49, v22, vcc_lo
	global_load_b64 v[21:22], v[21:22], off
	s_waitcnt vmcnt(0)
	v_cmpx_lg_f64_e32 0, v[21:22]
; %bb.24:                               ;   in Loop: Header=BB24_12 Depth=3
	v_div_scale_f64 v[23:24], null, v[21:22], v[21:22], v[19:20]
	s_delay_alu instid0(VALU_DEP_1) | instskip(SKIP_2) | instid1(VALU_DEP_1)
	v_rcp_f64_e32 v[41:42], v[23:24]
	s_waitcnt_depctr 0xfff
	v_fma_f64 v[43:44], -v[23:24], v[41:42], 1.0
	v_fma_f64 v[41:42], v[41:42], v[43:44], v[41:42]
	s_delay_alu instid0(VALU_DEP_1) | instskip(NEXT) | instid1(VALU_DEP_1)
	v_fma_f64 v[43:44], -v[23:24], v[41:42], 1.0
	v_fma_f64 v[41:42], v[41:42], v[43:44], v[41:42]
	v_div_scale_f64 v[43:44], vcc_lo, v[19:20], v[21:22], v[19:20]
	s_delay_alu instid0(VALU_DEP_1) | instskip(NEXT) | instid1(VALU_DEP_1)
	v_mul_f64 v[45:46], v[43:44], v[41:42]
	v_fma_f64 v[23:24], -v[23:24], v[45:46], v[43:44]
	s_delay_alu instid0(VALU_DEP_1) | instskip(NEXT) | instid1(VALU_DEP_1)
	v_div_fmas_f64 v[23:24], v[23:24], v[41:42], v[45:46]
	v_div_fixup_f64 v[23:24], v[23:24], v[21:22], v[19:20]
; %bb.25:                               ;   in Loop: Header=BB24_12 Depth=3
	s_or_b32 exec_lo, exec_lo, s74
	s_delay_alu instid0(VALU_DEP_1) | instskip(SKIP_1) | instid1(VALU_DEP_1)
	v_dual_mov_b32 v19, v23 :: v_dual_mov_b32 v20, v24
	s_or_b32 exec_lo, exec_lo, s73
	v_cmp_class_f64_e64 s73, v[19:20], 0x1f8
	s_delay_alu instid0(VALU_DEP_1)
	s_and_saveexec_b32 s74, s73
	s_cbranch_execz .LBB24_22
.LBB24_26:                              ;   in Loop: Header=BB24_12 Depth=3
	s_and_saveexec_b32 s75, s11
	s_delay_alu instid0(SALU_CYCLE_1)
	s_xor_b32 s11, exec_lo, s75
	s_cbranch_execz .LBB24_47
; %bb.27:                               ;   in Loop: Header=BB24_12 Depth=3
	s_mov_b32 s75, exec_lo
	v_cmpx_ge_i32_e64 v7, v11
	s_xor_b32 s75, exec_lo, s75
	s_cbranch_execz .LBB24_33
; %bb.28:                               ;   in Loop: Header=BB24_12 Depth=3
	v_lshlrev_b64 v[21:22], 3, v[11:12]
	s_delay_alu instid0(VALU_DEP_1) | instskip(NEXT) | instid1(VALU_DEP_2)
	v_add_co_u32 v23, vcc_lo, s50, v21
	v_add_co_ci_u32_e32 v24, vcc_lo, s51, v22, vcc_lo
	s_and_not1_b32 vcc_lo, exec_lo, s58
	global_store_b64 v[23:24], v[19:20], off
	s_cbranch_vccnz .LBB24_32
; %bb.29:                               ;   in Loop: Header=BB24_12 Depth=3
	v_add_co_u32 v21, vcc_lo, s48, v21
	v_add_co_ci_u32_e32 v22, vcc_lo, s49, v22, vcc_lo
	global_load_b64 v[21:22], v[21:22], off
	s_waitcnt vmcnt(0)
	v_add_f64 v[19:20], v[21:22], -v[19:20]
	s_delay_alu instid0(VALU_DEP_1) | instskip(NEXT) | instid1(VALU_DEP_1)
	v_cmp_class_f64_e64 s77, v[19:20], 0x1f8
	s_and_saveexec_b32 s76, s77
; %bb.30:                               ;   in Loop: Header=BB24_12 Depth=3
	v_cmp_lt_f64_e64 vcc_lo, v[3:4], |v[19:20]|
	v_and_b32_e32 v9, 0x7fffffff, v20
	s_delay_alu instid0(VALU_DEP_1)
	v_dual_cndmask_b32 v4, v4, v9 :: v_dual_cndmask_b32 v3, v3, v19
; %bb.31:                               ;   in Loop: Header=BB24_12 Depth=3
	s_or_b32 exec_lo, exec_lo, s76
.LBB24_32:                              ;   in Loop: Header=BB24_12 Depth=3
                                        ; implicit-def: $vgpr19_vgpr20
.LBB24_33:                              ;   in Loop: Header=BB24_12 Depth=3
	s_and_not1_saveexec_b32 s75, s75
	s_cbranch_execz .LBB24_46
; %bb.34:                               ;   in Loop: Header=BB24_12 Depth=3
	s_mov_b32 s76, exec_lo
	v_cmpx_lt_i32_e64 v18, v40
	s_cbranch_execz .LBB24_45
; %bb.35:                               ;   in Loop: Header=BB24_12 Depth=3
	v_mov_b32_e32 v9, v18
	s_mov_b32 s77, 0
                                        ; implicit-def: $sgpr78
                                        ; implicit-def: $sgpr80
                                        ; implicit-def: $sgpr79
	s_set_inst_prefetch_distance 0x1
	s_branch .LBB24_37
	.p2align	6
.LBB24_36:                              ;   in Loop: Header=BB24_37 Depth=4
	s_or_b32 exec_lo, exec_lo, s81
	s_delay_alu instid0(SALU_CYCLE_1) | instskip(NEXT) | instid1(SALU_CYCLE_1)
	s_and_b32 s81, exec_lo, s80
	s_or_b32 s77, s81, s77
	s_and_not1_b32 s78, s78, exec_lo
	s_and_b32 s81, s79, exec_lo
	s_delay_alu instid0(SALU_CYCLE_1)
	s_or_b32 s78, s78, s81
	s_and_not1_b32 exec_lo, exec_lo, s77
	s_cbranch_execz .LBB24_39
.LBB24_37:                              ;   Parent Loop BB24_3 Depth=1
                                        ;     Parent Loop BB24_7 Depth=2
                                        ;       Parent Loop BB24_12 Depth=3
                                        ; =>      This Inner Loop Header: Depth=4
	s_delay_alu instid0(VALU_DEP_1) | instskip(SKIP_3) | instid1(VALU_DEP_1)
	v_add_nc_u32_e32 v21, v17, v9
	s_or_b32 s79, s79, exec_lo
	s_or_b32 s80, s80, exec_lo
	s_mov_b32 s81, exec_lo
	v_ashrrev_i32_e32 v22, 31, v21
	s_delay_alu instid0(VALU_DEP_1) | instskip(NEXT) | instid1(VALU_DEP_1)
	v_lshlrev_b64 v[23:24], 2, v[21:22]
	v_add_co_u32 v23, vcc_lo, s16, v23
	s_delay_alu instid0(VALU_DEP_2) | instskip(SKIP_3) | instid1(VALU_DEP_1)
	v_add_co_ci_u32_e32 v24, vcc_lo, s17, v24, vcc_lo
	global_load_b32 v23, v[23:24], off
	s_waitcnt vmcnt(0)
	v_subrev_nc_u32_e32 v23, s64, v23
	v_cmpx_ne_u32_e64 v23, v7
	s_cbranch_execz .LBB24_36
; %bb.38:                               ;   in Loop: Header=BB24_37 Depth=4
	v_add_nc_u32_e32 v9, 1, v9
	s_and_not1_b32 s80, s80, exec_lo
	s_and_not1_b32 s79, s79, exec_lo
	s_delay_alu instid0(VALU_DEP_1) | instskip(SKIP_1) | instid1(SALU_CYCLE_1)
	v_cmp_ge_i32_e32 vcc_lo, v9, v40
	s_and_b32 s82, vcc_lo, exec_lo
	s_or_b32 s80, s80, s82
	s_branch .LBB24_36
.LBB24_39:                              ;   in Loop: Header=BB24_12 Depth=3
	s_set_inst_prefetch_distance 0x2
	s_or_b32 exec_lo, exec_lo, s77
	s_and_saveexec_b32 s77, s78
	s_delay_alu instid0(SALU_CYCLE_1)
	s_xor_b32 s77, exec_lo, s77
	s_cbranch_execz .LBB24_44
; %bb.40:                               ;   in Loop: Header=BB24_12 Depth=3
	v_lshlrev_b64 v[21:22], 3, v[21:22]
	s_delay_alu instid0(VALU_DEP_1) | instskip(NEXT) | instid1(VALU_DEP_2)
	v_add_co_u32 v23, vcc_lo, s54, v21
	v_add_co_ci_u32_e32 v24, vcc_lo, s55, v22, vcc_lo
	s_and_not1_b32 vcc_lo, exec_lo, s58
	global_store_b64 v[23:24], v[19:20], off
	s_cbranch_vccnz .LBB24_44
; %bb.41:                               ;   in Loop: Header=BB24_12 Depth=3
	v_add_co_u32 v21, vcc_lo, s18, v21
	v_add_co_ci_u32_e32 v22, vcc_lo, s19, v22, vcc_lo
	global_load_b64 v[21:22], v[21:22], off
	s_waitcnt vmcnt(0)
	v_add_f64 v[19:20], v[21:22], -v[19:20]
	s_delay_alu instid0(VALU_DEP_1) | instskip(NEXT) | instid1(VALU_DEP_1)
	v_cmp_class_f64_e64 s79, v[19:20], 0x1f8
	s_and_saveexec_b32 s78, s79
; %bb.42:                               ;   in Loop: Header=BB24_12 Depth=3
	v_cmp_lt_f64_e64 vcc_lo, v[3:4], |v[19:20]|
	v_and_b32_e32 v9, 0x7fffffff, v20
	s_delay_alu instid0(VALU_DEP_1)
	v_dual_cndmask_b32 v4, v4, v9 :: v_dual_cndmask_b32 v3, v3, v19
; %bb.43:                               ;   in Loop: Header=BB24_12 Depth=3
	s_or_b32 exec_lo, exec_lo, s78
.LBB24_44:                              ;   in Loop: Header=BB24_12 Depth=3
	s_delay_alu instid0(SALU_CYCLE_1)
	s_or_b32 exec_lo, exec_lo, s77
.LBB24_45:                              ;   in Loop: Header=BB24_12 Depth=3
	s_delay_alu instid0(SALU_CYCLE_1)
	s_or_b32 exec_lo, exec_lo, s76
.LBB24_46:                              ;   in Loop: Header=BB24_12 Depth=3
	s_delay_alu instid0(SALU_CYCLE_1)
	s_or_b32 exec_lo, exec_lo, s75
                                        ; implicit-def: $vgpr19_vgpr20
.LBB24_47:                              ;   in Loop: Header=BB24_12 Depth=3
	s_and_not1_saveexec_b32 s11, s11
	s_cbranch_execz .LBB24_60
; %bb.48:                               ;   in Loop: Header=BB24_12 Depth=3
	s_mov_b32 s75, exec_lo
	v_cmpx_lt_i32_e64 v5, v35
	s_cbranch_execz .LBB24_59
; %bb.49:                               ;   in Loop: Header=BB24_12 Depth=3
	v_mov_b32_e32 v9, v5
	s_mov_b32 s76, 0
                                        ; implicit-def: $sgpr77
                                        ; implicit-def: $sgpr79
                                        ; implicit-def: $sgpr78
	s_set_inst_prefetch_distance 0x1
	s_branch .LBB24_51
	.p2align	6
.LBB24_50:                              ;   in Loop: Header=BB24_51 Depth=4
	s_or_b32 exec_lo, exec_lo, s80
	s_delay_alu instid0(SALU_CYCLE_1) | instskip(NEXT) | instid1(SALU_CYCLE_1)
	s_and_b32 s80, exec_lo, s79
	s_or_b32 s76, s80, s76
	s_and_not1_b32 s77, s77, exec_lo
	s_and_b32 s80, s78, exec_lo
	s_delay_alu instid0(SALU_CYCLE_1)
	s_or_b32 s77, s77, s80
	s_and_not1_b32 exec_lo, exec_lo, s76
	s_cbranch_execz .LBB24_53
.LBB24_51:                              ;   Parent Loop BB24_3 Depth=1
                                        ;     Parent Loop BB24_7 Depth=2
                                        ;       Parent Loop BB24_12 Depth=3
                                        ; =>      This Inner Loop Header: Depth=4
	s_delay_alu instid0(VALU_DEP_1) | instskip(SKIP_3) | instid1(VALU_DEP_1)
	v_add_nc_u32_e32 v21, v10, v9
	s_or_b32 s78, s78, exec_lo
	s_or_b32 s79, s79, exec_lo
	s_mov_b32 s80, exec_lo
	v_ashrrev_i32_e32 v22, 31, v21
	s_delay_alu instid0(VALU_DEP_1) | instskip(NEXT) | instid1(VALU_DEP_1)
	v_lshlrev_b64 v[23:24], 2, v[21:22]
	v_add_co_u32 v23, vcc_lo, s24, v23
	s_delay_alu instid0(VALU_DEP_2) | instskip(SKIP_3) | instid1(VALU_DEP_1)
	v_add_co_ci_u32_e32 v24, vcc_lo, s25, v24, vcc_lo
	global_load_b32 v23, v[23:24], off
	s_waitcnt vmcnt(0)
	v_subrev_nc_u32_e32 v23, s63, v23
	v_cmpx_ne_u32_e64 v23, v11
	s_cbranch_execz .LBB24_50
; %bb.52:                               ;   in Loop: Header=BB24_51 Depth=4
	v_add_nc_u32_e32 v9, 1, v9
	s_and_not1_b32 s79, s79, exec_lo
	s_and_not1_b32 s78, s78, exec_lo
	s_delay_alu instid0(VALU_DEP_1) | instskip(SKIP_1) | instid1(SALU_CYCLE_1)
	v_cmp_ge_i32_e32 vcc_lo, v9, v35
	s_and_b32 s81, vcc_lo, exec_lo
	s_or_b32 s79, s79, s81
	s_branch .LBB24_50
.LBB24_53:                              ;   in Loop: Header=BB24_12 Depth=3
	s_set_inst_prefetch_distance 0x2
	s_or_b32 exec_lo, exec_lo, s76
	s_and_saveexec_b32 s76, s77
	s_delay_alu instid0(SALU_CYCLE_1)
	s_xor_b32 s76, exec_lo, s76
	s_cbranch_execz .LBB24_58
; %bb.54:                               ;   in Loop: Header=BB24_12 Depth=3
	v_lshlrev_b64 v[21:22], 3, v[21:22]
	s_delay_alu instid0(VALU_DEP_1) | instskip(NEXT) | instid1(VALU_DEP_2)
	v_add_co_u32 v23, vcc_lo, s52, v21
	v_add_co_ci_u32_e32 v24, vcc_lo, s53, v22, vcc_lo
	s_and_not1_b32 vcc_lo, exec_lo, s58
	global_store_b64 v[23:24], v[19:20], off
	s_cbranch_vccnz .LBB24_58
; %bb.55:                               ;   in Loop: Header=BB24_12 Depth=3
	v_add_co_u32 v21, vcc_lo, s26, v21
	v_add_co_ci_u32_e32 v22, vcc_lo, s27, v22, vcc_lo
	global_load_b64 v[21:22], v[21:22], off
	s_waitcnt vmcnt(0)
	v_add_f64 v[19:20], v[21:22], -v[19:20]
	s_delay_alu instid0(VALU_DEP_1) | instskip(NEXT) | instid1(VALU_DEP_1)
	v_cmp_class_f64_e64 s78, v[19:20], 0x1f8
	s_and_saveexec_b32 s77, s78
; %bb.56:                               ;   in Loop: Header=BB24_12 Depth=3
	v_cmp_lt_f64_e64 vcc_lo, v[3:4], |v[19:20]|
	v_and_b32_e32 v9, 0x7fffffff, v20
	s_delay_alu instid0(VALU_DEP_1)
	v_dual_cndmask_b32 v4, v4, v9 :: v_dual_cndmask_b32 v3, v3, v19
; %bb.57:                               ;   in Loop: Header=BB24_12 Depth=3
	s_or_b32 exec_lo, exec_lo, s77
.LBB24_58:                              ;   in Loop: Header=BB24_12 Depth=3
	s_delay_alu instid0(SALU_CYCLE_1)
	s_or_b32 exec_lo, exec_lo, s76
.LBB24_59:                              ;   in Loop: Header=BB24_12 Depth=3
	s_delay_alu instid0(SALU_CYCLE_1)
	s_or_b32 exec_lo, exec_lo, s75
.LBB24_60:                              ;   in Loop: Header=BB24_12 Depth=3
	s_delay_alu instid0(SALU_CYCLE_1) | instskip(NEXT) | instid1(SALU_CYCLE_1)
	s_or_b32 exec_lo, exec_lo, s11
	s_or_b32 exec_lo, exec_lo, s74
	s_and_b32 s73, s73, s33
	s_delay_alu instid0(SALU_CYCLE_1)
	s_and_saveexec_b32 s11, s73
	s_cbranch_execz .LBB24_11
.LBB24_61:                              ;   in Loop: Header=BB24_12 Depth=3
	s_mov_b32 s73, exec_lo
	v_cmpx_ge_i32_e64 v18, v40
	s_xor_b32 s73, exec_lo, s73
	s_cbranch_execnz .LBB24_67
; %bb.62:                               ;   in Loop: Header=BB24_12 Depth=3
	s_and_not1_saveexec_b32 s73, s73
	s_cbranch_execnz .LBB24_76
.LBB24_63:                              ;   in Loop: Header=BB24_12 Depth=3
	s_or_b32 exec_lo, exec_lo, s73
	s_delay_alu instid0(SALU_CYCLE_1)
	s_mov_b32 s73, exec_lo
	v_cmpx_eq_u32_e64 v7, v11
	s_cbranch_execz .LBB24_65
.LBB24_64:                              ;   in Loop: Header=BB24_12 Depth=3
	v_lshlrev_b64 v[11:12], 3, v[11:12]
	s_delay_alu instid0(VALU_DEP_1) | instskip(NEXT) | instid1(VALU_DEP_2)
	v_add_co_u32 v11, vcc_lo, s48, v11
	v_add_co_ci_u32_e32 v12, vcc_lo, s49, v12, vcc_lo
	global_load_b64 v[11:12], v[11:12], off
	s_waitcnt vmcnt(0)
	v_add_f64 v[13:14], v[13:14], v[11:12]
.LBB24_65:                              ;   in Loop: Header=BB24_12 Depth=3
	s_or_b32 exec_lo, exec_lo, s73
	s_delay_alu instid0(VALU_DEP_1) | instskip(NEXT) | instid1(VALU_DEP_1)
	v_add_f64 v[11:12], v[15:16], -v[13:14]
	v_cmp_class_f64_e64 s74, v[11:12], 0x1f8
	s_delay_alu instid0(VALU_DEP_1)
	s_and_saveexec_b32 s73, s74
	s_cbranch_execz .LBB24_10
; %bb.66:                               ;   in Loop: Header=BB24_12 Depth=3
	v_cmp_lt_f64_e64 vcc_lo, v[1:2], |v[11:12]|
	v_and_b32_e32 v5, 0x7fffffff, v12
	s_delay_alu instid0(VALU_DEP_1)
	v_dual_cndmask_b32 v2, v2, v5 :: v_dual_cndmask_b32 v1, v1, v11
	s_branch .LBB24_10
.LBB24_67:                              ;   in Loop: Header=BB24_12 Depth=3
	s_mov_b32 s74, exec_lo
	v_cmpx_lt_i32_e64 v5, v35
	s_cbranch_execz .LBB24_75
; %bb.68:                               ;   in Loop: Header=BB24_12 Depth=3
	s_mov_b32 s75, 0
                                        ; implicit-def: $sgpr76
                                        ; implicit-def: $sgpr78
                                        ; implicit-def: $sgpr77
	s_set_inst_prefetch_distance 0x1
	s_branch .LBB24_70
	.p2align	6
.LBB24_69:                              ;   in Loop: Header=BB24_70 Depth=4
	s_or_b32 exec_lo, exec_lo, s79
	s_delay_alu instid0(SALU_CYCLE_1) | instskip(NEXT) | instid1(SALU_CYCLE_1)
	s_and_b32 s79, exec_lo, s78
	s_or_b32 s75, s79, s75
	s_and_not1_b32 s76, s76, exec_lo
	s_and_b32 s79, s77, exec_lo
	s_delay_alu instid0(SALU_CYCLE_1)
	s_or_b32 s76, s76, s79
	s_and_not1_b32 exec_lo, exec_lo, s75
	s_cbranch_execz .LBB24_72
.LBB24_70:                              ;   Parent Loop BB24_3 Depth=1
                                        ;     Parent Loop BB24_7 Depth=2
                                        ;       Parent Loop BB24_12 Depth=3
                                        ; =>      This Inner Loop Header: Depth=4
	v_add_nc_u32_e32 v17, v10, v5
	s_or_b32 s77, s77, exec_lo
	s_or_b32 s78, s78, exec_lo
	s_mov_b32 s79, exec_lo
	s_delay_alu instid0(VALU_DEP_1) | instskip(NEXT) | instid1(VALU_DEP_1)
	v_ashrrev_i32_e32 v18, 31, v17
	v_lshlrev_b64 v[19:20], 2, v[17:18]
	s_delay_alu instid0(VALU_DEP_1) | instskip(NEXT) | instid1(VALU_DEP_2)
	v_add_co_u32 v19, vcc_lo, s24, v19
	v_add_co_ci_u32_e32 v20, vcc_lo, s25, v20, vcc_lo
	global_load_b32 v9, v[19:20], off
	s_waitcnt vmcnt(0)
	v_subrev_nc_u32_e32 v9, s63, v9
	s_delay_alu instid0(VALU_DEP_1)
	v_cmpx_ne_u32_e64 v9, v11
	s_cbranch_execz .LBB24_69
; %bb.71:                               ;   in Loop: Header=BB24_70 Depth=4
	v_add_nc_u32_e32 v5, 1, v5
	s_and_not1_b32 s78, s78, exec_lo
	s_and_not1_b32 s77, s77, exec_lo
	s_delay_alu instid0(VALU_DEP_1) | instskip(SKIP_1) | instid1(SALU_CYCLE_1)
	v_cmp_ge_i32_e32 vcc_lo, v5, v35
	s_and_b32 s80, vcc_lo, exec_lo
	s_or_b32 s78, s78, s80
	s_branch .LBB24_69
.LBB24_72:                              ;   in Loop: Header=BB24_12 Depth=3
	s_set_inst_prefetch_distance 0x2
	s_or_b32 exec_lo, exec_lo, s75
	s_and_saveexec_b32 s75, s76
	s_delay_alu instid0(SALU_CYCLE_1)
	s_xor_b32 s75, exec_lo, s75
	s_cbranch_execz .LBB24_74
; %bb.73:                               ;   in Loop: Header=BB24_12 Depth=3
	v_lshlrev_b64 v[17:18], 3, v[17:18]
	v_lshlrev_b64 v[19:20], 3, v[11:12]
	s_delay_alu instid0(VALU_DEP_2) | instskip(NEXT) | instid1(VALU_DEP_3)
	v_add_co_u32 v17, vcc_lo, s26, v17
	v_add_co_ci_u32_e32 v18, vcc_lo, s27, v18, vcc_lo
	s_delay_alu instid0(VALU_DEP_3) | instskip(NEXT) | instid1(VALU_DEP_4)
	v_add_co_u32 v19, vcc_lo, s48, v19
	v_add_co_ci_u32_e32 v20, vcc_lo, s49, v20, vcc_lo
	global_load_b64 v[17:18], v[17:18], off
	global_load_b64 v[19:20], v[19:20], off
	s_waitcnt vmcnt(0)
	v_fma_f64 v[13:14], v[17:18], v[19:20], v[13:14]
.LBB24_74:                              ;   in Loop: Header=BB24_12 Depth=3
	s_or_b32 exec_lo, exec_lo, s75
.LBB24_75:                              ;   in Loop: Header=BB24_12 Depth=3
	s_delay_alu instid0(SALU_CYCLE_1)
	s_or_b32 exec_lo, exec_lo, s74
                                        ; implicit-def: $vgpr18
                                        ; implicit-def: $vgpr17
                                        ; implicit-def: $vgpr40
	s_and_not1_saveexec_b32 s73, s73
	s_cbranch_execz .LBB24_63
.LBB24_76:                              ;   in Loop: Header=BB24_12 Depth=3
	s_mov_b32 s74, 0
                                        ; implicit-def: $sgpr75
                                        ; implicit-def: $sgpr77
                                        ; implicit-def: $sgpr76
	s_set_inst_prefetch_distance 0x1
	s_branch .LBB24_78
	.p2align	6
.LBB24_77:                              ;   in Loop: Header=BB24_78 Depth=4
	s_or_b32 exec_lo, exec_lo, s78
	s_delay_alu instid0(SALU_CYCLE_1) | instskip(NEXT) | instid1(SALU_CYCLE_1)
	s_and_b32 s78, exec_lo, s77
	s_or_b32 s74, s78, s74
	s_and_not1_b32 s75, s75, exec_lo
	s_and_b32 s78, s76, exec_lo
	s_delay_alu instid0(SALU_CYCLE_1)
	s_or_b32 s75, s75, s78
	s_and_not1_b32 exec_lo, exec_lo, s74
	s_cbranch_execz .LBB24_80
.LBB24_78:                              ;   Parent Loop BB24_3 Depth=1
                                        ;     Parent Loop BB24_7 Depth=2
                                        ;       Parent Loop BB24_12 Depth=3
                                        ; =>      This Inner Loop Header: Depth=4
	v_add_nc_u32_e32 v19, v17, v18
	s_or_b32 s76, s76, exec_lo
	s_or_b32 s77, s77, exec_lo
	s_mov_b32 s78, exec_lo
	s_delay_alu instid0(VALU_DEP_1) | instskip(NEXT) | instid1(VALU_DEP_1)
	v_ashrrev_i32_e32 v20, 31, v19
	v_lshlrev_b64 v[21:22], 2, v[19:20]
	s_delay_alu instid0(VALU_DEP_1) | instskip(NEXT) | instid1(VALU_DEP_2)
	v_add_co_u32 v21, vcc_lo, s16, v21
	v_add_co_ci_u32_e32 v22, vcc_lo, s17, v22, vcc_lo
	global_load_b32 v5, v[21:22], off
	s_waitcnt vmcnt(0)
	v_subrev_nc_u32_e32 v5, s64, v5
	s_delay_alu instid0(VALU_DEP_1)
	v_cmpx_ne_u32_e64 v5, v7
	s_cbranch_execz .LBB24_77
; %bb.79:                               ;   in Loop: Header=BB24_78 Depth=4
	v_add_nc_u32_e32 v18, 1, v18
	s_and_not1_b32 s77, s77, exec_lo
	s_and_not1_b32 s76, s76, exec_lo
	s_delay_alu instid0(VALU_DEP_1) | instskip(SKIP_1) | instid1(SALU_CYCLE_1)
	v_cmp_ge_i32_e32 vcc_lo, v18, v40
	s_and_b32 s79, vcc_lo, exec_lo
	s_or_b32 s77, s77, s79
	s_branch .LBB24_77
.LBB24_80:                              ;   in Loop: Header=BB24_12 Depth=3
	s_set_inst_prefetch_distance 0x2
	s_or_b32 exec_lo, exec_lo, s74
	s_and_saveexec_b32 s74, s75
	s_delay_alu instid0(SALU_CYCLE_1)
	s_xor_b32 s74, exec_lo, s74
	s_cbranch_execz .LBB24_82
; %bb.81:                               ;   in Loop: Header=BB24_12 Depth=3
	v_lshlrev_b64 v[17:18], 3, v[19:20]
	s_delay_alu instid0(VALU_DEP_1) | instskip(NEXT) | instid1(VALU_DEP_2)
	v_add_co_u32 v17, vcc_lo, s18, v17
	v_add_co_ci_u32_e32 v18, vcc_lo, s19, v18, vcc_lo
	global_load_b64 v[17:18], v[17:18], off
	s_waitcnt vmcnt(0)
	v_add_f64 v[13:14], v[13:14], v[17:18]
.LBB24_82:                              ;   in Loop: Header=BB24_12 Depth=3
	s_or_b32 exec_lo, exec_lo, s74
	s_delay_alu instid0(SALU_CYCLE_1) | instskip(NEXT) | instid1(SALU_CYCLE_1)
	s_or_b32 exec_lo, exec_lo, s73
	s_mov_b32 s73, exec_lo
	v_cmpx_eq_u32_e64 v7, v11
	s_cbranch_execnz .LBB24_64
	s_branch .LBB24_65
.LBB24_83:                              ;   in Loop: Header=BB24_3 Depth=1
	v_xor_b32_e32 v10, 4, v27
	v_xor_b32_e32 v9, 2, v27
	;; [unrolled: 1-line block ×3, first 2 shown]
	s_and_b32 vcc_lo, exec_lo, s58
	s_cbranch_vccnz .LBB24_86
; %bb.84:                               ;   in Loop: Header=BB24_3 Depth=1
	s_and_not1_b32 vcc_lo, exec_lo, s33
	s_cbranch_vccz .LBB24_103
.LBB24_85:                              ;   in Loop: Header=BB24_3 Depth=1
	s_and_saveexec_b32 s11, s7
	s_cbranch_execnz .LBB24_120
	s_branch .LBB24_131
.LBB24_86:                              ;   in Loop: Header=BB24_3 Depth=1
	v_cmp_gt_i32_e32 vcc_lo, 32, v10
	v_cmp_gt_i32_e64 s10, 32, v9
	v_cndmask_b32_e32 v7, v27, v10, vcc_lo
	s_delay_alu instid0(VALU_DEP_2) | instskip(SKIP_1) | instid1(VALU_DEP_3)
	v_cndmask_b32_e64 v11, v27, v9, s10
	v_cmp_gt_i32_e64 s10, 32, v5
	v_lshlrev_b32_e32 v8, 2, v7
	ds_bpermute_b32 v7, v8, v3
	ds_bpermute_b32 v8, v8, v4
	s_waitcnt lgkmcnt(0)
	v_cmp_lt_f64_e32 vcc_lo, v[3:4], v[7:8]
	v_dual_cndmask_b32 v4, v4, v8 :: v_dual_lshlrev_b32 v11, 2, v11
	v_cndmask_b32_e32 v3, v3, v7, vcc_lo
	ds_bpermute_b32 v8, v11, v4
	ds_bpermute_b32 v7, v11, v3
	v_cndmask_b32_e64 v11, v27, v5, s10
	s_delay_alu instid0(VALU_DEP_1)
	v_lshlrev_b32_e32 v11, 2, v11
	s_waitcnt lgkmcnt(0)
	v_cmp_lt_f64_e32 vcc_lo, v[3:4], v[7:8]
	v_dual_cndmask_b32 v4, v4, v8 :: v_dual_cndmask_b32 v3, v3, v7
	ds_bpermute_b32 v8, v11, v4
	ds_bpermute_b32 v7, v11, v3
	s_and_saveexec_b32 s10, s0
	s_cbranch_execz .LBB24_88
; %bb.87:                               ;   in Loop: Header=BB24_3 Depth=1
	s_waitcnt lgkmcnt(0)
	v_cmp_lt_f64_e32 vcc_lo, v[3:4], v[7:8]
	v_dual_cndmask_b32 v4, v4, v8 :: v_dual_cndmask_b32 v3, v3, v7
	ds_store_b64 v30, v[3:4]
.LBB24_88:                              ;   in Loop: Header=BB24_3 Depth=1
	s_or_b32 exec_lo, exec_lo, s10
	s_waitcnt lgkmcnt(0)
	s_waitcnt_vscnt null, 0x0
	s_barrier
	buffer_gl0_inv
	s_and_saveexec_b32 s10, s1
	s_cbranch_execz .LBB24_90
; %bb.89:                               ;   in Loop: Header=BB24_3 Depth=1
	ds_load_2addr_stride64_b64 v[11:14], v28 offset1:1
	s_waitcnt lgkmcnt(0)
	v_cmp_lt_f64_e32 vcc_lo, v[11:12], v[13:14]
	v_dual_cndmask_b32 v4, v12, v14 :: v_dual_cndmask_b32 v3, v11, v13
	ds_store_b64 v28, v[3:4]
.LBB24_90:                              ;   in Loop: Header=BB24_3 Depth=1
	s_or_b32 exec_lo, exec_lo, s10
	s_waitcnt lgkmcnt(0)
	s_barrier
	buffer_gl0_inv
	s_and_saveexec_b32 s10, s2
	s_cbranch_execz .LBB24_92
; %bb.91:                               ;   in Loop: Header=BB24_3 Depth=1
	ds_load_2addr_b64 v[11:14], v28 offset1:32
	s_waitcnt lgkmcnt(0)
	v_cmp_lt_f64_e32 vcc_lo, v[11:12], v[13:14]
	v_dual_cndmask_b32 v4, v12, v14 :: v_dual_cndmask_b32 v3, v11, v13
	ds_store_b64 v28, v[3:4]
.LBB24_92:                              ;   in Loop: Header=BB24_3 Depth=1
	s_or_b32 exec_lo, exec_lo, s10
	s_waitcnt lgkmcnt(0)
	s_barrier
	buffer_gl0_inv
	s_and_saveexec_b32 s10, s3
	s_cbranch_execz .LBB24_94
; %bb.93:                               ;   in Loop: Header=BB24_3 Depth=1
	ds_load_2addr_b64 v[11:14], v28 offset1:16
	s_waitcnt lgkmcnt(0)
	v_cmp_lt_f64_e32 vcc_lo, v[11:12], v[13:14]
	v_dual_cndmask_b32 v4, v12, v14 :: v_dual_cndmask_b32 v3, v11, v13
	ds_store_b64 v28, v[3:4]
.LBB24_94:                              ;   in Loop: Header=BB24_3 Depth=1
	;; [unrolled: 13-line block ×4, first 2 shown]
	s_or_b32 exec_lo, exec_lo, s10
	s_waitcnt lgkmcnt(0)
	s_barrier
	buffer_gl0_inv
	s_and_saveexec_b32 s10, s6
	s_cbranch_execz .LBB24_100
; %bb.99:                               ;   in Loop: Header=BB24_3 Depth=1
	ds_load_2addr_b64 v[11:14], v28 offset1:2
	s_waitcnt lgkmcnt(0)
	v_cmp_lt_f64_e32 vcc_lo, v[11:12], v[13:14]
	v_dual_cndmask_b32 v4, v12, v14 :: v_dual_cndmask_b32 v3, v11, v13
	ds_store_b64 v28, v[3:4]
.LBB24_100:                             ;   in Loop: Header=BB24_3 Depth=1
	s_or_b32 exec_lo, exec_lo, s10
	s_waitcnt lgkmcnt(0)
	s_barrier
	buffer_gl0_inv
	s_and_saveexec_b32 s10, s8
	s_cbranch_execz .LBB24_102
; %bb.101:                              ;   in Loop: Header=BB24_3 Depth=1
	ds_load_b128 v[11:14], v6
	s_waitcnt lgkmcnt(0)
	v_cmp_lt_f64_e32 vcc_lo, v[11:12], v[13:14]
	v_dual_cndmask_b32 v4, v12, v14 :: v_dual_cndmask_b32 v3, v11, v13
	ds_store_b64 v6, v[3:4]
.LBB24_102:                             ;   in Loop: Header=BB24_3 Depth=1
	s_or_b32 exec_lo, exec_lo, s10
	s_waitcnt lgkmcnt(0)
	s_barrier
	buffer_gl0_inv
	ds_load_b64 v[3:4], v6
	s_load_b64 s[10:11], s[56:57], 0x0
	s_waitcnt lgkmcnt(0)
	v_div_scale_f64 v[7:8], null, s[10:11], s[10:11], v[3:4]
	s_delay_alu instid0(VALU_DEP_1) | instskip(SKIP_2) | instid1(VALU_DEP_1)
	v_rcp_f64_e32 v[11:12], v[7:8]
	s_waitcnt_depctr 0xfff
	v_fma_f64 v[13:14], -v[7:8], v[11:12], 1.0
	v_fma_f64 v[11:12], v[11:12], v[13:14], v[11:12]
	s_delay_alu instid0(VALU_DEP_1) | instskip(NEXT) | instid1(VALU_DEP_1)
	v_fma_f64 v[13:14], -v[7:8], v[11:12], 1.0
	v_fma_f64 v[11:12], v[11:12], v[13:14], v[11:12]
	v_div_scale_f64 v[13:14], vcc_lo, v[3:4], s[10:11], v[3:4]
	s_delay_alu instid0(VALU_DEP_1) | instskip(NEXT) | instid1(VALU_DEP_1)
	v_mul_f64 v[15:16], v[13:14], v[11:12]
	v_fma_f64 v[7:8], -v[7:8], v[15:16], v[13:14]
	s_delay_alu instid0(VALU_DEP_1) | instskip(NEXT) | instid1(VALU_DEP_1)
	v_div_fmas_f64 v[7:8], v[7:8], v[11:12], v[15:16]
	v_div_fixup_f64 v[3:4], v[7:8], s[10:11], v[3:4]
	s_and_not1_b32 vcc_lo, exec_lo, s33
	s_cbranch_vccnz .LBB24_85
.LBB24_103:                             ;   in Loop: Header=BB24_3 Depth=1
	v_cmp_gt_i32_e32 vcc_lo, 32, v10
	v_cmp_gt_i32_e64 s10, 32, v9
	v_cndmask_b32_e32 v7, v27, v10, vcc_lo
	s_delay_alu instid0(VALU_DEP_2) | instskip(SKIP_1) | instid1(VALU_DEP_3)
	v_cndmask_b32_e64 v9, v27, v9, s10
	v_cmp_gt_i32_e64 s10, 32, v5
	v_lshlrev_b32_e32 v8, 2, v7
	s_delay_alu instid0(VALU_DEP_2)
	v_cndmask_b32_e64 v5, v27, v5, s10
	ds_bpermute_b32 v7, v8, v1
	ds_bpermute_b32 v8, v8, v2
	v_lshlrev_b32_e32 v5, 2, v5
	s_waitcnt lgkmcnt(0)
	v_cmp_lt_f64_e32 vcc_lo, v[1:2], v[7:8]
	v_dual_cndmask_b32 v2, v2, v8 :: v_dual_lshlrev_b32 v9, 2, v9
	v_cndmask_b32_e32 v1, v1, v7, vcc_lo
	ds_bpermute_b32 v8, v9, v2
	ds_bpermute_b32 v7, v9, v1
	s_waitcnt lgkmcnt(0)
	v_cmp_lt_f64_e32 vcc_lo, v[1:2], v[7:8]
	v_dual_cndmask_b32 v2, v2, v8 :: v_dual_cndmask_b32 v1, v1, v7
	ds_bpermute_b32 v8, v5, v2
	ds_bpermute_b32 v7, v5, v1
	s_and_saveexec_b32 s10, s0
	s_cbranch_execz .LBB24_105
; %bb.104:                              ;   in Loop: Header=BB24_3 Depth=1
	s_waitcnt lgkmcnt(0)
	v_cmp_lt_f64_e32 vcc_lo, v[1:2], v[7:8]
	v_dual_cndmask_b32 v2, v2, v8 :: v_dual_cndmask_b32 v1, v1, v7
	ds_store_b64 v30, v[1:2]
.LBB24_105:                             ;   in Loop: Header=BB24_3 Depth=1
	s_or_b32 exec_lo, exec_lo, s10
	s_waitcnt lgkmcnt(0)
	s_waitcnt_vscnt null, 0x0
	s_barrier
	buffer_gl0_inv
	s_and_saveexec_b32 s10, s1
	s_cbranch_execz .LBB24_107
; %bb.106:                              ;   in Loop: Header=BB24_3 Depth=1
	ds_load_2addr_stride64_b64 v[7:10], v28 offset1:1
	s_waitcnt lgkmcnt(0)
	v_cmp_lt_f64_e32 vcc_lo, v[7:8], v[9:10]
	v_dual_cndmask_b32 v2, v8, v10 :: v_dual_cndmask_b32 v1, v7, v9
	ds_store_b64 v28, v[1:2]
.LBB24_107:                             ;   in Loop: Header=BB24_3 Depth=1
	s_or_b32 exec_lo, exec_lo, s10
	s_waitcnt lgkmcnt(0)
	s_barrier
	buffer_gl0_inv
	s_and_saveexec_b32 s10, s2
	s_cbranch_execz .LBB24_109
; %bb.108:                              ;   in Loop: Header=BB24_3 Depth=1
	ds_load_2addr_b64 v[7:10], v28 offset1:32
	s_waitcnt lgkmcnt(0)
	v_cmp_lt_f64_e32 vcc_lo, v[7:8], v[9:10]
	v_dual_cndmask_b32 v2, v8, v10 :: v_dual_cndmask_b32 v1, v7, v9
	ds_store_b64 v28, v[1:2]
.LBB24_109:                             ;   in Loop: Header=BB24_3 Depth=1
	s_or_b32 exec_lo, exec_lo, s10
	s_waitcnt lgkmcnt(0)
	s_barrier
	buffer_gl0_inv
	s_and_saveexec_b32 s10, s3
	s_cbranch_execz .LBB24_111
; %bb.110:                              ;   in Loop: Header=BB24_3 Depth=1
	ds_load_2addr_b64 v[7:10], v28 offset1:16
	s_waitcnt lgkmcnt(0)
	v_cmp_lt_f64_e32 vcc_lo, v[7:8], v[9:10]
	v_dual_cndmask_b32 v2, v8, v10 :: v_dual_cndmask_b32 v1, v7, v9
	ds_store_b64 v28, v[1:2]
.LBB24_111:                             ;   in Loop: Header=BB24_3 Depth=1
	;; [unrolled: 13-line block ×5, first 2 shown]
	s_or_b32 exec_lo, exec_lo, s10
	s_waitcnt lgkmcnt(0)
	s_barrier
	buffer_gl0_inv
	s_and_saveexec_b32 s10, s8
	s_cbranch_execz .LBB24_119
; %bb.118:                              ;   in Loop: Header=BB24_3 Depth=1
	ds_load_b128 v[7:10], v6
	s_waitcnt lgkmcnt(0)
	v_cmp_lt_f64_e32 vcc_lo, v[7:8], v[9:10]
	v_dual_cndmask_b32 v2, v8, v10 :: v_dual_cndmask_b32 v1, v7, v9
	ds_store_b64 v6, v[1:2]
.LBB24_119:                             ;   in Loop: Header=BB24_3 Depth=1
	s_or_b32 exec_lo, exec_lo, s10
	s_waitcnt lgkmcnt(0)
	s_barrier
	buffer_gl0_inv
	ds_load_b64 v[1:2], v6
	s_load_b64 s[10:11], s[56:57], 0x0
	s_waitcnt lgkmcnt(0)
	v_div_scale_f64 v[7:8], null, s[10:11], s[10:11], v[1:2]
	s_delay_alu instid0(VALU_DEP_1) | instskip(SKIP_2) | instid1(VALU_DEP_1)
	v_rcp_f64_e32 v[9:10], v[7:8]
	s_waitcnt_depctr 0xfff
	v_fma_f64 v[11:12], -v[7:8], v[9:10], 1.0
	v_fma_f64 v[9:10], v[9:10], v[11:12], v[9:10]
	s_delay_alu instid0(VALU_DEP_1) | instskip(NEXT) | instid1(VALU_DEP_1)
	v_fma_f64 v[11:12], -v[7:8], v[9:10], 1.0
	v_fma_f64 v[9:10], v[9:10], v[11:12], v[9:10]
	v_div_scale_f64 v[11:12], vcc_lo, v[1:2], s[10:11], v[1:2]
	s_delay_alu instid0(VALU_DEP_1) | instskip(NEXT) | instid1(VALU_DEP_1)
	v_mul_f64 v[13:14], v[11:12], v[9:10]
	v_fma_f64 v[7:8], -v[7:8], v[13:14], v[11:12]
	s_delay_alu instid0(VALU_DEP_1) | instskip(NEXT) | instid1(VALU_DEP_1)
	v_div_fmas_f64 v[7:8], v[7:8], v[9:10], v[13:14]
	v_div_fixup_f64 v[1:2], v[7:8], s[10:11], v[1:2]
	s_and_saveexec_b32 s11, s7
	s_cbranch_execz .LBB24_131
.LBB24_120:                             ;   in Loop: Header=BB24_3 Depth=1
	v_mov_b32_e32 v7, v29
	s_mov_b32 s69, 0
	s_branch .LBB24_122
.LBB24_121:                             ;   in Loop: Header=BB24_122 Depth=2
	s_or_b32 exec_lo, exec_lo, s70
	v_add_nc_u32_e32 v7, 0x80, v7
	s_delay_alu instid0(VALU_DEP_1) | instskip(SKIP_1) | instid1(SALU_CYCLE_1)
	v_cmp_le_u32_e32 vcc_lo, s65, v7
	s_or_b32 s69, vcc_lo, s69
	s_and_not1_b32 exec_lo, exec_lo, s69
	s_cbranch_execz .LBB24_131
.LBB24_122:                             ;   Parent Loop BB24_3 Depth=1
                                        ; =>  This Loop Header: Depth=2
                                        ;       Child Loop BB24_125 Depth 3
                                        ;       Child Loop BB24_128 Depth 3
	s_mov_b32 s70, exec_lo
	s_delay_alu instid0(VALU_DEP_1)
	v_cmpx_gt_i32_e64 s59, v7
	s_cbranch_execz .LBB24_121
; %bb.123:                              ;   in Loop: Header=BB24_122 Depth=2
	v_ashrrev_i32_e32 v8, 31, v7
	s_mov_b32 s71, exec_lo
	s_delay_alu instid0(VALU_DEP_1) | instskip(NEXT) | instid1(VALU_DEP_1)
	v_lshlrev_b64 v[9:10], 2, v[7:8]
	v_add_co_u32 v11, vcc_lo, s20, v9
	s_delay_alu instid0(VALU_DEP_2)
	v_add_co_ci_u32_e32 v12, vcc_lo, s21, v10, vcc_lo
	v_add_co_u32 v13, vcc_lo, s22, v9
	v_add_co_ci_u32_e32 v14, vcc_lo, s23, v10, vcc_lo
	global_load_b32 v5, v[11:12], off
	global_load_b32 v12, v[13:14], off
	s_waitcnt vmcnt(1)
	v_add_nc_u32_e32 v11, v32, v5
	s_waitcnt vmcnt(0)
	v_subrev_nc_u32_e32 v5, s63, v12
	s_delay_alu instid0(VALU_DEP_1)
	v_cmpx_lt_i32_e64 v11, v5
	s_cbranch_execz .LBB24_126
; %bb.124:                              ;   in Loop: Header=BB24_122 Depth=2
	v_ashrrev_i32_e32 v12, 31, v11
	s_mov_b32 s72, 0
	s_delay_alu instid0(VALU_DEP_1) | instskip(NEXT) | instid1(VALU_DEP_1)
	v_lshlrev_b64 v[14:15], 3, v[11:12]
	v_add_co_u32 v12, vcc_lo, s52, v14
	s_delay_alu instid0(VALU_DEP_2)
	v_add_co_ci_u32_e32 v13, vcc_lo, s53, v15, vcc_lo
	v_add_co_u32 v14, vcc_lo, s26, v14
	v_add_co_ci_u32_e32 v15, vcc_lo, s27, v15, vcc_lo
.LBB24_125:                             ;   Parent Loop BB24_3 Depth=1
                                        ;     Parent Loop BB24_122 Depth=2
                                        ; =>    This Inner Loop Header: Depth=3
	global_load_b64 v[16:17], v[12:13], off
	v_add_nc_u32_e32 v11, 8, v11
	v_add_co_u32 v12, vcc_lo, v12, 64
	v_add_co_ci_u32_e32 v13, vcc_lo, 0, v13, vcc_lo
	s_delay_alu instid0(VALU_DEP_3) | instskip(SKIP_4) | instid1(VALU_DEP_1)
	v_cmp_ge_i32_e32 vcc_lo, v11, v5
	s_or_b32 s72, vcc_lo, s72
	s_waitcnt vmcnt(0)
	global_store_b64 v[14:15], v[16:17], off
	v_add_co_u32 v14, s10, v14, 64
	v_add_co_ci_u32_e64 v15, s10, 0, v15, s10
	s_and_not1_b32 exec_lo, exec_lo, s72
	s_cbranch_execnz .LBB24_125
.LBB24_126:                             ;   in Loop: Header=BB24_122 Depth=2
	s_or_b32 exec_lo, exec_lo, s71
	v_add_co_u32 v11, vcc_lo, s12, v9
	v_add_co_ci_u32_e32 v12, vcc_lo, s13, v10, vcc_lo
	v_add_co_u32 v9, vcc_lo, s14, v9
	v_add_co_ci_u32_e32 v10, vcc_lo, s15, v10, vcc_lo
	s_mov_b32 s71, exec_lo
	global_load_b32 v5, v[11:12], off
	global_load_b32 v10, v[9:10], off
	s_waitcnt vmcnt(1)
	v_add_nc_u32_e32 v9, v33, v5
	s_waitcnt vmcnt(0)
	v_subrev_nc_u32_e32 v5, s64, v10
	s_delay_alu instid0(VALU_DEP_1)
	v_cmpx_lt_i32_e64 v9, v5
	s_cbranch_execz .LBB24_129
; %bb.127:                              ;   in Loop: Header=BB24_122 Depth=2
	v_ashrrev_i32_e32 v10, 31, v9
	s_mov_b32 s72, 0
	s_delay_alu instid0(VALU_DEP_1) | instskip(NEXT) | instid1(VALU_DEP_1)
	v_lshlrev_b64 v[12:13], 3, v[9:10]
	v_add_co_u32 v10, vcc_lo, s54, v12
	s_delay_alu instid0(VALU_DEP_2)
	v_add_co_ci_u32_e32 v11, vcc_lo, s55, v13, vcc_lo
	v_add_co_u32 v12, vcc_lo, s18, v12
	v_add_co_ci_u32_e32 v13, vcc_lo, s19, v13, vcc_lo
.LBB24_128:                             ;   Parent Loop BB24_3 Depth=1
                                        ;     Parent Loop BB24_122 Depth=2
                                        ; =>    This Inner Loop Header: Depth=3
	global_load_b64 v[14:15], v[10:11], off
	v_add_nc_u32_e32 v9, 8, v9
	v_add_co_u32 v10, vcc_lo, v10, 64
	v_add_co_ci_u32_e32 v11, vcc_lo, 0, v11, vcc_lo
	s_delay_alu instid0(VALU_DEP_3) | instskip(SKIP_4) | instid1(VALU_DEP_1)
	v_cmp_ge_i32_e32 vcc_lo, v9, v5
	s_or_b32 s72, vcc_lo, s72
	s_waitcnt vmcnt(0)
	global_store_b64 v[12:13], v[14:15], off
	v_add_co_u32 v12, s10, v12, 64
	v_add_co_ci_u32_e64 v13, s10, 0, v13, s10
	s_and_not1_b32 exec_lo, exec_lo, s72
	s_cbranch_execnz .LBB24_128
.LBB24_129:                             ;   in Loop: Header=BB24_122 Depth=2
	s_or_b32 exec_lo, exec_lo, s71
	s_delay_alu instid0(SALU_CYCLE_1)
	s_and_b32 exec_lo, exec_lo, s9
	s_cbranch_execz .LBB24_121
; %bb.130:                              ;   in Loop: Header=BB24_122 Depth=2
	v_lshlrev_b64 v[8:9], 3, v[7:8]
	s_delay_alu instid0(VALU_DEP_1) | instskip(NEXT) | instid1(VALU_DEP_2)
	v_add_co_u32 v10, vcc_lo, s50, v8
	v_add_co_ci_u32_e32 v11, vcc_lo, s51, v9, vcc_lo
	v_add_co_u32 v8, vcc_lo, s48, v8
	v_add_co_ci_u32_e32 v9, vcc_lo, s49, v9, vcc_lo
	global_load_b64 v[10:11], v[10:11], off
	s_waitcnt vmcnt(0)
	global_store_b64 v[8:9], v[10:11], off
	s_branch .LBB24_121
.LBB24_131:                             ;   in Loop: Header=BB24_3 Depth=1
	s_or_b32 exec_lo, exec_lo, s11
	s_mov_b32 s11, -1
	s_and_b32 vcc_lo, exec_lo, s60
	s_mov_b32 s10, -1
	s_cbranch_vccz .LBB24_141
; %bb.132:                              ;   in Loop: Header=BB24_3 Depth=1
	s_and_b32 vcc_lo, exec_lo, s67
                                        ; implicit-def: $sgpr69
	s_cbranch_vccz .LBB24_138
; %bb.133:                              ;   in Loop: Header=BB24_3 Depth=1
	s_and_b32 vcc_lo, exec_lo, s66
                                        ; implicit-def: $sgpr69
	s_cbranch_vccz .LBB24_135
; %bb.134:                              ;   in Loop: Header=BB24_3 Depth=1
	s_delay_alu instid0(VALU_DEP_1)
	v_cmp_ge_f64_e32 vcc_lo, s[46:47], v[1:2]
	s_mov_b32 s10, 0
	s_and_b32 s69, vcc_lo, exec_lo
.LBB24_135:                             ;   in Loop: Header=BB24_3 Depth=1
	s_and_not1_b32 vcc_lo, exec_lo, s10
	s_cbranch_vccnz .LBB24_137
; %bb.136:                              ;   in Loop: Header=BB24_3 Depth=1
	s_delay_alu instid0(VALU_DEP_1) | instskip(SKIP_2) | instid1(SALU_CYCLE_1)
	v_cmp_ge_f64_e32 vcc_lo, s[46:47], v[3:4]
	s_and_not1_b32 s10, s69, exec_lo
	s_and_b32 s69, vcc_lo, exec_lo
	s_or_b32 s69, s10, s69
.LBB24_137:                             ;   in Loop: Header=BB24_3 Depth=1
	s_mov_b32 s10, 0
.LBB24_138:                             ;   in Loop: Header=BB24_3 Depth=1
	s_delay_alu instid0(SALU_CYCLE_1)
	s_and_not1_b32 vcc_lo, exec_lo, s10
	s_cbranch_vccnz .LBB24_140
; %bb.139:                              ;   in Loop: Header=BB24_3 Depth=1
	s_delay_alu instid0(VALU_DEP_1) | instskip(NEXT) | instid1(VALU_DEP_2)
	v_cmp_ge_f64_e32 vcc_lo, s[46:47], v[3:4]
	v_cmp_ge_f64_e64 s10, s[46:47], v[1:2]
	s_and_not1_b32 s69, s69, exec_lo
	s_delay_alu instid0(VALU_DEP_1) | instskip(NEXT) | instid1(SALU_CYCLE_1)
	s_and_b32 s10, vcc_lo, s10
	s_and_b32 s10, s10, exec_lo
	s_delay_alu instid0(SALU_CYCLE_1)
	s_or_b32 s69, s69, s10
.LBB24_140:                             ;   in Loop: Header=BB24_3 Depth=1
	s_delay_alu instid0(SALU_CYCLE_1)
	s_xor_b32 s10, s69, -1
.LBB24_141:                             ;   in Loop: Header=BB24_3 Depth=1
	v_mov_b32_e32 v5, s68
	s_and_saveexec_b32 s69, s10
	s_cbranch_execz .LBB24_2
; %bb.142:                              ;   in Loop: Header=BB24_3 Depth=1
	s_add_i32 s68, s68, 1
	v_mov_b32_e32 v5, s35
	s_cmp_eq_u32 s68, s35
	s_cselect_b32 s10, -1, 0
	s_delay_alu instid0(SALU_CYCLE_1)
	s_or_not1_b32 s11, s10, exec_lo
	s_branch .LBB24_2
.LBB24_143:
	s_or_b32 exec_lo, exec_lo, s34
.LBB24_144:
	s_delay_alu instid0(SALU_CYCLE_1) | instskip(NEXT) | instid1(SALU_CYCLE_1)
	s_or_b32 exec_lo, exec_lo, s61
	s_and_not1_b32 vcc_lo, exec_lo, s60
	s_cbranch_vccnz .LBB24_165
; %bb.145:
	v_xor_b32_e32 v6, 4, v27
	v_xor_b32_e32 v7, 2, v27
	s_mov_b32 s0, exec_lo
	s_delay_alu instid0(VALU_DEP_2) | instskip(SKIP_1) | instid1(VALU_DEP_3)
	v_cmp_gt_i32_e32 vcc_lo, 32, v6
	v_cndmask_b32_e32 v6, v27, v6, vcc_lo
	v_cmp_gt_i32_e32 vcc_lo, 32, v7
	v_cndmask_b32_e32 v7, v27, v7, vcc_lo
	s_delay_alu instid0(VALU_DEP_1) | instskip(NEXT) | instid1(VALU_DEP_4)
	v_lshlrev_b32_e32 v7, 2, v7
	v_lshlrev_b32_e32 v6, 2, v6
	ds_bpermute_b32 v6, v6, v5
	s_waitcnt lgkmcnt(0)
	v_max_i32_e32 v5, v5, v6
	ds_bpermute_b32 v6, v7, v5
	v_xor_b32_e32 v7, 1, v27
	s_delay_alu instid0(VALU_DEP_1) | instskip(SKIP_3) | instid1(VALU_DEP_2)
	v_cmp_gt_i32_e32 vcc_lo, 32, v7
	v_cndmask_b32_e32 v7, v27, v7, vcc_lo
	s_waitcnt lgkmcnt(0)
	v_max_i32_e32 v5, v5, v6
	v_lshlrev_b32_e32 v6, 2, v7
	ds_bpermute_b32 v6, v6, v5
	v_cmpx_eq_u32_e32 7, v26
	s_cbranch_execz .LBB24_147
; %bb.146:
	v_lshlrev_b32_e32 v7, 2, v25
	s_waitcnt lgkmcnt(0)
	v_max_i32_e32 v5, v5, v6
	ds_store_b32 v7, v5 offset:1024
.LBB24_147:
	s_or_b32 exec_lo, exec_lo, s0
	v_lshlrev_b32_e32 v5, 2, v0
	s_mov_b32 s0, exec_lo
	s_waitcnt lgkmcnt(0)
	s_waitcnt_vscnt null, 0x0
	s_barrier
	buffer_gl0_inv
	v_cmpx_gt_u32_e32 64, v0
	s_cbranch_execz .LBB24_149
; %bb.148:
	ds_load_2addr_stride64_b32 v[6:7], v5 offset0:4 offset1:5
	s_waitcnt lgkmcnt(0)
	v_max_i32_e32 v6, v6, v7
	ds_store_b32 v5, v6 offset:1024
.LBB24_149:
	s_or_b32 exec_lo, exec_lo, s0
	s_delay_alu instid0(SALU_CYCLE_1)
	s_mov_b32 s0, exec_lo
	s_waitcnt lgkmcnt(0)
	s_barrier
	buffer_gl0_inv
	v_cmpx_gt_u32_e32 32, v0
	s_cbranch_execz .LBB24_151
; %bb.150:
	v_add_nc_u32_e32 v6, 0x400, v5
	ds_load_2addr_b32 v[6:7], v6 offset1:32
	s_waitcnt lgkmcnt(0)
	v_max_i32_e32 v6, v6, v7
	ds_store_b32 v5, v6 offset:1024
.LBB24_151:
	s_or_b32 exec_lo, exec_lo, s0
	s_delay_alu instid0(SALU_CYCLE_1)
	s_mov_b32 s0, exec_lo
	s_waitcnt lgkmcnt(0)
	s_barrier
	buffer_gl0_inv
	v_cmpx_gt_u32_e32 16, v0
	s_cbranch_execz .LBB24_153
; %bb.152:
	v_add_nc_u32_e32 v6, 0x400, v5
	ds_load_2addr_b32 v[6:7], v6 offset1:16
	s_waitcnt lgkmcnt(0)
	v_max_i32_e32 v6, v6, v7
	ds_store_b32 v5, v6 offset:1024
.LBB24_153:
	s_or_b32 exec_lo, exec_lo, s0
	s_delay_alu instid0(SALU_CYCLE_1)
	s_mov_b32 s0, exec_lo
	s_waitcnt lgkmcnt(0)
	s_barrier
	buffer_gl0_inv
	v_cmpx_gt_u32_e32 8, v0
	s_cbranch_execz .LBB24_155
; %bb.154:
	v_add_nc_u32_e32 v6, 0x400, v5
	ds_load_2addr_b32 v[6:7], v6 offset1:8
	s_waitcnt lgkmcnt(0)
	v_max_i32_e32 v6, v6, v7
	ds_store_b32 v5, v6 offset:1024
.LBB24_155:
	s_or_b32 exec_lo, exec_lo, s0
	s_delay_alu instid0(SALU_CYCLE_1)
	s_mov_b32 s0, exec_lo
	s_waitcnt lgkmcnt(0)
	s_barrier
	buffer_gl0_inv
	v_cmpx_gt_u32_e32 4, v0
	s_cbranch_execz .LBB24_157
; %bb.156:
	v_add_nc_u32_e32 v6, 0x400, v5
	ds_load_2addr_b32 v[6:7], v6 offset1:4
	s_waitcnt lgkmcnt(0)
	v_max_i32_e32 v6, v6, v7
	ds_store_b32 v5, v6 offset:1024
.LBB24_157:
	s_or_b32 exec_lo, exec_lo, s0
	s_delay_alu instid0(SALU_CYCLE_1)
	s_mov_b32 s0, exec_lo
	s_waitcnt lgkmcnt(0)
	s_barrier
	buffer_gl0_inv
	v_cmpx_gt_u32_e32 2, v0
	s_cbranch_execz .LBB24_159
; %bb.158:
	v_add_nc_u32_e32 v6, 0x400, v5
	ds_load_2addr_b32 v[6:7], v6 offset1:2
	s_waitcnt lgkmcnt(0)
	v_max_i32_e32 v6, v6, v7
	ds_store_b32 v5, v6 offset:1024
.LBB24_159:
	s_or_b32 exec_lo, exec_lo, s0
	v_cmp_eq_u32_e32 vcc_lo, 0, v0
	s_waitcnt lgkmcnt(0)
	s_barrier
	buffer_gl0_inv
	s_and_saveexec_b32 s0, vcc_lo
	s_cbranch_execz .LBB24_161
; %bb.160:
	v_mov_b32_e32 v7, 0
	ds_load_b64 v[5:6], v7 offset:1024
	s_waitcnt lgkmcnt(0)
	v_max_i32_e32 v5, v5, v6
	ds_store_b32 v7, v5 offset:1024
.LBB24_161:
	s_or_b32 exec_lo, exec_lo, s0
	s_waitcnt lgkmcnt(0)
	s_barrier
	buffer_gl0_inv
	s_and_saveexec_b32 s0, vcc_lo
	s_cbranch_execz .LBB24_164
; %bb.162:
	v_mbcnt_lo_u32_b32 v5, exec_lo, 0
	s_delay_alu instid0(VALU_DEP_1)
	v_cmp_eq_u32_e32 vcc_lo, 0, v5
	s_and_b32 exec_lo, exec_lo, vcc_lo
	s_cbranch_execz .LBB24_164
; %bb.163:
	v_mov_b32_e32 v5, 0
	ds_load_b32 v6, v5 offset:1024
	s_waitcnt lgkmcnt(0)
	v_add_nc_u32_e32 v6, 1, v6
	global_atomic_max_i32 v5, v6, s[44:45]
.LBB24_164:
	s_or_b32 exec_lo, exec_lo, s0
.LBB24_165:
	v_cmp_eq_u32_e32 vcc_lo, 0, v0
	s_mov_b32 s2, 0
	s_and_b32 s0, vcc_lo, s58
	s_delay_alu instid0(SALU_CYCLE_1)
	s_and_saveexec_b32 s4, s0
	s_cbranch_execz .LBB24_170
; %bb.166:
	v_mov_b32_e32 v0, 0
	s_delay_alu instid0(VALU_DEP_4)
	v_cmp_eq_f64_e64 s0, 0, v[3:4]
	s_brev_b32 s3, 1
                                        ; implicit-def: $sgpr5
	global_load_b64 v[5:6], v0, s[28:29] glc
	s_waitcnt vmcnt(0)
	v_cmp_eq_u64_e64 s6, s[2:3], v[5:6]
                                        ; implicit-def: $sgpr3
	s_set_inst_prefetch_distance 0x1
	s_branch .LBB24_168
	.p2align	6
.LBB24_167:                             ;   in Loop: Header=BB24_168 Depth=1
	s_or_b32 exec_lo, exec_lo, s7
	s_delay_alu instid0(SALU_CYCLE_1) | instskip(NEXT) | instid1(SALU_CYCLE_1)
	s_and_b32 s1, exec_lo, s3
	s_or_b32 s2, s1, s2
	s_and_not1_b32 s1, s6, exec_lo
	s_and_b32 s6, s5, exec_lo
	s_delay_alu instid0(SALU_CYCLE_1)
	s_or_b32 s6, s1, s6
	s_and_not1_b32 exec_lo, exec_lo, s2
	s_cbranch_execz .LBB24_170
.LBB24_168:                             ; =>This Inner Loop Header: Depth=1
	v_cmp_lt_f64_e64 s1, v[5:6], v[3:4]
	s_delay_alu instid0(VALU_DEP_2) | instskip(SKIP_2) | instid1(VALU_DEP_1)
	s_and_b32 s7, s0, s6
	s_and_not1_b32 s5, s5, exec_lo
	s_or_b32 s3, s3, exec_lo
	s_or_b32 s1, s1, s7
	s_delay_alu instid0(SALU_CYCLE_1)
	s_and_saveexec_b32 s7, s1
	s_cbranch_execz .LBB24_167
; %bb.169:                              ;   in Loop: Header=BB24_168 Depth=1
	global_atomic_cmpswap_b64 v[7:8], v0, v[3:6], s[28:29] glc
	s_and_not1_b32 s5, s5, exec_lo
	s_and_not1_b32 s3, s3, exec_lo
	s_waitcnt vmcnt(0)
	v_cmp_eq_u64_e64 s1, v[7:8], v[5:6]
	s_delay_alu instid0(VALU_DEP_1) | instskip(SKIP_2) | instid1(SALU_CYCLE_1)
	v_cndmask_b32_e64 v6, v8, v6, s1
	v_cndmask_b32_e64 v5, v7, v5, s1
	s_and_b32 s1, s1, exec_lo
	s_or_b32 s3, s3, s1
	s_delay_alu instid0(VALU_DEP_1) | instskip(SKIP_1) | instid1(VALU_DEP_2)
	v_cmp_class_f64_e64 s6, v[5:6], 32
	v_dual_mov_b32 v5, v7 :: v_dual_mov_b32 v6, v8
	s_and_b32 s6, s6, exec_lo
	s_delay_alu instid0(SALU_CYCLE_1)
	s_or_b32 s5, s5, s6
                                        ; implicit-def: $sgpr6
	s_branch .LBB24_167
.LBB24_170:
	s_set_inst_prefetch_distance 0x2
	s_or_b32 exec_lo, exec_lo, s4
	s_and_b32 s0, vcc_lo, s33
	s_delay_alu instid0(SALU_CYCLE_1)
	s_and_saveexec_b32 s1, s0
	s_cbranch_execz .LBB24_175
; %bb.171:
	v_mov_b32_e32 v0, 0
	s_delay_alu instid0(VALU_DEP_4)
	v_cmp_eq_f64_e32 vcc_lo, 0, v[1:2]
	s_brev_b32 s3, 1
	s_mov_b32 s2, 0
                                        ; implicit-def: $sgpr1
	global_load_b64 v[3:4], v0, s[30:31] glc
	s_waitcnt vmcnt(0)
	v_cmp_eq_u64_e64 s4, s[2:3], v[3:4]
                                        ; implicit-def: $sgpr3
	s_set_inst_prefetch_distance 0x1
	s_branch .LBB24_173
	.p2align	6
.LBB24_172:                             ;   in Loop: Header=BB24_173 Depth=1
	s_or_b32 exec_lo, exec_lo, s5
	s_delay_alu instid0(SALU_CYCLE_1) | instskip(NEXT) | instid1(SALU_CYCLE_1)
	s_and_b32 s0, exec_lo, s1
	s_or_b32 s2, s0, s2
	s_and_not1_b32 s0, s4, exec_lo
	s_and_b32 s4, s3, exec_lo
	s_delay_alu instid0(SALU_CYCLE_1)
	s_or_b32 s4, s0, s4
	s_and_not1_b32 exec_lo, exec_lo, s2
	s_cbranch_execz .LBB24_175
.LBB24_173:                             ; =>This Inner Loop Header: Depth=1
	v_cmp_lt_f64_e64 s0, v[3:4], v[1:2]
	s_delay_alu instid0(VALU_DEP_2) | instskip(SKIP_2) | instid1(VALU_DEP_1)
	s_and_b32 s5, vcc_lo, s4
	s_and_not1_b32 s3, s3, exec_lo
	s_or_b32 s1, s1, exec_lo
	s_or_b32 s0, s0, s5
	s_delay_alu instid0(SALU_CYCLE_1)
	s_and_saveexec_b32 s5, s0
	s_cbranch_execz .LBB24_172
; %bb.174:                              ;   in Loop: Header=BB24_173 Depth=1
	global_atomic_cmpswap_b64 v[5:6], v0, v[1:4], s[30:31] glc
	s_and_not1_b32 s3, s3, exec_lo
	s_and_not1_b32 s1, s1, exec_lo
	s_waitcnt vmcnt(0)
	v_cmp_eq_u64_e64 s0, v[5:6], v[3:4]
	s_delay_alu instid0(VALU_DEP_1) | instskip(SKIP_2) | instid1(SALU_CYCLE_1)
	v_cndmask_b32_e64 v4, v6, v4, s0
	v_cndmask_b32_e64 v3, v5, v3, s0
	s_and_b32 s0, s0, exec_lo
	s_or_b32 s1, s1, s0
	s_delay_alu instid0(VALU_DEP_1) | instskip(SKIP_1) | instid1(VALU_DEP_2)
	v_cmp_class_f64_e64 s4, v[3:4], 32
	v_dual_mov_b32 v3, v5 :: v_dual_mov_b32 v4, v6
	s_and_b32 s4, s4, exec_lo
	s_delay_alu instid0(SALU_CYCLE_1)
	s_or_b32 s3, s3, s4
                                        ; implicit-def: $sgpr4
	s_branch .LBB24_172
.LBB24_175:
	s_set_inst_prefetch_distance 0x2
	s_nop 0
	s_sendmsg sendmsg(MSG_DEALLOC_VGPRS)
	s_endpgm
	.section	.rodata,"a",@progbits
	.p2align	6, 0x0
	.amdhsa_kernel _ZN9rocsparseL6kernelILi1024ELi8EdiiEEvbbbT3_PS1_NS_15floating_traitsIT1_E6data_tES1_T2_PKS7_S9_PKS1_PKS4_21rocsparse_index_base_S9_S9_SB_PS4_SF_SE_S9_S9_SB_SF_SF_SE_SF_SF_PS6_SG_PKS6_
		.amdhsa_group_segment_fixed_size 1536
		.amdhsa_private_segment_fixed_size 0
		.amdhsa_kernarg_size 208
		.amdhsa_user_sgpr_count 15
		.amdhsa_user_sgpr_dispatch_ptr 0
		.amdhsa_user_sgpr_queue_ptr 0
		.amdhsa_user_sgpr_kernarg_segment_ptr 1
		.amdhsa_user_sgpr_dispatch_id 0
		.amdhsa_user_sgpr_private_segment_size 0
		.amdhsa_wavefront_size32 1
		.amdhsa_uses_dynamic_stack 0
		.amdhsa_enable_private_segment 0
		.amdhsa_system_sgpr_workgroup_id_x 1
		.amdhsa_system_sgpr_workgroup_id_y 0
		.amdhsa_system_sgpr_workgroup_id_z 0
		.amdhsa_system_sgpr_workgroup_info 0
		.amdhsa_system_vgpr_workitem_id 0
		.amdhsa_next_free_vgpr 47
		.amdhsa_next_free_sgpr 83
		.amdhsa_reserve_vcc 1
		.amdhsa_float_round_mode_32 0
		.amdhsa_float_round_mode_16_64 0
		.amdhsa_float_denorm_mode_32 3
		.amdhsa_float_denorm_mode_16_64 3
		.amdhsa_dx10_clamp 1
		.amdhsa_ieee_mode 1
		.amdhsa_fp16_overflow 0
		.amdhsa_workgroup_processor_mode 1
		.amdhsa_memory_ordered 1
		.amdhsa_forward_progress 0
		.amdhsa_shared_vgpr_count 0
		.amdhsa_exception_fp_ieee_invalid_op 0
		.amdhsa_exception_fp_denorm_src 0
		.amdhsa_exception_fp_ieee_div_zero 0
		.amdhsa_exception_fp_ieee_overflow 0
		.amdhsa_exception_fp_ieee_underflow 0
		.amdhsa_exception_fp_ieee_inexact 0
		.amdhsa_exception_int_div_zero 0
	.end_amdhsa_kernel
	.section	.text._ZN9rocsparseL6kernelILi1024ELi8EdiiEEvbbbT3_PS1_NS_15floating_traitsIT1_E6data_tES1_T2_PKS7_S9_PKS1_PKS4_21rocsparse_index_base_S9_S9_SB_PS4_SF_SE_S9_S9_SB_SF_SF_SE_SF_SF_PS6_SG_PKS6_,"axG",@progbits,_ZN9rocsparseL6kernelILi1024ELi8EdiiEEvbbbT3_PS1_NS_15floating_traitsIT1_E6data_tES1_T2_PKS7_S9_PKS1_PKS4_21rocsparse_index_base_S9_S9_SB_PS4_SF_SE_S9_S9_SB_SF_SF_SE_SF_SF_PS6_SG_PKS6_,comdat
.Lfunc_end24:
	.size	_ZN9rocsparseL6kernelILi1024ELi8EdiiEEvbbbT3_PS1_NS_15floating_traitsIT1_E6data_tES1_T2_PKS7_S9_PKS1_PKS4_21rocsparse_index_base_S9_S9_SB_PS4_SF_SE_S9_S9_SB_SF_SF_SE_SF_SF_PS6_SG_PKS6_, .Lfunc_end24-_ZN9rocsparseL6kernelILi1024ELi8EdiiEEvbbbT3_PS1_NS_15floating_traitsIT1_E6data_tES1_T2_PKS7_S9_PKS1_PKS4_21rocsparse_index_base_S9_S9_SB_PS4_SF_SE_S9_S9_SB_SF_SF_SE_SF_SF_PS6_SG_PKS6_
                                        ; -- End function
	.section	.AMDGPU.csdata,"",@progbits
; Kernel info:
; codeLenInByte = 6780
; NumSgprs: 85
; NumVgprs: 47
; ScratchSize: 0
; MemoryBound: 1
; FloatMode: 240
; IeeeMode: 1
; LDSByteSize: 1536 bytes/workgroup (compile time only)
; SGPRBlocks: 10
; VGPRBlocks: 5
; NumSGPRsForWavesPerEU: 85
; NumVGPRsForWavesPerEU: 47
; Occupancy: 16
; WaveLimiterHint : 1
; COMPUTE_PGM_RSRC2:SCRATCH_EN: 0
; COMPUTE_PGM_RSRC2:USER_SGPR: 15
; COMPUTE_PGM_RSRC2:TRAP_HANDLER: 0
; COMPUTE_PGM_RSRC2:TGID_X_EN: 1
; COMPUTE_PGM_RSRC2:TGID_Y_EN: 0
; COMPUTE_PGM_RSRC2:TGID_Z_EN: 0
; COMPUTE_PGM_RSRC2:TIDIG_COMP_CNT: 0
	.section	.text._ZN9rocsparseL6kernelILi1024ELi16EdiiEEvbbbT3_PS1_NS_15floating_traitsIT1_E6data_tES1_T2_PKS7_S9_PKS1_PKS4_21rocsparse_index_base_S9_S9_SB_PS4_SF_SE_S9_S9_SB_SF_SF_SE_SF_SF_PS6_SG_PKS6_,"axG",@progbits,_ZN9rocsparseL6kernelILi1024ELi16EdiiEEvbbbT3_PS1_NS_15floating_traitsIT1_E6data_tES1_T2_PKS7_S9_PKS1_PKS4_21rocsparse_index_base_S9_S9_SB_PS4_SF_SE_S9_S9_SB_SF_SF_SE_SF_SF_PS6_SG_PKS6_,comdat
	.globl	_ZN9rocsparseL6kernelILi1024ELi16EdiiEEvbbbT3_PS1_NS_15floating_traitsIT1_E6data_tES1_T2_PKS7_S9_PKS1_PKS4_21rocsparse_index_base_S9_S9_SB_PS4_SF_SE_S9_S9_SB_SF_SF_SE_SF_SF_PS6_SG_PKS6_ ; -- Begin function _ZN9rocsparseL6kernelILi1024ELi16EdiiEEvbbbT3_PS1_NS_15floating_traitsIT1_E6data_tES1_T2_PKS7_S9_PKS1_PKS4_21rocsparse_index_base_S9_S9_SB_PS4_SF_SE_S9_S9_SB_SF_SF_SE_SF_SF_PS6_SG_PKS6_
	.p2align	8
	.type	_ZN9rocsparseL6kernelILi1024ELi16EdiiEEvbbbT3_PS1_NS_15floating_traitsIT1_E6data_tES1_T2_PKS7_S9_PKS1_PKS4_21rocsparse_index_base_S9_S9_SB_PS4_SF_SE_S9_S9_SB_SF_SF_SE_SF_SF_PS6_SG_PKS6_,@function
_ZN9rocsparseL6kernelILi1024ELi16EdiiEEvbbbT3_PS1_NS_15floating_traitsIT1_E6data_tES1_T2_PKS7_S9_PKS1_PKS4_21rocsparse_index_base_S9_S9_SB_PS4_SF_SE_S9_S9_SB_SF_SF_SE_SF_SF_PS6_SG_PKS6_: ; @_ZN9rocsparseL6kernelILi1024ELi16EdiiEEvbbbT3_PS1_NS_15floating_traitsIT1_E6data_tES1_T2_PKS7_S9_PKS1_PKS4_21rocsparse_index_base_S9_S9_SB_PS4_SF_SE_S9_S9_SB_SF_SF_SE_SF_SF_PS6_SG_PKS6_
; %bb.0:
	s_clause 0x4
	s_load_b32 s2, s[0:1], 0x0
	s_load_b64 s[10:11], s[0:1], 0x0
	s_load_b32 s57, s[0:1], 0x18
	s_load_b128 s[44:47], s[0:1], 0x8
	s_load_b128 s[28:31], s[0:1], 0xb8
	v_dual_mov_b32 v5, 0 :: v_dual_lshlrev_b32 v28, 3, v0
	v_lshrrev_b32_e32 v25, 4, v0
	v_mov_b32_e32 v1, 0
	v_mov_b32_e32 v2, 0
	s_delay_alu instid0(VALU_DEP_4)
	v_mov_b32_e32 v6, v5
	v_and_b32_e32 v26, 15, v0
	v_mbcnt_lo_u32_b32 v27, -1, 0
	s_mov_b32 s59, 0
	v_dual_mov_b32 v4, v2 :: v_dual_mov_b32 v3, v1
	ds_store_b64 v28, v[5:6]
	s_waitcnt lgkmcnt(0)
	s_barrier
	buffer_gl0_inv
	s_bitcmp1_b32 s2, 0
	s_cselect_b32 s58, -1, 0
	s_bitcmp1_b32 s2, 8
	s_cselect_b32 s56, -1, 0
	s_bitcmp1_b32 s10, 16
	s_cselect_b32 s33, -1, 0
	s_lshl_b32 s64, s15, 10
	s_cmp_gt_i32 s11, 0
	v_or_b32_e32 v29, s64, v25
	s_cselect_b32 s2, -1, 0
	s_delay_alu instid0(VALU_DEP_1) | instskip(SKIP_1) | instid1(SALU_CYCLE_1)
	v_cmp_gt_i32_e32 vcc_lo, s57, v29
	s_and_b32 s2, s2, vcc_lo
	s_and_saveexec_b32 s60, s2
	s_cbranch_execz .LBB25_140
; %bb.1:
	s_clause 0x9
	s_load_b32 s61, s[0:1], 0x40
	s_load_b32 s62, s[0:1], 0x70
	s_load_b64 s[34:35], s[0:1], 0x98
	s_load_b32 s63, s[0:1], 0xa0
	s_load_b64 s[52:53], s[0:1], 0x68
	s_load_b64 s[54:55], s[0:1], 0xc8
	s_load_b128 s[48:51], s[0:1], 0xa8
	s_load_b256 s[12:19], s[0:1], 0x78
	s_load_b256 s[20:27], s[0:1], 0x48
	;; [unrolled: 1-line block ×3, first 2 shown]
	v_dual_mov_b32 v3, 0 :: v_dual_lshlrev_b32 v30, 3, v25
	v_mov_b32_e32 v4, 0
	s_addk_i32 s64, 0x400
	s_delay_alu instid0(VALU_DEP_2)
	v_dual_mov_b32 v6, 0 :: v_dual_mov_b32 v1, v3
	v_cmp_eq_u32_e64 s0, 15, v26
	v_cmp_gt_u32_e64 s1, 32, v0
	v_cmp_gt_u32_e64 s2, 16, v0
	;; [unrolled: 1-line block ×5, first 2 shown]
	v_cmp_eq_u32_e64 s6, 0, v0
	v_cmp_gt_u32_e64 s7, s64, v29
	s_waitcnt lgkmcnt(0)
	v_subrev_nc_u32_e32 v31, s61, v26
	v_subrev_nc_u32_e32 v32, s62, v26
	;; [unrolled: 1-line block ×3, first 2 shown]
	v_cmp_eq_u32_e64 s8, 0, v26
	v_mov_b32_e32 v2, v4
	s_and_b32 s9, s56, s33
	s_xor_b32 s65, s56, -1
	s_xor_b32 s66, s9, -1
	s_mov_b32 s67, 0
	s_branch .LBB25_3
.LBB25_2:                               ;   in Loop: Header=BB25_3 Depth=1
	s_or_b32 exec_lo, exec_lo, s68
	s_delay_alu instid0(SALU_CYCLE_1) | instskip(NEXT) | instid1(SALU_CYCLE_1)
	s_and_b32 s9, exec_lo, s10
	s_or_b32 s59, s9, s59
	s_delay_alu instid0(SALU_CYCLE_1)
	s_and_not1_b32 exec_lo, exec_lo, s59
	s_cbranch_execz .LBB25_139
.LBB25_3:                               ; =>This Loop Header: Depth=1
                                        ;     Child Loop BB25_7 Depth 2
                                        ;       Child Loop BB25_12 Depth 3
                                        ;         Child Loop BB25_16 Depth 4
                                        ;         Child Loop BB25_37 Depth 4
	;; [unrolled: 1-line block ×5, first 2 shown]
                                        ;     Child Loop BB25_118 Depth 2
                                        ;       Child Loop BB25_121 Depth 3
                                        ;       Child Loop BB25_124 Depth 3
	s_delay_alu instid0(VALU_DEP_2) | instskip(NEXT) | instid1(VALU_DEP_3)
	v_cndmask_b32_e64 v4, v4, 0, s56
	v_cndmask_b32_e64 v3, v3, 0, s56
	s_delay_alu instid0(VALU_DEP_4)
	v_cndmask_b32_e64 v2, v2, 0, s33
	v_cndmask_b32_e64 v1, v1, 0, s33
	s_mov_b32 s68, 0
	s_branch .LBB25_7
.LBB25_4:                               ;   in Loop: Header=BB25_7 Depth=2
	s_or_b32 exec_lo, exec_lo, s71
.LBB25_5:                               ;   in Loop: Header=BB25_7 Depth=2
	s_delay_alu instid0(SALU_CYCLE_1)
	s_or_b32 exec_lo, exec_lo, s70
.LBB25_6:                               ;   in Loop: Header=BB25_7 Depth=2
	s_delay_alu instid0(SALU_CYCLE_1) | instskip(SKIP_1) | instid1(SALU_CYCLE_1)
	s_or_b32 exec_lo, exec_lo, s69
	s_add_i32 s68, s68, 1
	s_cmp_eq_u32 s68, 16
	s_cbranch_scc1 .LBB25_83
.LBB25_7:                               ;   Parent Loop BB25_3 Depth=1
                                        ; =>  This Loop Header: Depth=2
                                        ;       Child Loop BB25_12 Depth 3
                                        ;         Child Loop BB25_16 Depth 4
                                        ;         Child Loop BB25_37 Depth 4
	;; [unrolled: 1-line block ×5, first 2 shown]
	v_lshl_add_u32 v7, s68, 6, v29
	s_mov_b32 s69, exec_lo
	s_delay_alu instid0(VALU_DEP_1)
	v_cmpx_gt_i32_e64 s57, v7
	s_cbranch_execz .LBB25_6
; %bb.8:                                ;   in Loop: Header=BB25_7 Depth=2
	v_ashrrev_i32_e32 v8, 31, v7
	s_mov_b32 s70, exec_lo
	s_delay_alu instid0(VALU_DEP_1) | instskip(NEXT) | instid1(VALU_DEP_1)
	v_lshlrev_b64 v[9:10], 2, v[7:8]
	v_add_co_u32 v11, vcc_lo, s36, v9
	s_delay_alu instid0(VALU_DEP_2)
	v_add_co_ci_u32_e32 v12, vcc_lo, s37, v10, vcc_lo
	v_add_co_u32 v13, vcc_lo, s38, v9
	v_add_co_ci_u32_e32 v14, vcc_lo, s39, v10, vcc_lo
	global_load_b32 v5, v[11:12], off
	global_load_b32 v11, v[13:14], off
	s_waitcnt vmcnt(1)
	v_add_nc_u32_e32 v8, v31, v5
	s_waitcnt vmcnt(0)
	v_subrev_nc_u32_e32 v34, s61, v11
	s_delay_alu instid0(VALU_DEP_1)
	v_cmpx_lt_i32_e64 v8, v34
	s_cbranch_execz .LBB25_5
; %bb.9:                                ;   in Loop: Header=BB25_7 Depth=2
	v_add_co_u32 v11, vcc_lo, s20, v9
	v_add_co_ci_u32_e32 v12, vcc_lo, s21, v10, vcc_lo
	v_add_co_u32 v9, vcc_lo, s22, v9
	v_add_co_ci_u32_e32 v10, vcc_lo, s23, v10, vcc_lo
	global_load_b32 v5, v[11:12], off
	s_mov_b32 s71, 0
	global_load_b32 v9, v[9:10], off
	s_waitcnt vmcnt(1)
	v_subrev_nc_u32_e32 v10, s62, v5
	s_waitcnt vmcnt(0)
	v_sub_nc_u32_e32 v35, v9, v5
	s_delay_alu instid0(VALU_DEP_2) | instskip(NEXT) | instid1(VALU_DEP_2)
	v_ashrrev_i32_e32 v11, 31, v10
	v_cmp_lt_i32_e64 s9, 0, v35
	s_delay_alu instid0(VALU_DEP_2) | instskip(SKIP_1) | instid1(VALU_DEP_2)
	v_lshlrev_b64 v[12:13], 2, v[10:11]
	v_lshlrev_b64 v[14:15], 3, v[10:11]
	v_add_co_u32 v36, vcc_lo, s24, v12
	s_delay_alu instid0(VALU_DEP_3) | instskip(NEXT) | instid1(VALU_DEP_3)
	v_add_co_ci_u32_e32 v37, vcc_lo, s25, v13, vcc_lo
	v_add_co_u32 v38, vcc_lo, s26, v14
	s_delay_alu instid0(VALU_DEP_4)
	v_add_co_ci_u32_e32 v39, vcc_lo, s27, v15, vcc_lo
	s_branch .LBB25_12
.LBB25_10:                              ;   in Loop: Header=BB25_12 Depth=3
	s_or_b32 exec_lo, exec_lo, s72
.LBB25_11:                              ;   in Loop: Header=BB25_12 Depth=3
	s_delay_alu instid0(SALU_CYCLE_1) | instskip(SKIP_1) | instid1(VALU_DEP_1)
	s_or_b32 exec_lo, exec_lo, s10
	v_add_nc_u32_e32 v8, 16, v8
	v_cmp_ge_i32_e32 vcc_lo, v8, v34
	s_or_b32 s71, vcc_lo, s71
	s_delay_alu instid0(SALU_CYCLE_1)
	s_and_not1_b32 exec_lo, exec_lo, s71
	s_cbranch_execz .LBB25_4
.LBB25_12:                              ;   Parent Loop BB25_3 Depth=1
                                        ;     Parent Loop BB25_7 Depth=2
                                        ; =>    This Loop Header: Depth=3
                                        ;         Child Loop BB25_16 Depth 4
                                        ;         Child Loop BB25_37 Depth 4
	;; [unrolled: 1-line block ×5, first 2 shown]
	v_ashrrev_i32_e32 v9, 31, v8
	v_mov_b32_e32 v18, 0
	s_delay_alu instid0(VALU_DEP_2) | instskip(NEXT) | instid1(VALU_DEP_1)
	v_lshlrev_b64 v[11:12], 2, v[8:9]
	v_add_co_u32 v11, vcc_lo, s40, v11
	s_delay_alu instid0(VALU_DEP_2) | instskip(SKIP_3) | instid1(VALU_DEP_1)
	v_add_co_ci_u32_e32 v12, vcc_lo, s41, v12, vcc_lo
	global_load_b32 v5, v[11:12], off
	s_waitcnt vmcnt(0)
	v_subrev_nc_u32_e32 v11, s61, v5
	v_ashrrev_i32_e32 v12, 31, v11
	s_delay_alu instid0(VALU_DEP_1) | instskip(NEXT) | instid1(VALU_DEP_1)
	v_lshlrev_b64 v[13:14], 2, v[11:12]
	v_add_co_u32 v15, vcc_lo, s12, v13
	s_delay_alu instid0(VALU_DEP_2)
	v_add_co_ci_u32_e32 v16, vcc_lo, s13, v14, vcc_lo
	v_add_co_u32 v13, vcc_lo, s14, v13
	v_add_co_ci_u32_e32 v14, vcc_lo, s15, v14, vcc_lo
	global_load_b32 v5, v[15:16], off
	global_load_b32 v15, v[13:14], off
	v_mov_b32_e32 v13, 0
	v_mov_b32_e32 v14, 0
	s_waitcnt vmcnt(1)
	v_subrev_nc_u32_e32 v17, s63, v5
	s_waitcnt vmcnt(0)
	v_sub_nc_u32_e32 v40, v15, v5
	v_mov_b32_e32 v5, 0
	s_and_saveexec_b32 s72, s9
	s_cbranch_execz .LBB25_20
; %bb.13:                               ;   in Loop: Header=BB25_12 Depth=3
	v_ashrrev_i32_e32 v18, 31, v17
	v_mov_b32_e32 v5, 0
	s_mov_b32 s73, 0
                                        ; implicit-def: $sgpr74
	s_delay_alu instid0(VALU_DEP_2) | instskip(SKIP_1) | instid1(VALU_DEP_2)
	v_lshlrev_b64 v[13:14], 2, v[17:18]
	v_lshlrev_b64 v[18:19], 3, v[17:18]
	v_add_co_u32 v15, vcc_lo, s16, v13
	s_delay_alu instid0(VALU_DEP_3) | instskip(NEXT) | instid1(VALU_DEP_3)
	v_add_co_ci_u32_e32 v16, vcc_lo, s17, v14, vcc_lo
	v_add_co_u32 v20, vcc_lo, s18, v18
	v_mov_b32_e32 v13, 0
	v_add_co_ci_u32_e32 v21, vcc_lo, s19, v19, vcc_lo
	v_mov_b32_e32 v14, 0
	v_mov_b32_e32 v18, v5
	s_branch .LBB25_16
.LBB25_14:                              ;   in Loop: Header=BB25_16 Depth=4
	s_or_b32 exec_lo, exec_lo, s10
	v_cmp_le_i32_e32 vcc_lo, v22, v23
	v_cmp_ge_i32_e64 s10, v22, v23
	v_add_co_ci_u32_e32 v5, vcc_lo, 0, v5, vcc_lo
	s_delay_alu instid0(VALU_DEP_2) | instskip(SKIP_1) | instid1(VALU_DEP_2)
	v_add_co_ci_u32_e64 v18, s10, 0, v18, s10
	s_and_not1_b32 s10, s74, exec_lo
	v_cmp_ge_i32_e32 vcc_lo, v5, v35
	s_and_b32 s74, vcc_lo, exec_lo
	s_delay_alu instid0(SALU_CYCLE_1)
	s_or_b32 s74, s10, s74
.LBB25_15:                              ;   in Loop: Header=BB25_16 Depth=4
	s_or_b32 exec_lo, exec_lo, s75
	s_delay_alu instid0(SALU_CYCLE_1) | instskip(NEXT) | instid1(SALU_CYCLE_1)
	s_and_b32 s10, exec_lo, s74
	s_or_b32 s73, s10, s73
	s_delay_alu instid0(SALU_CYCLE_1)
	s_and_not1_b32 exec_lo, exec_lo, s73
	s_cbranch_execz .LBB25_19
.LBB25_16:                              ;   Parent Loop BB25_3 Depth=1
                                        ;     Parent Loop BB25_7 Depth=2
                                        ;       Parent Loop BB25_12 Depth=3
                                        ; =>      This Inner Loop Header: Depth=4
	s_or_b32 s74, s74, exec_lo
	s_mov_b32 s75, exec_lo
	s_delay_alu instid0(VALU_DEP_1)
	v_cmpx_lt_i32_e64 v18, v40
	s_cbranch_execz .LBB25_15
; %bb.17:                               ;   in Loop: Header=BB25_16 Depth=4
	v_mov_b32_e32 v19, v6
	v_lshlrev_b64 v[22:23], 2, v[5:6]
	s_mov_b32 s10, exec_lo
	s_delay_alu instid0(VALU_DEP_2) | instskip(NEXT) | instid1(VALU_DEP_2)
	v_lshlrev_b64 v[41:42], 2, v[18:19]
	v_add_co_u32 v22, vcc_lo, v36, v22
	s_delay_alu instid0(VALU_DEP_3) | instskip(NEXT) | instid1(VALU_DEP_3)
	v_add_co_ci_u32_e32 v23, vcc_lo, v37, v23, vcc_lo
	v_add_co_u32 v41, vcc_lo, v15, v41
	s_delay_alu instid0(VALU_DEP_4)
	v_add_co_ci_u32_e32 v42, vcc_lo, v16, v42, vcc_lo
	global_load_b32 v22, v[22:23], off
	global_load_b32 v23, v[41:42], off
	s_waitcnt vmcnt(1)
	v_subrev_nc_u32_e32 v22, s62, v22
	s_waitcnt vmcnt(0)
	v_subrev_nc_u32_e32 v23, s63, v23
	s_delay_alu instid0(VALU_DEP_1)
	v_cmpx_eq_u32_e64 v22, v23
	s_cbranch_execz .LBB25_14
; %bb.18:                               ;   in Loop: Header=BB25_16 Depth=4
	v_lshlrev_b64 v[41:42], 3, v[5:6]
	v_lshlrev_b64 v[43:44], 3, v[18:19]
	s_delay_alu instid0(VALU_DEP_2) | instskip(NEXT) | instid1(VALU_DEP_3)
	v_add_co_u32 v41, vcc_lo, v38, v41
	v_add_co_ci_u32_e32 v42, vcc_lo, v39, v42, vcc_lo
	s_delay_alu instid0(VALU_DEP_3) | instskip(NEXT) | instid1(VALU_DEP_4)
	v_add_co_u32 v43, vcc_lo, v20, v43
	v_add_co_ci_u32_e32 v44, vcc_lo, v21, v44, vcc_lo
	global_load_b64 v[41:42], v[41:42], off
	global_load_b64 v[43:44], v[43:44], off
	s_waitcnt vmcnt(0)
	v_fma_f64 v[13:14], v[41:42], v[43:44], v[13:14]
	s_branch .LBB25_14
.LBB25_19:                              ;   in Loop: Header=BB25_12 Depth=3
	s_or_b32 exec_lo, exec_lo, s73
.LBB25_20:                              ;   in Loop: Header=BB25_12 Depth=3
	s_delay_alu instid0(SALU_CYCLE_1) | instskip(SKIP_3) | instid1(VALU_DEP_2)
	s_or_b32 exec_lo, exec_lo, s72
	v_lshlrev_b64 v[15:16], 3, v[8:9]
	v_cmp_le_i32_e64 s10, v7, v11
	s_mov_b32 s72, exec_lo
	v_add_co_u32 v15, vcc_lo, s42, v15
	s_delay_alu instid0(VALU_DEP_3)
	v_add_co_ci_u32_e32 v16, vcc_lo, s43, v16, vcc_lo
	global_load_b64 v[15:16], v[15:16], off
	s_waitcnt vmcnt(0)
	v_add_f64 v[19:20], v[15:16], -v[13:14]
	v_cmpx_gt_i32_e64 v7, v11
	s_cbranch_execnz .LBB25_23
; %bb.21:                               ;   in Loop: Header=BB25_12 Depth=3
	s_or_b32 exec_lo, exec_lo, s72
	s_delay_alu instid0(VALU_DEP_2) | instskip(NEXT) | instid1(VALU_DEP_1)
	v_cmp_class_f64_e64 s72, v[19:20], 0x1f8
	s_and_saveexec_b32 s73, s72
	s_cbranch_execnz .LBB25_26
.LBB25_22:                              ;   in Loop: Header=BB25_12 Depth=3
	s_or_b32 exec_lo, exec_lo, s73
	s_and_b32 s72, s72, s33
	s_delay_alu instid0(SALU_CYCLE_1)
	s_and_saveexec_b32 s10, s72
	s_cbranch_execz .LBB25_11
	s_branch .LBB25_61
.LBB25_23:                              ;   in Loop: Header=BB25_12 Depth=3
	v_lshlrev_b64 v[21:22], 3, v[11:12]
	v_mov_b32_e32 v23, 0
	v_mov_b32_e32 v24, 0
	s_mov_b32 s73, exec_lo
	s_delay_alu instid0(VALU_DEP_3) | instskip(NEXT) | instid1(VALU_DEP_4)
	v_add_co_u32 v21, vcc_lo, s48, v21
	v_add_co_ci_u32_e32 v22, vcc_lo, s49, v22, vcc_lo
	global_load_b64 v[21:22], v[21:22], off
	s_waitcnt vmcnt(0)
	v_cmpx_lg_f64_e32 0, v[21:22]
; %bb.24:                               ;   in Loop: Header=BB25_12 Depth=3
	v_div_scale_f64 v[23:24], null, v[21:22], v[21:22], v[19:20]
	s_delay_alu instid0(VALU_DEP_1) | instskip(SKIP_2) | instid1(VALU_DEP_1)
	v_rcp_f64_e32 v[41:42], v[23:24]
	s_waitcnt_depctr 0xfff
	v_fma_f64 v[43:44], -v[23:24], v[41:42], 1.0
	v_fma_f64 v[41:42], v[41:42], v[43:44], v[41:42]
	s_delay_alu instid0(VALU_DEP_1) | instskip(NEXT) | instid1(VALU_DEP_1)
	v_fma_f64 v[43:44], -v[23:24], v[41:42], 1.0
	v_fma_f64 v[41:42], v[41:42], v[43:44], v[41:42]
	v_div_scale_f64 v[43:44], vcc_lo, v[19:20], v[21:22], v[19:20]
	s_delay_alu instid0(VALU_DEP_1) | instskip(NEXT) | instid1(VALU_DEP_1)
	v_mul_f64 v[45:46], v[43:44], v[41:42]
	v_fma_f64 v[23:24], -v[23:24], v[45:46], v[43:44]
	s_delay_alu instid0(VALU_DEP_1) | instskip(NEXT) | instid1(VALU_DEP_1)
	v_div_fmas_f64 v[23:24], v[23:24], v[41:42], v[45:46]
	v_div_fixup_f64 v[23:24], v[23:24], v[21:22], v[19:20]
; %bb.25:                               ;   in Loop: Header=BB25_12 Depth=3
	s_or_b32 exec_lo, exec_lo, s73
	s_delay_alu instid0(VALU_DEP_1) | instskip(SKIP_1) | instid1(VALU_DEP_1)
	v_dual_mov_b32 v19, v23 :: v_dual_mov_b32 v20, v24
	s_or_b32 exec_lo, exec_lo, s72
	v_cmp_class_f64_e64 s72, v[19:20], 0x1f8
	s_delay_alu instid0(VALU_DEP_1)
	s_and_saveexec_b32 s73, s72
	s_cbranch_execz .LBB25_22
.LBB25_26:                              ;   in Loop: Header=BB25_12 Depth=3
	s_and_saveexec_b32 s74, s10
	s_delay_alu instid0(SALU_CYCLE_1)
	s_xor_b32 s10, exec_lo, s74
	s_cbranch_execz .LBB25_47
; %bb.27:                               ;   in Loop: Header=BB25_12 Depth=3
	s_mov_b32 s74, exec_lo
	v_cmpx_ge_i32_e64 v7, v11
	s_xor_b32 s74, exec_lo, s74
	s_cbranch_execz .LBB25_33
; %bb.28:                               ;   in Loop: Header=BB25_12 Depth=3
	v_lshlrev_b64 v[21:22], 3, v[11:12]
	s_delay_alu instid0(VALU_DEP_1) | instskip(NEXT) | instid1(VALU_DEP_2)
	v_add_co_u32 v23, vcc_lo, s50, v21
	v_add_co_ci_u32_e32 v24, vcc_lo, s51, v22, vcc_lo
	s_and_not1_b32 vcc_lo, exec_lo, s56
	global_store_b64 v[23:24], v[19:20], off
	s_cbranch_vccnz .LBB25_32
; %bb.29:                               ;   in Loop: Header=BB25_12 Depth=3
	v_add_co_u32 v21, vcc_lo, s48, v21
	v_add_co_ci_u32_e32 v22, vcc_lo, s49, v22, vcc_lo
	global_load_b64 v[21:22], v[21:22], off
	s_waitcnt vmcnt(0)
	v_add_f64 v[19:20], v[21:22], -v[19:20]
	s_delay_alu instid0(VALU_DEP_1) | instskip(NEXT) | instid1(VALU_DEP_1)
	v_cmp_class_f64_e64 s76, v[19:20], 0x1f8
	s_and_saveexec_b32 s75, s76
; %bb.30:                               ;   in Loop: Header=BB25_12 Depth=3
	v_cmp_lt_f64_e64 vcc_lo, v[3:4], |v[19:20]|
	v_and_b32_e32 v9, 0x7fffffff, v20
	s_delay_alu instid0(VALU_DEP_1)
	v_dual_cndmask_b32 v4, v4, v9 :: v_dual_cndmask_b32 v3, v3, v19
; %bb.31:                               ;   in Loop: Header=BB25_12 Depth=3
	s_or_b32 exec_lo, exec_lo, s75
.LBB25_32:                              ;   in Loop: Header=BB25_12 Depth=3
                                        ; implicit-def: $vgpr19_vgpr20
.LBB25_33:                              ;   in Loop: Header=BB25_12 Depth=3
	s_and_not1_saveexec_b32 s74, s74
	s_cbranch_execz .LBB25_46
; %bb.34:                               ;   in Loop: Header=BB25_12 Depth=3
	s_mov_b32 s75, exec_lo
	v_cmpx_lt_i32_e64 v18, v40
	s_cbranch_execz .LBB25_45
; %bb.35:                               ;   in Loop: Header=BB25_12 Depth=3
	v_mov_b32_e32 v9, v18
	s_mov_b32 s76, 0
                                        ; implicit-def: $sgpr77
                                        ; implicit-def: $sgpr79
                                        ; implicit-def: $sgpr78
	s_set_inst_prefetch_distance 0x1
	s_branch .LBB25_37
	.p2align	6
.LBB25_36:                              ;   in Loop: Header=BB25_37 Depth=4
	s_or_b32 exec_lo, exec_lo, s80
	s_delay_alu instid0(SALU_CYCLE_1) | instskip(NEXT) | instid1(SALU_CYCLE_1)
	s_and_b32 s80, exec_lo, s79
	s_or_b32 s76, s80, s76
	s_and_not1_b32 s77, s77, exec_lo
	s_and_b32 s80, s78, exec_lo
	s_delay_alu instid0(SALU_CYCLE_1)
	s_or_b32 s77, s77, s80
	s_and_not1_b32 exec_lo, exec_lo, s76
	s_cbranch_execz .LBB25_39
.LBB25_37:                              ;   Parent Loop BB25_3 Depth=1
                                        ;     Parent Loop BB25_7 Depth=2
                                        ;       Parent Loop BB25_12 Depth=3
                                        ; =>      This Inner Loop Header: Depth=4
	s_delay_alu instid0(VALU_DEP_1) | instskip(SKIP_3) | instid1(VALU_DEP_1)
	v_add_nc_u32_e32 v21, v17, v9
	s_or_b32 s78, s78, exec_lo
	s_or_b32 s79, s79, exec_lo
	s_mov_b32 s80, exec_lo
	v_ashrrev_i32_e32 v22, 31, v21
	s_delay_alu instid0(VALU_DEP_1) | instskip(NEXT) | instid1(VALU_DEP_1)
	v_lshlrev_b64 v[23:24], 2, v[21:22]
	v_add_co_u32 v23, vcc_lo, s16, v23
	s_delay_alu instid0(VALU_DEP_2) | instskip(SKIP_3) | instid1(VALU_DEP_1)
	v_add_co_ci_u32_e32 v24, vcc_lo, s17, v24, vcc_lo
	global_load_b32 v23, v[23:24], off
	s_waitcnt vmcnt(0)
	v_subrev_nc_u32_e32 v23, s63, v23
	v_cmpx_ne_u32_e64 v23, v7
	s_cbranch_execz .LBB25_36
; %bb.38:                               ;   in Loop: Header=BB25_37 Depth=4
	v_add_nc_u32_e32 v9, 1, v9
	s_and_not1_b32 s79, s79, exec_lo
	s_and_not1_b32 s78, s78, exec_lo
	s_delay_alu instid0(VALU_DEP_1) | instskip(SKIP_1) | instid1(SALU_CYCLE_1)
	v_cmp_ge_i32_e32 vcc_lo, v9, v40
	s_and_b32 s81, vcc_lo, exec_lo
	s_or_b32 s79, s79, s81
	s_branch .LBB25_36
.LBB25_39:                              ;   in Loop: Header=BB25_12 Depth=3
	s_set_inst_prefetch_distance 0x2
	s_or_b32 exec_lo, exec_lo, s76
	s_and_saveexec_b32 s76, s77
	s_delay_alu instid0(SALU_CYCLE_1)
	s_xor_b32 s76, exec_lo, s76
	s_cbranch_execz .LBB25_44
; %bb.40:                               ;   in Loop: Header=BB25_12 Depth=3
	v_lshlrev_b64 v[21:22], 3, v[21:22]
	s_delay_alu instid0(VALU_DEP_1) | instskip(NEXT) | instid1(VALU_DEP_2)
	v_add_co_u32 v23, vcc_lo, s34, v21
	v_add_co_ci_u32_e32 v24, vcc_lo, s35, v22, vcc_lo
	s_and_not1_b32 vcc_lo, exec_lo, s56
	global_store_b64 v[23:24], v[19:20], off
	s_cbranch_vccnz .LBB25_44
; %bb.41:                               ;   in Loop: Header=BB25_12 Depth=3
	v_add_co_u32 v21, vcc_lo, s18, v21
	v_add_co_ci_u32_e32 v22, vcc_lo, s19, v22, vcc_lo
	global_load_b64 v[21:22], v[21:22], off
	s_waitcnt vmcnt(0)
	v_add_f64 v[19:20], v[21:22], -v[19:20]
	s_delay_alu instid0(VALU_DEP_1) | instskip(NEXT) | instid1(VALU_DEP_1)
	v_cmp_class_f64_e64 s78, v[19:20], 0x1f8
	s_and_saveexec_b32 s77, s78
; %bb.42:                               ;   in Loop: Header=BB25_12 Depth=3
	v_cmp_lt_f64_e64 vcc_lo, v[3:4], |v[19:20]|
	v_and_b32_e32 v9, 0x7fffffff, v20
	s_delay_alu instid0(VALU_DEP_1)
	v_dual_cndmask_b32 v4, v4, v9 :: v_dual_cndmask_b32 v3, v3, v19
; %bb.43:                               ;   in Loop: Header=BB25_12 Depth=3
	s_or_b32 exec_lo, exec_lo, s77
.LBB25_44:                              ;   in Loop: Header=BB25_12 Depth=3
	s_delay_alu instid0(SALU_CYCLE_1)
	s_or_b32 exec_lo, exec_lo, s76
.LBB25_45:                              ;   in Loop: Header=BB25_12 Depth=3
	s_delay_alu instid0(SALU_CYCLE_1)
	s_or_b32 exec_lo, exec_lo, s75
.LBB25_46:                              ;   in Loop: Header=BB25_12 Depth=3
	s_delay_alu instid0(SALU_CYCLE_1)
	s_or_b32 exec_lo, exec_lo, s74
                                        ; implicit-def: $vgpr19_vgpr20
.LBB25_47:                              ;   in Loop: Header=BB25_12 Depth=3
	s_and_not1_saveexec_b32 s10, s10
	s_cbranch_execz .LBB25_60
; %bb.48:                               ;   in Loop: Header=BB25_12 Depth=3
	s_mov_b32 s74, exec_lo
	v_cmpx_lt_i32_e64 v5, v35
	s_cbranch_execz .LBB25_59
; %bb.49:                               ;   in Loop: Header=BB25_12 Depth=3
	v_mov_b32_e32 v9, v5
	s_mov_b32 s75, 0
                                        ; implicit-def: $sgpr76
                                        ; implicit-def: $sgpr78
                                        ; implicit-def: $sgpr77
	s_set_inst_prefetch_distance 0x1
	s_branch .LBB25_51
	.p2align	6
.LBB25_50:                              ;   in Loop: Header=BB25_51 Depth=4
	s_or_b32 exec_lo, exec_lo, s79
	s_delay_alu instid0(SALU_CYCLE_1) | instskip(NEXT) | instid1(SALU_CYCLE_1)
	s_and_b32 s79, exec_lo, s78
	s_or_b32 s75, s79, s75
	s_and_not1_b32 s76, s76, exec_lo
	s_and_b32 s79, s77, exec_lo
	s_delay_alu instid0(SALU_CYCLE_1)
	s_or_b32 s76, s76, s79
	s_and_not1_b32 exec_lo, exec_lo, s75
	s_cbranch_execz .LBB25_53
.LBB25_51:                              ;   Parent Loop BB25_3 Depth=1
                                        ;     Parent Loop BB25_7 Depth=2
                                        ;       Parent Loop BB25_12 Depth=3
                                        ; =>      This Inner Loop Header: Depth=4
	s_delay_alu instid0(VALU_DEP_1) | instskip(SKIP_3) | instid1(VALU_DEP_1)
	v_add_nc_u32_e32 v21, v10, v9
	s_or_b32 s77, s77, exec_lo
	s_or_b32 s78, s78, exec_lo
	s_mov_b32 s79, exec_lo
	v_ashrrev_i32_e32 v22, 31, v21
	s_delay_alu instid0(VALU_DEP_1) | instskip(NEXT) | instid1(VALU_DEP_1)
	v_lshlrev_b64 v[23:24], 2, v[21:22]
	v_add_co_u32 v23, vcc_lo, s24, v23
	s_delay_alu instid0(VALU_DEP_2) | instskip(SKIP_3) | instid1(VALU_DEP_1)
	v_add_co_ci_u32_e32 v24, vcc_lo, s25, v24, vcc_lo
	global_load_b32 v23, v[23:24], off
	s_waitcnt vmcnt(0)
	v_subrev_nc_u32_e32 v23, s62, v23
	v_cmpx_ne_u32_e64 v23, v11
	s_cbranch_execz .LBB25_50
; %bb.52:                               ;   in Loop: Header=BB25_51 Depth=4
	v_add_nc_u32_e32 v9, 1, v9
	s_and_not1_b32 s78, s78, exec_lo
	s_and_not1_b32 s77, s77, exec_lo
	s_delay_alu instid0(VALU_DEP_1) | instskip(SKIP_1) | instid1(SALU_CYCLE_1)
	v_cmp_ge_i32_e32 vcc_lo, v9, v35
	s_and_b32 s80, vcc_lo, exec_lo
	s_or_b32 s78, s78, s80
	s_branch .LBB25_50
.LBB25_53:                              ;   in Loop: Header=BB25_12 Depth=3
	s_set_inst_prefetch_distance 0x2
	s_or_b32 exec_lo, exec_lo, s75
	s_and_saveexec_b32 s75, s76
	s_delay_alu instid0(SALU_CYCLE_1)
	s_xor_b32 s75, exec_lo, s75
	s_cbranch_execz .LBB25_58
; %bb.54:                               ;   in Loop: Header=BB25_12 Depth=3
	v_lshlrev_b64 v[21:22], 3, v[21:22]
	s_delay_alu instid0(VALU_DEP_1) | instskip(NEXT) | instid1(VALU_DEP_2)
	v_add_co_u32 v23, vcc_lo, s52, v21
	v_add_co_ci_u32_e32 v24, vcc_lo, s53, v22, vcc_lo
	s_and_not1_b32 vcc_lo, exec_lo, s56
	global_store_b64 v[23:24], v[19:20], off
	s_cbranch_vccnz .LBB25_58
; %bb.55:                               ;   in Loop: Header=BB25_12 Depth=3
	v_add_co_u32 v21, vcc_lo, s26, v21
	v_add_co_ci_u32_e32 v22, vcc_lo, s27, v22, vcc_lo
	global_load_b64 v[21:22], v[21:22], off
	s_waitcnt vmcnt(0)
	v_add_f64 v[19:20], v[21:22], -v[19:20]
	s_delay_alu instid0(VALU_DEP_1) | instskip(NEXT) | instid1(VALU_DEP_1)
	v_cmp_class_f64_e64 s77, v[19:20], 0x1f8
	s_and_saveexec_b32 s76, s77
; %bb.56:                               ;   in Loop: Header=BB25_12 Depth=3
	v_cmp_lt_f64_e64 vcc_lo, v[3:4], |v[19:20]|
	v_and_b32_e32 v9, 0x7fffffff, v20
	s_delay_alu instid0(VALU_DEP_1)
	v_dual_cndmask_b32 v4, v4, v9 :: v_dual_cndmask_b32 v3, v3, v19
; %bb.57:                               ;   in Loop: Header=BB25_12 Depth=3
	s_or_b32 exec_lo, exec_lo, s76
.LBB25_58:                              ;   in Loop: Header=BB25_12 Depth=3
	s_delay_alu instid0(SALU_CYCLE_1)
	s_or_b32 exec_lo, exec_lo, s75
.LBB25_59:                              ;   in Loop: Header=BB25_12 Depth=3
	s_delay_alu instid0(SALU_CYCLE_1)
	s_or_b32 exec_lo, exec_lo, s74
.LBB25_60:                              ;   in Loop: Header=BB25_12 Depth=3
	s_delay_alu instid0(SALU_CYCLE_1) | instskip(NEXT) | instid1(SALU_CYCLE_1)
	s_or_b32 exec_lo, exec_lo, s10
	s_or_b32 exec_lo, exec_lo, s73
	s_and_b32 s72, s72, s33
	s_delay_alu instid0(SALU_CYCLE_1)
	s_and_saveexec_b32 s10, s72
	s_cbranch_execz .LBB25_11
.LBB25_61:                              ;   in Loop: Header=BB25_12 Depth=3
	s_mov_b32 s72, exec_lo
	v_cmpx_ge_i32_e64 v18, v40
	s_xor_b32 s72, exec_lo, s72
	s_cbranch_execnz .LBB25_67
; %bb.62:                               ;   in Loop: Header=BB25_12 Depth=3
	s_and_not1_saveexec_b32 s72, s72
	s_cbranch_execnz .LBB25_76
.LBB25_63:                              ;   in Loop: Header=BB25_12 Depth=3
	s_or_b32 exec_lo, exec_lo, s72
	s_delay_alu instid0(SALU_CYCLE_1)
	s_mov_b32 s72, exec_lo
	v_cmpx_eq_u32_e64 v7, v11
	s_cbranch_execz .LBB25_65
.LBB25_64:                              ;   in Loop: Header=BB25_12 Depth=3
	v_lshlrev_b64 v[11:12], 3, v[11:12]
	s_delay_alu instid0(VALU_DEP_1) | instskip(NEXT) | instid1(VALU_DEP_2)
	v_add_co_u32 v11, vcc_lo, s48, v11
	v_add_co_ci_u32_e32 v12, vcc_lo, s49, v12, vcc_lo
	global_load_b64 v[11:12], v[11:12], off
	s_waitcnt vmcnt(0)
	v_add_f64 v[13:14], v[13:14], v[11:12]
.LBB25_65:                              ;   in Loop: Header=BB25_12 Depth=3
	s_or_b32 exec_lo, exec_lo, s72
	s_delay_alu instid0(VALU_DEP_1) | instskip(NEXT) | instid1(VALU_DEP_1)
	v_add_f64 v[11:12], v[15:16], -v[13:14]
	v_cmp_class_f64_e64 s73, v[11:12], 0x1f8
	s_delay_alu instid0(VALU_DEP_1)
	s_and_saveexec_b32 s72, s73
	s_cbranch_execz .LBB25_10
; %bb.66:                               ;   in Loop: Header=BB25_12 Depth=3
	v_cmp_lt_f64_e64 vcc_lo, v[1:2], |v[11:12]|
	v_and_b32_e32 v5, 0x7fffffff, v12
	s_delay_alu instid0(VALU_DEP_1)
	v_dual_cndmask_b32 v2, v2, v5 :: v_dual_cndmask_b32 v1, v1, v11
	s_branch .LBB25_10
.LBB25_67:                              ;   in Loop: Header=BB25_12 Depth=3
	s_mov_b32 s73, exec_lo
	v_cmpx_lt_i32_e64 v5, v35
	s_cbranch_execz .LBB25_75
; %bb.68:                               ;   in Loop: Header=BB25_12 Depth=3
	s_mov_b32 s74, 0
                                        ; implicit-def: $sgpr75
                                        ; implicit-def: $sgpr77
                                        ; implicit-def: $sgpr76
	s_set_inst_prefetch_distance 0x1
	s_branch .LBB25_70
	.p2align	6
.LBB25_69:                              ;   in Loop: Header=BB25_70 Depth=4
	s_or_b32 exec_lo, exec_lo, s78
	s_delay_alu instid0(SALU_CYCLE_1) | instskip(NEXT) | instid1(SALU_CYCLE_1)
	s_and_b32 s78, exec_lo, s77
	s_or_b32 s74, s78, s74
	s_and_not1_b32 s75, s75, exec_lo
	s_and_b32 s78, s76, exec_lo
	s_delay_alu instid0(SALU_CYCLE_1)
	s_or_b32 s75, s75, s78
	s_and_not1_b32 exec_lo, exec_lo, s74
	s_cbranch_execz .LBB25_72
.LBB25_70:                              ;   Parent Loop BB25_3 Depth=1
                                        ;     Parent Loop BB25_7 Depth=2
                                        ;       Parent Loop BB25_12 Depth=3
                                        ; =>      This Inner Loop Header: Depth=4
	v_add_nc_u32_e32 v17, v10, v5
	s_or_b32 s76, s76, exec_lo
	s_or_b32 s77, s77, exec_lo
	s_mov_b32 s78, exec_lo
	s_delay_alu instid0(VALU_DEP_1) | instskip(NEXT) | instid1(VALU_DEP_1)
	v_ashrrev_i32_e32 v18, 31, v17
	v_lshlrev_b64 v[19:20], 2, v[17:18]
	s_delay_alu instid0(VALU_DEP_1) | instskip(NEXT) | instid1(VALU_DEP_2)
	v_add_co_u32 v19, vcc_lo, s24, v19
	v_add_co_ci_u32_e32 v20, vcc_lo, s25, v20, vcc_lo
	global_load_b32 v9, v[19:20], off
	s_waitcnt vmcnt(0)
	v_subrev_nc_u32_e32 v9, s62, v9
	s_delay_alu instid0(VALU_DEP_1)
	v_cmpx_ne_u32_e64 v9, v11
	s_cbranch_execz .LBB25_69
; %bb.71:                               ;   in Loop: Header=BB25_70 Depth=4
	v_add_nc_u32_e32 v5, 1, v5
	s_and_not1_b32 s77, s77, exec_lo
	s_and_not1_b32 s76, s76, exec_lo
	s_delay_alu instid0(VALU_DEP_1) | instskip(SKIP_1) | instid1(SALU_CYCLE_1)
	v_cmp_ge_i32_e32 vcc_lo, v5, v35
	s_and_b32 s79, vcc_lo, exec_lo
	s_or_b32 s77, s77, s79
	s_branch .LBB25_69
.LBB25_72:                              ;   in Loop: Header=BB25_12 Depth=3
	s_set_inst_prefetch_distance 0x2
	s_or_b32 exec_lo, exec_lo, s74
	s_and_saveexec_b32 s74, s75
	s_delay_alu instid0(SALU_CYCLE_1)
	s_xor_b32 s74, exec_lo, s74
	s_cbranch_execz .LBB25_74
; %bb.73:                               ;   in Loop: Header=BB25_12 Depth=3
	v_lshlrev_b64 v[17:18], 3, v[17:18]
	v_lshlrev_b64 v[19:20], 3, v[11:12]
	s_delay_alu instid0(VALU_DEP_2) | instskip(NEXT) | instid1(VALU_DEP_3)
	v_add_co_u32 v17, vcc_lo, s26, v17
	v_add_co_ci_u32_e32 v18, vcc_lo, s27, v18, vcc_lo
	s_delay_alu instid0(VALU_DEP_3) | instskip(NEXT) | instid1(VALU_DEP_4)
	v_add_co_u32 v19, vcc_lo, s48, v19
	v_add_co_ci_u32_e32 v20, vcc_lo, s49, v20, vcc_lo
	global_load_b64 v[17:18], v[17:18], off
	global_load_b64 v[19:20], v[19:20], off
	s_waitcnt vmcnt(0)
	v_fma_f64 v[13:14], v[17:18], v[19:20], v[13:14]
.LBB25_74:                              ;   in Loop: Header=BB25_12 Depth=3
	s_or_b32 exec_lo, exec_lo, s74
.LBB25_75:                              ;   in Loop: Header=BB25_12 Depth=3
	s_delay_alu instid0(SALU_CYCLE_1)
	s_or_b32 exec_lo, exec_lo, s73
                                        ; implicit-def: $vgpr18
                                        ; implicit-def: $vgpr17
                                        ; implicit-def: $vgpr40
	s_and_not1_saveexec_b32 s72, s72
	s_cbranch_execz .LBB25_63
.LBB25_76:                              ;   in Loop: Header=BB25_12 Depth=3
	s_mov_b32 s73, 0
                                        ; implicit-def: $sgpr74
                                        ; implicit-def: $sgpr76
                                        ; implicit-def: $sgpr75
	s_set_inst_prefetch_distance 0x1
	s_branch .LBB25_78
	.p2align	6
.LBB25_77:                              ;   in Loop: Header=BB25_78 Depth=4
	s_or_b32 exec_lo, exec_lo, s77
	s_delay_alu instid0(SALU_CYCLE_1) | instskip(NEXT) | instid1(SALU_CYCLE_1)
	s_and_b32 s77, exec_lo, s76
	s_or_b32 s73, s77, s73
	s_and_not1_b32 s74, s74, exec_lo
	s_and_b32 s77, s75, exec_lo
	s_delay_alu instid0(SALU_CYCLE_1)
	s_or_b32 s74, s74, s77
	s_and_not1_b32 exec_lo, exec_lo, s73
	s_cbranch_execz .LBB25_80
.LBB25_78:                              ;   Parent Loop BB25_3 Depth=1
                                        ;     Parent Loop BB25_7 Depth=2
                                        ;       Parent Loop BB25_12 Depth=3
                                        ; =>      This Inner Loop Header: Depth=4
	v_add_nc_u32_e32 v19, v17, v18
	s_or_b32 s75, s75, exec_lo
	s_or_b32 s76, s76, exec_lo
	s_mov_b32 s77, exec_lo
	s_delay_alu instid0(VALU_DEP_1) | instskip(NEXT) | instid1(VALU_DEP_1)
	v_ashrrev_i32_e32 v20, 31, v19
	v_lshlrev_b64 v[21:22], 2, v[19:20]
	s_delay_alu instid0(VALU_DEP_1) | instskip(NEXT) | instid1(VALU_DEP_2)
	v_add_co_u32 v21, vcc_lo, s16, v21
	v_add_co_ci_u32_e32 v22, vcc_lo, s17, v22, vcc_lo
	global_load_b32 v5, v[21:22], off
	s_waitcnt vmcnt(0)
	v_subrev_nc_u32_e32 v5, s63, v5
	s_delay_alu instid0(VALU_DEP_1)
	v_cmpx_ne_u32_e64 v5, v7
	s_cbranch_execz .LBB25_77
; %bb.79:                               ;   in Loop: Header=BB25_78 Depth=4
	v_add_nc_u32_e32 v18, 1, v18
	s_and_not1_b32 s76, s76, exec_lo
	s_and_not1_b32 s75, s75, exec_lo
	s_delay_alu instid0(VALU_DEP_1) | instskip(SKIP_1) | instid1(SALU_CYCLE_1)
	v_cmp_ge_i32_e32 vcc_lo, v18, v40
	s_and_b32 s78, vcc_lo, exec_lo
	s_or_b32 s76, s76, s78
	s_branch .LBB25_77
.LBB25_80:                              ;   in Loop: Header=BB25_12 Depth=3
	s_set_inst_prefetch_distance 0x2
	s_or_b32 exec_lo, exec_lo, s73
	s_and_saveexec_b32 s73, s74
	s_delay_alu instid0(SALU_CYCLE_1)
	s_xor_b32 s73, exec_lo, s73
	s_cbranch_execz .LBB25_82
; %bb.81:                               ;   in Loop: Header=BB25_12 Depth=3
	v_lshlrev_b64 v[17:18], 3, v[19:20]
	s_delay_alu instid0(VALU_DEP_1) | instskip(NEXT) | instid1(VALU_DEP_2)
	v_add_co_u32 v17, vcc_lo, s18, v17
	v_add_co_ci_u32_e32 v18, vcc_lo, s19, v18, vcc_lo
	global_load_b64 v[17:18], v[17:18], off
	s_waitcnt vmcnt(0)
	v_add_f64 v[13:14], v[13:14], v[17:18]
.LBB25_82:                              ;   in Loop: Header=BB25_12 Depth=3
	s_or_b32 exec_lo, exec_lo, s73
	s_delay_alu instid0(SALU_CYCLE_1) | instskip(NEXT) | instid1(SALU_CYCLE_1)
	s_or_b32 exec_lo, exec_lo, s72
	s_mov_b32 s72, exec_lo
	v_cmpx_eq_u32_e64 v7, v11
	s_cbranch_execnz .LBB25_64
	s_branch .LBB25_65
.LBB25_83:                              ;   in Loop: Header=BB25_3 Depth=1
	v_xor_b32_e32 v11, 8, v27
	v_xor_b32_e32 v10, 4, v27
	;; [unrolled: 1-line block ×4, first 2 shown]
	s_and_b32 vcc_lo, exec_lo, s56
	s_cbranch_vccnz .LBB25_86
; %bb.84:                               ;   in Loop: Header=BB25_3 Depth=1
	s_and_not1_b32 vcc_lo, exec_lo, s33
	s_cbranch_vccz .LBB25_101
.LBB25_85:                              ;   in Loop: Header=BB25_3 Depth=1
	s_and_saveexec_b32 s10, s7
	s_cbranch_execnz .LBB25_116
	s_branch .LBB25_127
.LBB25_86:                              ;   in Loop: Header=BB25_3 Depth=1
	v_cmp_gt_i32_e32 vcc_lo, 32, v11
	v_cmp_gt_i32_e64 s9, 32, v10
	s_delay_alu instid0(VALU_DEP_1) | instskip(SKIP_2) | instid1(VALU_DEP_3)
	v_cndmask_b32_e64 v12, v27, v10, s9
	v_cndmask_b32_e32 v7, v27, v11, vcc_lo
	v_cmp_gt_i32_e64 s9, 32, v9
	v_lshlrev_b32_e32 v12, 2, v12
	s_delay_alu instid0(VALU_DEP_3)
	v_lshlrev_b32_e32 v8, 2, v7
	ds_bpermute_b32 v7, v8, v3
	ds_bpermute_b32 v8, v8, v4
	s_waitcnt lgkmcnt(0)
	v_cmp_lt_f64_e32 vcc_lo, v[3:4], v[7:8]
	v_dual_cndmask_b32 v4, v4, v8 :: v_dual_cndmask_b32 v3, v3, v7
	ds_bpermute_b32 v8, v12, v4
	ds_bpermute_b32 v7, v12, v3
	v_cndmask_b32_e64 v12, v27, v9, s9
	v_cmp_gt_i32_e64 s9, 32, v5
	s_waitcnt lgkmcnt(0)
	v_cmp_lt_f64_e32 vcc_lo, v[3:4], v[7:8]
	s_delay_alu instid0(VALU_DEP_3) | instskip(SKIP_4) | instid1(VALU_DEP_1)
	v_dual_cndmask_b32 v3, v3, v7 :: v_dual_lshlrev_b32 v12, 2, v12
	ds_bpermute_b32 v7, v12, v3
	v_cndmask_b32_e32 v4, v4, v8, vcc_lo
	ds_bpermute_b32 v8, v12, v4
	v_cndmask_b32_e64 v12, v27, v5, s9
	v_lshlrev_b32_e32 v12, 2, v12
	s_waitcnt lgkmcnt(0)
	v_cmp_lt_f64_e32 vcc_lo, v[3:4], v[7:8]
	v_dual_cndmask_b32 v3, v3, v7 :: v_dual_cndmask_b32 v4, v4, v8
	ds_bpermute_b32 v7, v12, v3
	ds_bpermute_b32 v8, v12, v4
	s_and_saveexec_b32 s9, s0
	s_cbranch_execz .LBB25_88
; %bb.87:                               ;   in Loop: Header=BB25_3 Depth=1
	s_waitcnt lgkmcnt(0)
	v_cmp_lt_f64_e32 vcc_lo, v[3:4], v[7:8]
	v_dual_cndmask_b32 v4, v4, v8 :: v_dual_cndmask_b32 v3, v3, v7
	ds_store_b64 v30, v[3:4]
.LBB25_88:                              ;   in Loop: Header=BB25_3 Depth=1
	s_or_b32 exec_lo, exec_lo, s9
	s_waitcnt lgkmcnt(0)
	s_waitcnt_vscnt null, 0x0
	s_barrier
	buffer_gl0_inv
	s_and_saveexec_b32 s9, s1
	s_cbranch_execz .LBB25_90
; %bb.89:                               ;   in Loop: Header=BB25_3 Depth=1
	ds_load_2addr_b64 v[12:15], v28 offset1:32
	s_waitcnt lgkmcnt(0)
	v_cmp_lt_f64_e32 vcc_lo, v[12:13], v[14:15]
	v_dual_cndmask_b32 v4, v13, v15 :: v_dual_cndmask_b32 v3, v12, v14
	ds_store_b64 v28, v[3:4]
.LBB25_90:                              ;   in Loop: Header=BB25_3 Depth=1
	s_or_b32 exec_lo, exec_lo, s9
	s_waitcnt lgkmcnt(0)
	s_barrier
	buffer_gl0_inv
	s_and_saveexec_b32 s9, s2
	s_cbranch_execz .LBB25_92
; %bb.91:                               ;   in Loop: Header=BB25_3 Depth=1
	ds_load_2addr_b64 v[12:15], v28 offset1:16
	s_waitcnt lgkmcnt(0)
	v_cmp_lt_f64_e32 vcc_lo, v[12:13], v[14:15]
	v_dual_cndmask_b32 v4, v13, v15 :: v_dual_cndmask_b32 v3, v12, v14
	ds_store_b64 v28, v[3:4]
.LBB25_92:                              ;   in Loop: Header=BB25_3 Depth=1
	s_or_b32 exec_lo, exec_lo, s9
	s_waitcnt lgkmcnt(0)
	;; [unrolled: 13-line block ×5, first 2 shown]
	s_barrier
	buffer_gl0_inv
	s_and_saveexec_b32 s9, s6
	s_cbranch_execz .LBB25_100
; %bb.99:                               ;   in Loop: Header=BB25_3 Depth=1
	ds_load_b128 v[12:15], v6
	s_waitcnt lgkmcnt(0)
	v_cmp_lt_f64_e32 vcc_lo, v[12:13], v[14:15]
	v_dual_cndmask_b32 v4, v13, v15 :: v_dual_cndmask_b32 v3, v12, v14
	ds_store_b64 v6, v[3:4]
.LBB25_100:                             ;   in Loop: Header=BB25_3 Depth=1
	s_or_b32 exec_lo, exec_lo, s9
	s_waitcnt lgkmcnt(0)
	s_barrier
	buffer_gl0_inv
	ds_load_b64 v[3:4], v6
	s_load_b64 s[68:69], s[54:55], 0x0
	s_waitcnt lgkmcnt(0)
	v_div_scale_f64 v[7:8], null, s[68:69], s[68:69], v[3:4]
	s_delay_alu instid0(VALU_DEP_1) | instskip(SKIP_2) | instid1(VALU_DEP_1)
	v_rcp_f64_e32 v[12:13], v[7:8]
	s_waitcnt_depctr 0xfff
	v_fma_f64 v[14:15], -v[7:8], v[12:13], 1.0
	v_fma_f64 v[12:13], v[12:13], v[14:15], v[12:13]
	s_delay_alu instid0(VALU_DEP_1) | instskip(NEXT) | instid1(VALU_DEP_1)
	v_fma_f64 v[14:15], -v[7:8], v[12:13], 1.0
	v_fma_f64 v[12:13], v[12:13], v[14:15], v[12:13]
	v_div_scale_f64 v[14:15], vcc_lo, v[3:4], s[68:69], v[3:4]
	s_delay_alu instid0(VALU_DEP_1) | instskip(NEXT) | instid1(VALU_DEP_1)
	v_mul_f64 v[16:17], v[14:15], v[12:13]
	v_fma_f64 v[7:8], -v[7:8], v[16:17], v[14:15]
	s_delay_alu instid0(VALU_DEP_1) | instskip(NEXT) | instid1(VALU_DEP_1)
	v_div_fmas_f64 v[7:8], v[7:8], v[12:13], v[16:17]
	v_div_fixup_f64 v[3:4], v[7:8], s[68:69], v[3:4]
	s_and_not1_b32 vcc_lo, exec_lo, s33
	s_cbranch_vccnz .LBB25_85
.LBB25_101:                             ;   in Loop: Header=BB25_3 Depth=1
	v_cmp_gt_i32_e32 vcc_lo, 32, v11
	v_cmp_gt_i32_e64 s9, 32, v10
	s_delay_alu instid0(VALU_DEP_1) | instskip(SKIP_2) | instid1(VALU_DEP_3)
	v_cndmask_b32_e64 v10, v27, v10, s9
	v_cndmask_b32_e32 v7, v27, v11, vcc_lo
	v_cmp_gt_i32_e64 s9, 32, v9
	v_lshlrev_b32_e32 v10, 2, v10
	s_delay_alu instid0(VALU_DEP_3) | instskip(NEXT) | instid1(VALU_DEP_3)
	v_lshlrev_b32_e32 v8, 2, v7
	v_cndmask_b32_e64 v9, v27, v9, s9
	v_cmp_gt_i32_e64 s9, 32, v5
	ds_bpermute_b32 v7, v8, v1
	ds_bpermute_b32 v8, v8, v2
	v_cndmask_b32_e64 v5, v27, v5, s9
	s_delay_alu instid0(VALU_DEP_1)
	v_lshlrev_b32_e32 v5, 2, v5
	s_waitcnt lgkmcnt(0)
	v_cmp_lt_f64_e32 vcc_lo, v[1:2], v[7:8]
	v_dual_cndmask_b32 v2, v2, v8 :: v_dual_cndmask_b32 v1, v1, v7
	ds_bpermute_b32 v8, v10, v2
	ds_bpermute_b32 v7, v10, v1
	s_waitcnt lgkmcnt(0)
	v_cmp_lt_f64_e32 vcc_lo, v[1:2], v[7:8]
	v_dual_cndmask_b32 v2, v2, v8 :: v_dual_lshlrev_b32 v9, 2, v9
	ds_bpermute_b32 v8, v9, v2
	v_cndmask_b32_e32 v1, v1, v7, vcc_lo
	ds_bpermute_b32 v7, v9, v1
	s_waitcnt lgkmcnt(0)
	v_cmp_lt_f64_e32 vcc_lo, v[1:2], v[7:8]
	v_dual_cndmask_b32 v2, v2, v8 :: v_dual_cndmask_b32 v1, v1, v7
	ds_bpermute_b32 v8, v5, v2
	ds_bpermute_b32 v7, v5, v1
	s_and_saveexec_b32 s9, s0
	s_cbranch_execz .LBB25_103
; %bb.102:                              ;   in Loop: Header=BB25_3 Depth=1
	s_waitcnt lgkmcnt(0)
	v_cmp_lt_f64_e32 vcc_lo, v[1:2], v[7:8]
	v_dual_cndmask_b32 v2, v2, v8 :: v_dual_cndmask_b32 v1, v1, v7
	ds_store_b64 v30, v[1:2]
.LBB25_103:                             ;   in Loop: Header=BB25_3 Depth=1
	s_or_b32 exec_lo, exec_lo, s9
	s_waitcnt lgkmcnt(0)
	s_waitcnt_vscnt null, 0x0
	s_barrier
	buffer_gl0_inv
	s_and_saveexec_b32 s9, s1
	s_cbranch_execz .LBB25_105
; %bb.104:                              ;   in Loop: Header=BB25_3 Depth=1
	ds_load_2addr_b64 v[7:10], v28 offset1:32
	s_waitcnt lgkmcnt(0)
	v_cmp_lt_f64_e32 vcc_lo, v[7:8], v[9:10]
	v_dual_cndmask_b32 v2, v8, v10 :: v_dual_cndmask_b32 v1, v7, v9
	ds_store_b64 v28, v[1:2]
.LBB25_105:                             ;   in Loop: Header=BB25_3 Depth=1
	s_or_b32 exec_lo, exec_lo, s9
	s_waitcnt lgkmcnt(0)
	s_barrier
	buffer_gl0_inv
	s_and_saveexec_b32 s9, s2
	s_cbranch_execz .LBB25_107
; %bb.106:                              ;   in Loop: Header=BB25_3 Depth=1
	ds_load_2addr_b64 v[7:10], v28 offset1:16
	s_waitcnt lgkmcnt(0)
	v_cmp_lt_f64_e32 vcc_lo, v[7:8], v[9:10]
	v_dual_cndmask_b32 v2, v8, v10 :: v_dual_cndmask_b32 v1, v7, v9
	ds_store_b64 v28, v[1:2]
.LBB25_107:                             ;   in Loop: Header=BB25_3 Depth=1
	s_or_b32 exec_lo, exec_lo, s9
	s_waitcnt lgkmcnt(0)
	;; [unrolled: 13-line block ×5, first 2 shown]
	s_barrier
	buffer_gl0_inv
	s_and_saveexec_b32 s9, s6
	s_cbranch_execz .LBB25_115
; %bb.114:                              ;   in Loop: Header=BB25_3 Depth=1
	ds_load_b128 v[7:10], v6
	s_waitcnt lgkmcnt(0)
	v_cmp_lt_f64_e32 vcc_lo, v[7:8], v[9:10]
	v_dual_cndmask_b32 v2, v8, v10 :: v_dual_cndmask_b32 v1, v7, v9
	ds_store_b64 v6, v[1:2]
.LBB25_115:                             ;   in Loop: Header=BB25_3 Depth=1
	s_or_b32 exec_lo, exec_lo, s9
	s_waitcnt lgkmcnt(0)
	s_barrier
	buffer_gl0_inv
	ds_load_b64 v[1:2], v6
	s_load_b64 s[68:69], s[54:55], 0x0
	s_waitcnt lgkmcnt(0)
	v_div_scale_f64 v[7:8], null, s[68:69], s[68:69], v[1:2]
	s_delay_alu instid0(VALU_DEP_1) | instskip(SKIP_2) | instid1(VALU_DEP_1)
	v_rcp_f64_e32 v[9:10], v[7:8]
	s_waitcnt_depctr 0xfff
	v_fma_f64 v[11:12], -v[7:8], v[9:10], 1.0
	v_fma_f64 v[9:10], v[9:10], v[11:12], v[9:10]
	s_delay_alu instid0(VALU_DEP_1) | instskip(NEXT) | instid1(VALU_DEP_1)
	v_fma_f64 v[11:12], -v[7:8], v[9:10], 1.0
	v_fma_f64 v[9:10], v[9:10], v[11:12], v[9:10]
	v_div_scale_f64 v[11:12], vcc_lo, v[1:2], s[68:69], v[1:2]
	s_delay_alu instid0(VALU_DEP_1) | instskip(NEXT) | instid1(VALU_DEP_1)
	v_mul_f64 v[13:14], v[11:12], v[9:10]
	v_fma_f64 v[7:8], -v[7:8], v[13:14], v[11:12]
	s_delay_alu instid0(VALU_DEP_1) | instskip(NEXT) | instid1(VALU_DEP_1)
	v_div_fmas_f64 v[7:8], v[7:8], v[9:10], v[13:14]
	v_div_fixup_f64 v[1:2], v[7:8], s[68:69], v[1:2]
	s_and_saveexec_b32 s10, s7
	s_cbranch_execz .LBB25_127
.LBB25_116:                             ;   in Loop: Header=BB25_3 Depth=1
	v_mov_b32_e32 v7, v29
	s_mov_b32 s68, 0
	s_branch .LBB25_118
.LBB25_117:                             ;   in Loop: Header=BB25_118 Depth=2
	s_or_b32 exec_lo, exec_lo, s69
	v_add_nc_u32_e32 v7, 64, v7
	s_delay_alu instid0(VALU_DEP_1) | instskip(SKIP_1) | instid1(SALU_CYCLE_1)
	v_cmp_le_u32_e32 vcc_lo, s64, v7
	s_or_b32 s68, vcc_lo, s68
	s_and_not1_b32 exec_lo, exec_lo, s68
	s_cbranch_execz .LBB25_127
.LBB25_118:                             ;   Parent Loop BB25_3 Depth=1
                                        ; =>  This Loop Header: Depth=2
                                        ;       Child Loop BB25_121 Depth 3
                                        ;       Child Loop BB25_124 Depth 3
	s_mov_b32 s69, exec_lo
	s_delay_alu instid0(VALU_DEP_1)
	v_cmpx_gt_i32_e64 s57, v7
	s_cbranch_execz .LBB25_117
; %bb.119:                              ;   in Loop: Header=BB25_118 Depth=2
	v_ashrrev_i32_e32 v8, 31, v7
	s_mov_b32 s70, exec_lo
	s_delay_alu instid0(VALU_DEP_1) | instskip(NEXT) | instid1(VALU_DEP_1)
	v_lshlrev_b64 v[9:10], 2, v[7:8]
	v_add_co_u32 v11, vcc_lo, s20, v9
	s_delay_alu instid0(VALU_DEP_2)
	v_add_co_ci_u32_e32 v12, vcc_lo, s21, v10, vcc_lo
	v_add_co_u32 v13, vcc_lo, s22, v9
	v_add_co_ci_u32_e32 v14, vcc_lo, s23, v10, vcc_lo
	global_load_b32 v5, v[11:12], off
	global_load_b32 v12, v[13:14], off
	s_waitcnt vmcnt(1)
	v_add_nc_u32_e32 v11, v32, v5
	s_waitcnt vmcnt(0)
	v_subrev_nc_u32_e32 v5, s62, v12
	s_delay_alu instid0(VALU_DEP_1)
	v_cmpx_lt_i32_e64 v11, v5
	s_cbranch_execz .LBB25_122
; %bb.120:                              ;   in Loop: Header=BB25_118 Depth=2
	v_ashrrev_i32_e32 v12, 31, v11
	s_mov_b32 s71, 0
	s_delay_alu instid0(VALU_DEP_1) | instskip(NEXT) | instid1(VALU_DEP_1)
	v_lshlrev_b64 v[14:15], 3, v[11:12]
	v_add_co_u32 v12, vcc_lo, s52, v14
	s_delay_alu instid0(VALU_DEP_2)
	v_add_co_ci_u32_e32 v13, vcc_lo, s53, v15, vcc_lo
	v_add_co_u32 v14, vcc_lo, s26, v14
	v_add_co_ci_u32_e32 v15, vcc_lo, s27, v15, vcc_lo
	.p2align	6
.LBB25_121:                             ;   Parent Loop BB25_3 Depth=1
                                        ;     Parent Loop BB25_118 Depth=2
                                        ; =>    This Inner Loop Header: Depth=3
	global_load_b64 v[16:17], v[12:13], off
	v_add_nc_u32_e32 v11, 16, v11
	v_add_co_u32 v12, vcc_lo, 0x80, v12
	v_add_co_ci_u32_e32 v13, vcc_lo, 0, v13, vcc_lo
	s_delay_alu instid0(VALU_DEP_3) | instskip(SKIP_4) | instid1(VALU_DEP_1)
	v_cmp_ge_i32_e32 vcc_lo, v11, v5
	s_or_b32 s71, vcc_lo, s71
	s_waitcnt vmcnt(0)
	global_store_b64 v[14:15], v[16:17], off
	v_add_co_u32 v14, s9, 0x80, v14
	v_add_co_ci_u32_e64 v15, s9, 0, v15, s9
	s_and_not1_b32 exec_lo, exec_lo, s71
	s_cbranch_execnz .LBB25_121
.LBB25_122:                             ;   in Loop: Header=BB25_118 Depth=2
	s_or_b32 exec_lo, exec_lo, s70
	v_add_co_u32 v11, vcc_lo, s12, v9
	v_add_co_ci_u32_e32 v12, vcc_lo, s13, v10, vcc_lo
	v_add_co_u32 v9, vcc_lo, s14, v9
	v_add_co_ci_u32_e32 v10, vcc_lo, s15, v10, vcc_lo
	s_mov_b32 s70, exec_lo
	global_load_b32 v5, v[11:12], off
	global_load_b32 v10, v[9:10], off
	s_waitcnt vmcnt(1)
	v_add_nc_u32_e32 v9, v33, v5
	s_waitcnt vmcnt(0)
	v_subrev_nc_u32_e32 v5, s63, v10
	s_delay_alu instid0(VALU_DEP_1)
	v_cmpx_lt_i32_e64 v9, v5
	s_cbranch_execz .LBB25_125
; %bb.123:                              ;   in Loop: Header=BB25_118 Depth=2
	v_ashrrev_i32_e32 v10, 31, v9
	s_mov_b32 s71, 0
	s_delay_alu instid0(VALU_DEP_1) | instskip(NEXT) | instid1(VALU_DEP_1)
	v_lshlrev_b64 v[12:13], 3, v[9:10]
	v_add_co_u32 v10, vcc_lo, s34, v12
	s_delay_alu instid0(VALU_DEP_2)
	v_add_co_ci_u32_e32 v11, vcc_lo, s35, v13, vcc_lo
	v_add_co_u32 v12, vcc_lo, s18, v12
	v_add_co_ci_u32_e32 v13, vcc_lo, s19, v13, vcc_lo
	.p2align	6
.LBB25_124:                             ;   Parent Loop BB25_3 Depth=1
                                        ;     Parent Loop BB25_118 Depth=2
                                        ; =>    This Inner Loop Header: Depth=3
	global_load_b64 v[14:15], v[10:11], off
	v_add_nc_u32_e32 v9, 16, v9
	v_add_co_u32 v10, vcc_lo, 0x80, v10
	v_add_co_ci_u32_e32 v11, vcc_lo, 0, v11, vcc_lo
	s_delay_alu instid0(VALU_DEP_3) | instskip(SKIP_4) | instid1(VALU_DEP_1)
	v_cmp_ge_i32_e32 vcc_lo, v9, v5
	s_or_b32 s71, vcc_lo, s71
	s_waitcnt vmcnt(0)
	global_store_b64 v[12:13], v[14:15], off
	v_add_co_u32 v12, s9, 0x80, v12
	v_add_co_ci_u32_e64 v13, s9, 0, v13, s9
	s_and_not1_b32 exec_lo, exec_lo, s71
	s_cbranch_execnz .LBB25_124
.LBB25_125:                             ;   in Loop: Header=BB25_118 Depth=2
	s_or_b32 exec_lo, exec_lo, s70
	s_delay_alu instid0(SALU_CYCLE_1)
	s_and_b32 exec_lo, exec_lo, s8
	s_cbranch_execz .LBB25_117
; %bb.126:                              ;   in Loop: Header=BB25_118 Depth=2
	v_lshlrev_b64 v[8:9], 3, v[7:8]
	s_delay_alu instid0(VALU_DEP_1) | instskip(NEXT) | instid1(VALU_DEP_2)
	v_add_co_u32 v10, vcc_lo, s50, v8
	v_add_co_ci_u32_e32 v11, vcc_lo, s51, v9, vcc_lo
	v_add_co_u32 v8, vcc_lo, s48, v8
	v_add_co_ci_u32_e32 v9, vcc_lo, s49, v9, vcc_lo
	global_load_b64 v[10:11], v[10:11], off
	s_waitcnt vmcnt(0)
	global_store_b64 v[8:9], v[10:11], off
	s_branch .LBB25_117
.LBB25_127:                             ;   in Loop: Header=BB25_3 Depth=1
	s_or_b32 exec_lo, exec_lo, s10
	s_mov_b32 s10, -1
	s_and_b32 vcc_lo, exec_lo, s58
	s_mov_b32 s9, -1
	s_cbranch_vccz .LBB25_137
; %bb.128:                              ;   in Loop: Header=BB25_3 Depth=1
	s_and_b32 vcc_lo, exec_lo, s66
                                        ; implicit-def: $sgpr68
	s_cbranch_vccz .LBB25_134
; %bb.129:                              ;   in Loop: Header=BB25_3 Depth=1
	s_and_b32 vcc_lo, exec_lo, s65
                                        ; implicit-def: $sgpr68
	s_cbranch_vccz .LBB25_131
; %bb.130:                              ;   in Loop: Header=BB25_3 Depth=1
	s_delay_alu instid0(VALU_DEP_1)
	v_cmp_ge_f64_e32 vcc_lo, s[46:47], v[1:2]
	s_mov_b32 s9, 0
	s_and_b32 s68, vcc_lo, exec_lo
.LBB25_131:                             ;   in Loop: Header=BB25_3 Depth=1
	s_and_not1_b32 vcc_lo, exec_lo, s9
	s_cbranch_vccnz .LBB25_133
; %bb.132:                              ;   in Loop: Header=BB25_3 Depth=1
	s_delay_alu instid0(VALU_DEP_1) | instskip(SKIP_2) | instid1(SALU_CYCLE_1)
	v_cmp_ge_f64_e32 vcc_lo, s[46:47], v[3:4]
	s_and_not1_b32 s9, s68, exec_lo
	s_and_b32 s68, vcc_lo, exec_lo
	s_or_b32 s68, s9, s68
.LBB25_133:                             ;   in Loop: Header=BB25_3 Depth=1
	s_mov_b32 s9, 0
.LBB25_134:                             ;   in Loop: Header=BB25_3 Depth=1
	s_delay_alu instid0(SALU_CYCLE_1)
	s_and_not1_b32 vcc_lo, exec_lo, s9
	s_cbranch_vccnz .LBB25_136
; %bb.135:                              ;   in Loop: Header=BB25_3 Depth=1
	s_delay_alu instid0(VALU_DEP_1) | instskip(NEXT) | instid1(VALU_DEP_2)
	v_cmp_ge_f64_e32 vcc_lo, s[46:47], v[3:4]
	v_cmp_ge_f64_e64 s9, s[46:47], v[1:2]
	s_and_not1_b32 s68, s68, exec_lo
	s_delay_alu instid0(VALU_DEP_1) | instskip(NEXT) | instid1(SALU_CYCLE_1)
	s_and_b32 s9, vcc_lo, s9
	s_and_b32 s9, s9, exec_lo
	s_delay_alu instid0(SALU_CYCLE_1)
	s_or_b32 s68, s68, s9
.LBB25_136:                             ;   in Loop: Header=BB25_3 Depth=1
	s_delay_alu instid0(SALU_CYCLE_1)
	s_xor_b32 s9, s68, -1
.LBB25_137:                             ;   in Loop: Header=BB25_3 Depth=1
	v_mov_b32_e32 v5, s67
	s_and_saveexec_b32 s68, s9
	s_cbranch_execz .LBB25_2
; %bb.138:                              ;   in Loop: Header=BB25_3 Depth=1
	s_add_i32 s67, s67, 1
	v_mov_b32_e32 v5, s11
	s_cmp_eq_u32 s67, s11
	s_cselect_b32 s9, -1, 0
	s_delay_alu instid0(SALU_CYCLE_1)
	s_or_not1_b32 s10, s9, exec_lo
	s_branch .LBB25_2
.LBB25_139:
	s_or_b32 exec_lo, exec_lo, s59
.LBB25_140:
	s_delay_alu instid0(SALU_CYCLE_1) | instskip(NEXT) | instid1(SALU_CYCLE_1)
	s_or_b32 exec_lo, exec_lo, s60
	s_and_not1_b32 vcc_lo, exec_lo, s58
	s_cbranch_vccnz .LBB25_159
; %bb.141:
	v_xor_b32_e32 v6, 8, v27
	v_xor_b32_e32 v7, 4, v27
	s_mov_b32 s0, exec_lo
	s_delay_alu instid0(VALU_DEP_2) | instskip(SKIP_1) | instid1(VALU_DEP_3)
	v_cmp_gt_i32_e32 vcc_lo, 32, v6
	v_cndmask_b32_e32 v6, v27, v6, vcc_lo
	v_cmp_gt_i32_e32 vcc_lo, 32, v7
	v_cndmask_b32_e32 v7, v27, v7, vcc_lo
	s_delay_alu instid0(VALU_DEP_1) | instskip(NEXT) | instid1(VALU_DEP_4)
	v_lshlrev_b32_e32 v7, 2, v7
	v_lshlrev_b32_e32 v6, 2, v6
	ds_bpermute_b32 v6, v6, v5
	s_waitcnt lgkmcnt(0)
	v_max_i32_e32 v5, v5, v6
	ds_bpermute_b32 v6, v7, v5
	v_xor_b32_e32 v7, 2, v27
	s_delay_alu instid0(VALU_DEP_1) | instskip(SKIP_1) | instid1(VALU_DEP_1)
	v_cmp_gt_i32_e32 vcc_lo, 32, v7
	v_cndmask_b32_e32 v7, v27, v7, vcc_lo
	v_lshlrev_b32_e32 v7, 2, v7
	s_waitcnt lgkmcnt(0)
	v_max_i32_e32 v5, v5, v6
	ds_bpermute_b32 v6, v7, v5
	v_xor_b32_e32 v7, 1, v27
	s_delay_alu instid0(VALU_DEP_1) | instskip(SKIP_3) | instid1(VALU_DEP_2)
	v_cmp_gt_i32_e32 vcc_lo, 32, v7
	v_cndmask_b32_e32 v7, v27, v7, vcc_lo
	s_waitcnt lgkmcnt(0)
	v_max_i32_e32 v5, v5, v6
	v_lshlrev_b32_e32 v6, 2, v7
	ds_bpermute_b32 v6, v6, v5
	v_cmpx_eq_u32_e32 15, v26
	s_cbranch_execz .LBB25_143
; %bb.142:
	v_lshlrev_b32_e32 v7, 2, v25
	s_waitcnt lgkmcnt(0)
	v_max_i32_e32 v5, v5, v6
	ds_store_b32 v7, v5 offset:512
.LBB25_143:
	s_or_b32 exec_lo, exec_lo, s0
	v_lshlrev_b32_e32 v5, 2, v0
	s_mov_b32 s0, exec_lo
	s_waitcnt lgkmcnt(0)
	s_waitcnt_vscnt null, 0x0
	s_barrier
	buffer_gl0_inv
	v_cmpx_gt_u32_e32 32, v0
	s_cbranch_execz .LBB25_145
; %bb.144:
	ds_load_2addr_b32 v[6:7], v5 offset0:128 offset1:160
	s_waitcnt lgkmcnt(0)
	v_max_i32_e32 v6, v6, v7
	ds_store_b32 v5, v6 offset:512
.LBB25_145:
	s_or_b32 exec_lo, exec_lo, s0
	s_delay_alu instid0(SALU_CYCLE_1)
	s_mov_b32 s0, exec_lo
	s_waitcnt lgkmcnt(0)
	s_barrier
	buffer_gl0_inv
	v_cmpx_gt_u32_e32 16, v0
	s_cbranch_execz .LBB25_147
; %bb.146:
	ds_load_2addr_b32 v[6:7], v5 offset0:128 offset1:144
	s_waitcnt lgkmcnt(0)
	v_max_i32_e32 v6, v6, v7
	ds_store_b32 v5, v6 offset:512
.LBB25_147:
	s_or_b32 exec_lo, exec_lo, s0
	s_delay_alu instid0(SALU_CYCLE_1)
	s_mov_b32 s0, exec_lo
	s_waitcnt lgkmcnt(0)
	;; [unrolled: 14-line block ×4, first 2 shown]
	s_barrier
	buffer_gl0_inv
	v_cmpx_gt_u32_e32 2, v0
	s_cbranch_execz .LBB25_153
; %bb.152:
	ds_load_2addr_b32 v[6:7], v5 offset0:128 offset1:130
	s_waitcnt lgkmcnt(0)
	v_max_i32_e32 v6, v6, v7
	ds_store_b32 v5, v6 offset:512
.LBB25_153:
	s_or_b32 exec_lo, exec_lo, s0
	v_cmp_eq_u32_e32 vcc_lo, 0, v0
	s_waitcnt lgkmcnt(0)
	s_barrier
	buffer_gl0_inv
	s_and_saveexec_b32 s0, vcc_lo
	s_cbranch_execz .LBB25_155
; %bb.154:
	v_mov_b32_e32 v7, 0
	ds_load_b64 v[5:6], v7 offset:512
	s_waitcnt lgkmcnt(0)
	v_max_i32_e32 v5, v5, v6
	ds_store_b32 v7, v5 offset:512
.LBB25_155:
	s_or_b32 exec_lo, exec_lo, s0
	s_waitcnt lgkmcnt(0)
	s_barrier
	buffer_gl0_inv
	s_and_saveexec_b32 s0, vcc_lo
	s_cbranch_execz .LBB25_158
; %bb.156:
	v_mbcnt_lo_u32_b32 v5, exec_lo, 0
	s_delay_alu instid0(VALU_DEP_1)
	v_cmp_eq_u32_e32 vcc_lo, 0, v5
	s_and_b32 exec_lo, exec_lo, vcc_lo
	s_cbranch_execz .LBB25_158
; %bb.157:
	v_mov_b32_e32 v5, 0
	ds_load_b32 v6, v5 offset:512
	s_waitcnt lgkmcnt(0)
	v_add_nc_u32_e32 v6, 1, v6
	global_atomic_max_i32 v5, v6, s[44:45]
.LBB25_158:
	s_or_b32 exec_lo, exec_lo, s0
.LBB25_159:
	v_cmp_eq_u32_e32 vcc_lo, 0, v0
	s_mov_b32 s2, 0
	s_and_b32 s0, vcc_lo, s56
	s_delay_alu instid0(SALU_CYCLE_1)
	s_and_saveexec_b32 s4, s0
	s_cbranch_execz .LBB25_164
; %bb.160:
	v_mov_b32_e32 v0, 0
	s_delay_alu instid0(VALU_DEP_4)
	v_cmp_eq_f64_e64 s0, 0, v[3:4]
	s_brev_b32 s3, 1
                                        ; implicit-def: $sgpr5
	global_load_b64 v[5:6], v0, s[28:29] glc
	s_waitcnt vmcnt(0)
	v_cmp_eq_u64_e64 s6, s[2:3], v[5:6]
                                        ; implicit-def: $sgpr3
	s_set_inst_prefetch_distance 0x1
	s_branch .LBB25_162
	.p2align	6
.LBB25_161:                             ;   in Loop: Header=BB25_162 Depth=1
	s_or_b32 exec_lo, exec_lo, s7
	s_delay_alu instid0(SALU_CYCLE_1) | instskip(NEXT) | instid1(SALU_CYCLE_1)
	s_and_b32 s1, exec_lo, s3
	s_or_b32 s2, s1, s2
	s_and_not1_b32 s1, s6, exec_lo
	s_and_b32 s6, s5, exec_lo
	s_delay_alu instid0(SALU_CYCLE_1)
	s_or_b32 s6, s1, s6
	s_and_not1_b32 exec_lo, exec_lo, s2
	s_cbranch_execz .LBB25_164
.LBB25_162:                             ; =>This Inner Loop Header: Depth=1
	v_cmp_lt_f64_e64 s1, v[5:6], v[3:4]
	s_delay_alu instid0(VALU_DEP_2) | instskip(SKIP_2) | instid1(VALU_DEP_1)
	s_and_b32 s7, s0, s6
	s_and_not1_b32 s5, s5, exec_lo
	s_or_b32 s3, s3, exec_lo
	s_or_b32 s1, s1, s7
	s_delay_alu instid0(SALU_CYCLE_1)
	s_and_saveexec_b32 s7, s1
	s_cbranch_execz .LBB25_161
; %bb.163:                              ;   in Loop: Header=BB25_162 Depth=1
	global_atomic_cmpswap_b64 v[7:8], v0, v[3:6], s[28:29] glc
	s_and_not1_b32 s5, s5, exec_lo
	s_and_not1_b32 s3, s3, exec_lo
	s_waitcnt vmcnt(0)
	v_cmp_eq_u64_e64 s1, v[7:8], v[5:6]
	s_delay_alu instid0(VALU_DEP_1) | instskip(SKIP_2) | instid1(SALU_CYCLE_1)
	v_cndmask_b32_e64 v6, v8, v6, s1
	v_cndmask_b32_e64 v5, v7, v5, s1
	s_and_b32 s1, s1, exec_lo
	s_or_b32 s3, s3, s1
	s_delay_alu instid0(VALU_DEP_1) | instskip(SKIP_1) | instid1(VALU_DEP_2)
	v_cmp_class_f64_e64 s6, v[5:6], 32
	v_dual_mov_b32 v5, v7 :: v_dual_mov_b32 v6, v8
	s_and_b32 s6, s6, exec_lo
	s_delay_alu instid0(SALU_CYCLE_1)
	s_or_b32 s5, s5, s6
                                        ; implicit-def: $sgpr6
	s_branch .LBB25_161
.LBB25_164:
	s_set_inst_prefetch_distance 0x2
	s_or_b32 exec_lo, exec_lo, s4
	s_and_b32 s0, vcc_lo, s33
	s_delay_alu instid0(SALU_CYCLE_1)
	s_and_saveexec_b32 s1, s0
	s_cbranch_execz .LBB25_169
; %bb.165:
	v_mov_b32_e32 v0, 0
	s_delay_alu instid0(VALU_DEP_4)
	v_cmp_eq_f64_e32 vcc_lo, 0, v[1:2]
	s_brev_b32 s3, 1
	s_mov_b32 s2, 0
                                        ; implicit-def: $sgpr1
	global_load_b64 v[3:4], v0, s[30:31] glc
	s_waitcnt vmcnt(0)
	v_cmp_eq_u64_e64 s4, s[2:3], v[3:4]
                                        ; implicit-def: $sgpr3
	s_set_inst_prefetch_distance 0x1
	s_branch .LBB25_167
	.p2align	6
.LBB25_166:                             ;   in Loop: Header=BB25_167 Depth=1
	s_or_b32 exec_lo, exec_lo, s5
	s_delay_alu instid0(SALU_CYCLE_1) | instskip(NEXT) | instid1(SALU_CYCLE_1)
	s_and_b32 s0, exec_lo, s1
	s_or_b32 s2, s0, s2
	s_and_not1_b32 s0, s4, exec_lo
	s_and_b32 s4, s3, exec_lo
	s_delay_alu instid0(SALU_CYCLE_1)
	s_or_b32 s4, s0, s4
	s_and_not1_b32 exec_lo, exec_lo, s2
	s_cbranch_execz .LBB25_169
.LBB25_167:                             ; =>This Inner Loop Header: Depth=1
	v_cmp_lt_f64_e64 s0, v[3:4], v[1:2]
	s_delay_alu instid0(VALU_DEP_2) | instskip(SKIP_2) | instid1(VALU_DEP_1)
	s_and_b32 s5, vcc_lo, s4
	s_and_not1_b32 s3, s3, exec_lo
	s_or_b32 s1, s1, exec_lo
	s_or_b32 s0, s0, s5
	s_delay_alu instid0(SALU_CYCLE_1)
	s_and_saveexec_b32 s5, s0
	s_cbranch_execz .LBB25_166
; %bb.168:                              ;   in Loop: Header=BB25_167 Depth=1
	global_atomic_cmpswap_b64 v[5:6], v0, v[1:4], s[30:31] glc
	s_and_not1_b32 s3, s3, exec_lo
	s_and_not1_b32 s1, s1, exec_lo
	s_waitcnt vmcnt(0)
	v_cmp_eq_u64_e64 s0, v[5:6], v[3:4]
	s_delay_alu instid0(VALU_DEP_1) | instskip(SKIP_2) | instid1(SALU_CYCLE_1)
	v_cndmask_b32_e64 v4, v6, v4, s0
	v_cndmask_b32_e64 v3, v5, v3, s0
	s_and_b32 s0, s0, exec_lo
	s_or_b32 s1, s1, s0
	s_delay_alu instid0(VALU_DEP_1) | instskip(SKIP_1) | instid1(VALU_DEP_2)
	v_cmp_class_f64_e64 s4, v[3:4], 32
	v_dual_mov_b32 v3, v5 :: v_dual_mov_b32 v4, v6
	s_and_b32 s4, s4, exec_lo
	s_delay_alu instid0(SALU_CYCLE_1)
	s_or_b32 s3, s3, s4
                                        ; implicit-def: $sgpr4
	s_branch .LBB25_166
.LBB25_169:
	s_set_inst_prefetch_distance 0x2
	s_nop 0
	s_sendmsg sendmsg(MSG_DEALLOC_VGPRS)
	s_endpgm
	.section	.rodata,"a",@progbits
	.p2align	6, 0x0
	.amdhsa_kernel _ZN9rocsparseL6kernelILi1024ELi16EdiiEEvbbbT3_PS1_NS_15floating_traitsIT1_E6data_tES1_T2_PKS7_S9_PKS1_PKS4_21rocsparse_index_base_S9_S9_SB_PS4_SF_SE_S9_S9_SB_SF_SF_SE_SF_SF_PS6_SG_PKS6_
		.amdhsa_group_segment_fixed_size 768
		.amdhsa_private_segment_fixed_size 0
		.amdhsa_kernarg_size 208
		.amdhsa_user_sgpr_count 15
		.amdhsa_user_sgpr_dispatch_ptr 0
		.amdhsa_user_sgpr_queue_ptr 0
		.amdhsa_user_sgpr_kernarg_segment_ptr 1
		.amdhsa_user_sgpr_dispatch_id 0
		.amdhsa_user_sgpr_private_segment_size 0
		.amdhsa_wavefront_size32 1
		.amdhsa_uses_dynamic_stack 0
		.amdhsa_enable_private_segment 0
		.amdhsa_system_sgpr_workgroup_id_x 1
		.amdhsa_system_sgpr_workgroup_id_y 0
		.amdhsa_system_sgpr_workgroup_id_z 0
		.amdhsa_system_sgpr_workgroup_info 0
		.amdhsa_system_vgpr_workitem_id 0
		.amdhsa_next_free_vgpr 47
		.amdhsa_next_free_sgpr 82
		.amdhsa_reserve_vcc 1
		.amdhsa_float_round_mode_32 0
		.amdhsa_float_round_mode_16_64 0
		.amdhsa_float_denorm_mode_32 3
		.amdhsa_float_denorm_mode_16_64 3
		.amdhsa_dx10_clamp 1
		.amdhsa_ieee_mode 1
		.amdhsa_fp16_overflow 0
		.amdhsa_workgroup_processor_mode 1
		.amdhsa_memory_ordered 1
		.amdhsa_forward_progress 0
		.amdhsa_shared_vgpr_count 0
		.amdhsa_exception_fp_ieee_invalid_op 0
		.amdhsa_exception_fp_denorm_src 0
		.amdhsa_exception_fp_ieee_div_zero 0
		.amdhsa_exception_fp_ieee_overflow 0
		.amdhsa_exception_fp_ieee_underflow 0
		.amdhsa_exception_fp_ieee_inexact 0
		.amdhsa_exception_int_div_zero 0
	.end_amdhsa_kernel
	.section	.text._ZN9rocsparseL6kernelILi1024ELi16EdiiEEvbbbT3_PS1_NS_15floating_traitsIT1_E6data_tES1_T2_PKS7_S9_PKS1_PKS4_21rocsparse_index_base_S9_S9_SB_PS4_SF_SE_S9_S9_SB_SF_SF_SE_SF_SF_PS6_SG_PKS6_,"axG",@progbits,_ZN9rocsparseL6kernelILi1024ELi16EdiiEEvbbbT3_PS1_NS_15floating_traitsIT1_E6data_tES1_T2_PKS7_S9_PKS1_PKS4_21rocsparse_index_base_S9_S9_SB_PS4_SF_SE_S9_S9_SB_SF_SF_SE_SF_SF_PS6_SG_PKS6_,comdat
.Lfunc_end25:
	.size	_ZN9rocsparseL6kernelILi1024ELi16EdiiEEvbbbT3_PS1_NS_15floating_traitsIT1_E6data_tES1_T2_PKS7_S9_PKS1_PKS4_21rocsparse_index_base_S9_S9_SB_PS4_SF_SE_S9_S9_SB_SF_SF_SE_SF_SF_PS6_SG_PKS6_, .Lfunc_end25-_ZN9rocsparseL6kernelILi1024ELi16EdiiEEvbbbT3_PS1_NS_15floating_traitsIT1_E6data_tES1_T2_PKS7_S9_PKS1_PKS4_21rocsparse_index_base_S9_S9_SB_PS4_SF_SE_S9_S9_SB_SF_SF_SE_SF_SF_PS6_SG_PKS6_
                                        ; -- End function
	.section	.AMDGPU.csdata,"",@progbits
; Kernel info:
; codeLenInByte = 6716
; NumSgprs: 84
; NumVgprs: 47
; ScratchSize: 0
; MemoryBound: 1
; FloatMode: 240
; IeeeMode: 1
; LDSByteSize: 768 bytes/workgroup (compile time only)
; SGPRBlocks: 10
; VGPRBlocks: 5
; NumSGPRsForWavesPerEU: 84
; NumVGPRsForWavesPerEU: 47
; Occupancy: 16
; WaveLimiterHint : 1
; COMPUTE_PGM_RSRC2:SCRATCH_EN: 0
; COMPUTE_PGM_RSRC2:USER_SGPR: 15
; COMPUTE_PGM_RSRC2:TRAP_HANDLER: 0
; COMPUTE_PGM_RSRC2:TGID_X_EN: 1
; COMPUTE_PGM_RSRC2:TGID_Y_EN: 0
; COMPUTE_PGM_RSRC2:TGID_Z_EN: 0
; COMPUTE_PGM_RSRC2:TIDIG_COMP_CNT: 0
	.section	.text._ZN9rocsparseL6kernelILi1024ELi32EdiiEEvbbbT3_PS1_NS_15floating_traitsIT1_E6data_tES1_T2_PKS7_S9_PKS1_PKS4_21rocsparse_index_base_S9_S9_SB_PS4_SF_SE_S9_S9_SB_SF_SF_SE_SF_SF_PS6_SG_PKS6_,"axG",@progbits,_ZN9rocsparseL6kernelILi1024ELi32EdiiEEvbbbT3_PS1_NS_15floating_traitsIT1_E6data_tES1_T2_PKS7_S9_PKS1_PKS4_21rocsparse_index_base_S9_S9_SB_PS4_SF_SE_S9_S9_SB_SF_SF_SE_SF_SF_PS6_SG_PKS6_,comdat
	.globl	_ZN9rocsparseL6kernelILi1024ELi32EdiiEEvbbbT3_PS1_NS_15floating_traitsIT1_E6data_tES1_T2_PKS7_S9_PKS1_PKS4_21rocsparse_index_base_S9_S9_SB_PS4_SF_SE_S9_S9_SB_SF_SF_SE_SF_SF_PS6_SG_PKS6_ ; -- Begin function _ZN9rocsparseL6kernelILi1024ELi32EdiiEEvbbbT3_PS1_NS_15floating_traitsIT1_E6data_tES1_T2_PKS7_S9_PKS1_PKS4_21rocsparse_index_base_S9_S9_SB_PS4_SF_SE_S9_S9_SB_SF_SF_SE_SF_SF_PS6_SG_PKS6_
	.p2align	8
	.type	_ZN9rocsparseL6kernelILi1024ELi32EdiiEEvbbbT3_PS1_NS_15floating_traitsIT1_E6data_tES1_T2_PKS7_S9_PKS1_PKS4_21rocsparse_index_base_S9_S9_SB_PS4_SF_SE_S9_S9_SB_SF_SF_SE_SF_SF_PS6_SG_PKS6_,@function
_ZN9rocsparseL6kernelILi1024ELi32EdiiEEvbbbT3_PS1_NS_15floating_traitsIT1_E6data_tES1_T2_PKS7_S9_PKS1_PKS4_21rocsparse_index_base_S9_S9_SB_PS4_SF_SE_S9_S9_SB_SF_SF_SE_SF_SF_PS6_SG_PKS6_: ; @_ZN9rocsparseL6kernelILi1024ELi32EdiiEEvbbbT3_PS1_NS_15floating_traitsIT1_E6data_tES1_T2_PKS7_S9_PKS1_PKS4_21rocsparse_index_base_S9_S9_SB_PS4_SF_SE_S9_S9_SB_SF_SF_SE_SF_SF_PS6_SG_PKS6_
; %bb.0:
	s_clause 0x4
	s_load_b32 s2, s[0:1], 0x0
	s_load_b64 s[10:11], s[0:1], 0x0
	s_load_b32 s56, s[0:1], 0x18
	s_load_b128 s[44:47], s[0:1], 0x8
	s_load_b128 s[28:31], s[0:1], 0xb8
	v_dual_mov_b32 v5, 0 :: v_dual_lshlrev_b32 v28, 3, v0
	v_lshrrev_b32_e32 v25, 5, v0
	v_mov_b32_e32 v1, 0
	v_mov_b32_e32 v2, 0
	s_delay_alu instid0(VALU_DEP_4)
	v_mov_b32_e32 v6, v5
	v_and_b32_e32 v26, 31, v0
	v_mbcnt_lo_u32_b32 v27, -1, 0
	s_mov_b32 s58, 0
	v_dual_mov_b32 v4, v2 :: v_dual_mov_b32 v3, v1
	ds_store_b64 v28, v[5:6]
	s_waitcnt lgkmcnt(0)
	s_barrier
	buffer_gl0_inv
	s_bitcmp1_b32 s2, 0
	s_cselect_b32 s57, -1, 0
	s_bitcmp1_b32 s2, 8
	s_cselect_b32 s33, -1, 0
	;; [unrolled: 2-line block ×3, first 2 shown]
	s_lshl_b32 s63, s15, 10
	s_cmp_gt_i32 s11, 0
	v_or_b32_e32 v29, s63, v25
	s_cselect_b32 s2, -1, 0
	s_delay_alu instid0(VALU_DEP_1) | instskip(SKIP_1) | instid1(SALU_CYCLE_1)
	v_cmp_gt_i32_e32 vcc_lo, s56, v29
	s_and_b32 s2, s2, vcc_lo
	s_and_saveexec_b32 s59, s2
	s_cbranch_execz .LBB26_136
; %bb.1:
	s_clause 0x9
	s_load_b32 s60, s[0:1], 0x40
	s_load_b32 s61, s[0:1], 0x70
	;; [unrolled: 1-line block ×3, first 2 shown]
	s_load_b64 s[34:35], s[0:1], 0x98
	s_load_b64 s[52:53], s[0:1], 0x68
	;; [unrolled: 1-line block ×3, first 2 shown]
	s_load_b128 s[48:51], s[0:1], 0xa8
	s_load_b256 s[12:19], s[0:1], 0x78
	s_load_b256 s[20:27], s[0:1], 0x48
	;; [unrolled: 1-line block ×3, first 2 shown]
	v_dual_mov_b32 v3, 0 :: v_dual_lshlrev_b32 v30, 3, v25
	v_mov_b32_e32 v4, 0
	s_addk_i32 s63, 0x400
	s_delay_alu instid0(VALU_DEP_2)
	v_dual_mov_b32 v6, 0 :: v_dual_mov_b32 v1, v3
	v_cmp_eq_u32_e64 s0, 31, v26
	v_cmp_gt_u32_e64 s1, 16, v0
	v_cmp_gt_u32_e64 s2, 8, v0
	;; [unrolled: 1-line block ×4, first 2 shown]
	v_cmp_eq_u32_e64 s5, 0, v0
	v_cmp_gt_u32_e64 s6, s63, v29
	s_waitcnt lgkmcnt(0)
	v_subrev_nc_u32_e32 v31, s60, v26
	v_subrev_nc_u32_e32 v32, s61, v26
	;; [unrolled: 1-line block ×3, first 2 shown]
	v_cmp_eq_u32_e64 s7, 0, v26
	v_mov_b32_e32 v2, v4
	s_and_b32 s8, s33, s10
	s_xor_b32 s64, s33, -1
	s_xor_b32 s65, s8, -1
	s_mov_b32 s66, 0
	s_branch .LBB26_3
.LBB26_2:                               ;   in Loop: Header=BB26_3 Depth=1
	s_or_b32 exec_lo, exec_lo, s67
	s_delay_alu instid0(SALU_CYCLE_1) | instskip(NEXT) | instid1(SALU_CYCLE_1)
	s_and_b32 s8, exec_lo, s9
	s_or_b32 s58, s8, s58
	s_delay_alu instid0(SALU_CYCLE_1)
	s_and_not1_b32 exec_lo, exec_lo, s58
	s_cbranch_execz .LBB26_135
.LBB26_3:                               ; =>This Loop Header: Depth=1
                                        ;     Child Loop BB26_7 Depth 2
                                        ;       Child Loop BB26_12 Depth 3
                                        ;         Child Loop BB26_16 Depth 4
                                        ;         Child Loop BB26_37 Depth 4
	;; [unrolled: 1-line block ×5, first 2 shown]
                                        ;     Child Loop BB26_114 Depth 2
                                        ;       Child Loop BB26_117 Depth 3
                                        ;       Child Loop BB26_120 Depth 3
	s_delay_alu instid0(VALU_DEP_2) | instskip(NEXT) | instid1(VALU_DEP_3)
	v_cndmask_b32_e64 v4, v4, 0, s33
	v_cndmask_b32_e64 v3, v3, 0, s33
	s_delay_alu instid0(VALU_DEP_4)
	v_cndmask_b32_e64 v2, v2, 0, s10
	v_cndmask_b32_e64 v1, v1, 0, s10
	s_mov_b32 s67, 0
	s_branch .LBB26_7
.LBB26_4:                               ;   in Loop: Header=BB26_7 Depth=2
	s_or_b32 exec_lo, exec_lo, s70
.LBB26_5:                               ;   in Loop: Header=BB26_7 Depth=2
	s_delay_alu instid0(SALU_CYCLE_1)
	s_or_b32 exec_lo, exec_lo, s69
.LBB26_6:                               ;   in Loop: Header=BB26_7 Depth=2
	s_delay_alu instid0(SALU_CYCLE_1) | instskip(SKIP_1) | instid1(SALU_CYCLE_1)
	s_or_b32 exec_lo, exec_lo, s68
	s_add_i32 s67, s67, 1
	s_cmp_eq_u32 s67, 32
	s_cbranch_scc1 .LBB26_83
.LBB26_7:                               ;   Parent Loop BB26_3 Depth=1
                                        ; =>  This Loop Header: Depth=2
                                        ;       Child Loop BB26_12 Depth 3
                                        ;         Child Loop BB26_16 Depth 4
                                        ;         Child Loop BB26_37 Depth 4
	;; [unrolled: 1-line block ×5, first 2 shown]
	v_lshl_add_u32 v7, s67, 5, v29
	s_mov_b32 s68, exec_lo
	s_delay_alu instid0(VALU_DEP_1)
	v_cmpx_gt_i32_e64 s56, v7
	s_cbranch_execz .LBB26_6
; %bb.8:                                ;   in Loop: Header=BB26_7 Depth=2
	v_ashrrev_i32_e32 v8, 31, v7
	s_mov_b32 s69, exec_lo
	s_delay_alu instid0(VALU_DEP_1) | instskip(NEXT) | instid1(VALU_DEP_1)
	v_lshlrev_b64 v[9:10], 2, v[7:8]
	v_add_co_u32 v11, vcc_lo, s36, v9
	s_delay_alu instid0(VALU_DEP_2)
	v_add_co_ci_u32_e32 v12, vcc_lo, s37, v10, vcc_lo
	v_add_co_u32 v13, vcc_lo, s38, v9
	v_add_co_ci_u32_e32 v14, vcc_lo, s39, v10, vcc_lo
	global_load_b32 v5, v[11:12], off
	global_load_b32 v11, v[13:14], off
	s_waitcnt vmcnt(1)
	v_add_nc_u32_e32 v8, v31, v5
	s_waitcnt vmcnt(0)
	v_subrev_nc_u32_e32 v34, s60, v11
	s_delay_alu instid0(VALU_DEP_1)
	v_cmpx_lt_i32_e64 v8, v34
	s_cbranch_execz .LBB26_5
; %bb.9:                                ;   in Loop: Header=BB26_7 Depth=2
	v_add_co_u32 v11, vcc_lo, s20, v9
	v_add_co_ci_u32_e32 v12, vcc_lo, s21, v10, vcc_lo
	v_add_co_u32 v9, vcc_lo, s22, v9
	v_add_co_ci_u32_e32 v10, vcc_lo, s23, v10, vcc_lo
	global_load_b32 v5, v[11:12], off
	s_mov_b32 s70, 0
	global_load_b32 v9, v[9:10], off
	s_waitcnt vmcnt(1)
	v_subrev_nc_u32_e32 v10, s61, v5
	s_waitcnt vmcnt(0)
	v_sub_nc_u32_e32 v35, v9, v5
	s_delay_alu instid0(VALU_DEP_2) | instskip(NEXT) | instid1(VALU_DEP_2)
	v_ashrrev_i32_e32 v11, 31, v10
	v_cmp_lt_i32_e64 s8, 0, v35
	s_delay_alu instid0(VALU_DEP_2) | instskip(SKIP_1) | instid1(VALU_DEP_2)
	v_lshlrev_b64 v[12:13], 2, v[10:11]
	v_lshlrev_b64 v[14:15], 3, v[10:11]
	v_add_co_u32 v36, vcc_lo, s24, v12
	s_delay_alu instid0(VALU_DEP_3) | instskip(NEXT) | instid1(VALU_DEP_3)
	v_add_co_ci_u32_e32 v37, vcc_lo, s25, v13, vcc_lo
	v_add_co_u32 v38, vcc_lo, s26, v14
	s_delay_alu instid0(VALU_DEP_4)
	v_add_co_ci_u32_e32 v39, vcc_lo, s27, v15, vcc_lo
	s_branch .LBB26_12
.LBB26_10:                              ;   in Loop: Header=BB26_12 Depth=3
	s_or_b32 exec_lo, exec_lo, s71
.LBB26_11:                              ;   in Loop: Header=BB26_12 Depth=3
	s_delay_alu instid0(SALU_CYCLE_1) | instskip(SKIP_1) | instid1(VALU_DEP_1)
	s_or_b32 exec_lo, exec_lo, s9
	v_add_nc_u32_e32 v8, 32, v8
	v_cmp_ge_i32_e32 vcc_lo, v8, v34
	s_or_b32 s70, vcc_lo, s70
	s_delay_alu instid0(SALU_CYCLE_1)
	s_and_not1_b32 exec_lo, exec_lo, s70
	s_cbranch_execz .LBB26_4
.LBB26_12:                              ;   Parent Loop BB26_3 Depth=1
                                        ;     Parent Loop BB26_7 Depth=2
                                        ; =>    This Loop Header: Depth=3
                                        ;         Child Loop BB26_16 Depth 4
                                        ;         Child Loop BB26_37 Depth 4
	;; [unrolled: 1-line block ×5, first 2 shown]
	v_ashrrev_i32_e32 v9, 31, v8
	v_mov_b32_e32 v18, 0
	s_delay_alu instid0(VALU_DEP_2) | instskip(NEXT) | instid1(VALU_DEP_1)
	v_lshlrev_b64 v[11:12], 2, v[8:9]
	v_add_co_u32 v11, vcc_lo, s40, v11
	s_delay_alu instid0(VALU_DEP_2) | instskip(SKIP_3) | instid1(VALU_DEP_1)
	v_add_co_ci_u32_e32 v12, vcc_lo, s41, v12, vcc_lo
	global_load_b32 v5, v[11:12], off
	s_waitcnt vmcnt(0)
	v_subrev_nc_u32_e32 v11, s60, v5
	v_ashrrev_i32_e32 v12, 31, v11
	s_delay_alu instid0(VALU_DEP_1) | instskip(NEXT) | instid1(VALU_DEP_1)
	v_lshlrev_b64 v[13:14], 2, v[11:12]
	v_add_co_u32 v15, vcc_lo, s12, v13
	s_delay_alu instid0(VALU_DEP_2)
	v_add_co_ci_u32_e32 v16, vcc_lo, s13, v14, vcc_lo
	v_add_co_u32 v13, vcc_lo, s14, v13
	v_add_co_ci_u32_e32 v14, vcc_lo, s15, v14, vcc_lo
	global_load_b32 v5, v[15:16], off
	global_load_b32 v15, v[13:14], off
	v_mov_b32_e32 v13, 0
	v_mov_b32_e32 v14, 0
	s_waitcnt vmcnt(1)
	v_subrev_nc_u32_e32 v17, s62, v5
	s_waitcnt vmcnt(0)
	v_sub_nc_u32_e32 v40, v15, v5
	v_mov_b32_e32 v5, 0
	s_and_saveexec_b32 s71, s8
	s_cbranch_execz .LBB26_20
; %bb.13:                               ;   in Loop: Header=BB26_12 Depth=3
	v_ashrrev_i32_e32 v18, 31, v17
	v_mov_b32_e32 v5, 0
	s_mov_b32 s72, 0
                                        ; implicit-def: $sgpr73
	s_delay_alu instid0(VALU_DEP_2) | instskip(SKIP_1) | instid1(VALU_DEP_2)
	v_lshlrev_b64 v[13:14], 2, v[17:18]
	v_lshlrev_b64 v[18:19], 3, v[17:18]
	v_add_co_u32 v15, vcc_lo, s16, v13
	s_delay_alu instid0(VALU_DEP_3) | instskip(NEXT) | instid1(VALU_DEP_3)
	v_add_co_ci_u32_e32 v16, vcc_lo, s17, v14, vcc_lo
	v_add_co_u32 v20, vcc_lo, s18, v18
	v_mov_b32_e32 v13, 0
	v_add_co_ci_u32_e32 v21, vcc_lo, s19, v19, vcc_lo
	v_mov_b32_e32 v14, 0
	v_mov_b32_e32 v18, v5
	s_branch .LBB26_16
.LBB26_14:                              ;   in Loop: Header=BB26_16 Depth=4
	s_or_b32 exec_lo, exec_lo, s9
	v_cmp_le_i32_e32 vcc_lo, v22, v23
	v_cmp_ge_i32_e64 s9, v22, v23
	v_add_co_ci_u32_e32 v5, vcc_lo, 0, v5, vcc_lo
	s_delay_alu instid0(VALU_DEP_2) | instskip(SKIP_1) | instid1(VALU_DEP_2)
	v_add_co_ci_u32_e64 v18, s9, 0, v18, s9
	s_and_not1_b32 s9, s73, exec_lo
	v_cmp_ge_i32_e32 vcc_lo, v5, v35
	s_and_b32 s73, vcc_lo, exec_lo
	s_delay_alu instid0(SALU_CYCLE_1)
	s_or_b32 s73, s9, s73
.LBB26_15:                              ;   in Loop: Header=BB26_16 Depth=4
	s_or_b32 exec_lo, exec_lo, s74
	s_delay_alu instid0(SALU_CYCLE_1) | instskip(NEXT) | instid1(SALU_CYCLE_1)
	s_and_b32 s9, exec_lo, s73
	s_or_b32 s72, s9, s72
	s_delay_alu instid0(SALU_CYCLE_1)
	s_and_not1_b32 exec_lo, exec_lo, s72
	s_cbranch_execz .LBB26_19
.LBB26_16:                              ;   Parent Loop BB26_3 Depth=1
                                        ;     Parent Loop BB26_7 Depth=2
                                        ;       Parent Loop BB26_12 Depth=3
                                        ; =>      This Inner Loop Header: Depth=4
	s_or_b32 s73, s73, exec_lo
	s_mov_b32 s74, exec_lo
	s_delay_alu instid0(VALU_DEP_1)
	v_cmpx_lt_i32_e64 v18, v40
	s_cbranch_execz .LBB26_15
; %bb.17:                               ;   in Loop: Header=BB26_16 Depth=4
	v_mov_b32_e32 v19, v6
	v_lshlrev_b64 v[22:23], 2, v[5:6]
	s_mov_b32 s9, exec_lo
	s_delay_alu instid0(VALU_DEP_2) | instskip(NEXT) | instid1(VALU_DEP_2)
	v_lshlrev_b64 v[41:42], 2, v[18:19]
	v_add_co_u32 v22, vcc_lo, v36, v22
	s_delay_alu instid0(VALU_DEP_3) | instskip(NEXT) | instid1(VALU_DEP_3)
	v_add_co_ci_u32_e32 v23, vcc_lo, v37, v23, vcc_lo
	v_add_co_u32 v41, vcc_lo, v15, v41
	s_delay_alu instid0(VALU_DEP_4)
	v_add_co_ci_u32_e32 v42, vcc_lo, v16, v42, vcc_lo
	global_load_b32 v22, v[22:23], off
	global_load_b32 v23, v[41:42], off
	s_waitcnt vmcnt(1)
	v_subrev_nc_u32_e32 v22, s61, v22
	s_waitcnt vmcnt(0)
	v_subrev_nc_u32_e32 v23, s62, v23
	s_delay_alu instid0(VALU_DEP_1)
	v_cmpx_eq_u32_e64 v22, v23
	s_cbranch_execz .LBB26_14
; %bb.18:                               ;   in Loop: Header=BB26_16 Depth=4
	v_lshlrev_b64 v[41:42], 3, v[5:6]
	v_lshlrev_b64 v[43:44], 3, v[18:19]
	s_delay_alu instid0(VALU_DEP_2) | instskip(NEXT) | instid1(VALU_DEP_3)
	v_add_co_u32 v41, vcc_lo, v38, v41
	v_add_co_ci_u32_e32 v42, vcc_lo, v39, v42, vcc_lo
	s_delay_alu instid0(VALU_DEP_3) | instskip(NEXT) | instid1(VALU_DEP_4)
	v_add_co_u32 v43, vcc_lo, v20, v43
	v_add_co_ci_u32_e32 v44, vcc_lo, v21, v44, vcc_lo
	global_load_b64 v[41:42], v[41:42], off
	global_load_b64 v[43:44], v[43:44], off
	s_waitcnt vmcnt(0)
	v_fma_f64 v[13:14], v[41:42], v[43:44], v[13:14]
	s_branch .LBB26_14
.LBB26_19:                              ;   in Loop: Header=BB26_12 Depth=3
	s_or_b32 exec_lo, exec_lo, s72
.LBB26_20:                              ;   in Loop: Header=BB26_12 Depth=3
	s_delay_alu instid0(SALU_CYCLE_1) | instskip(SKIP_3) | instid1(VALU_DEP_2)
	s_or_b32 exec_lo, exec_lo, s71
	v_lshlrev_b64 v[15:16], 3, v[8:9]
	v_cmp_le_i32_e64 s9, v7, v11
	s_mov_b32 s71, exec_lo
	v_add_co_u32 v15, vcc_lo, s42, v15
	s_delay_alu instid0(VALU_DEP_3)
	v_add_co_ci_u32_e32 v16, vcc_lo, s43, v16, vcc_lo
	global_load_b64 v[15:16], v[15:16], off
	s_waitcnt vmcnt(0)
	v_add_f64 v[19:20], v[15:16], -v[13:14]
	v_cmpx_gt_i32_e64 v7, v11
	s_cbranch_execnz .LBB26_23
; %bb.21:                               ;   in Loop: Header=BB26_12 Depth=3
	s_or_b32 exec_lo, exec_lo, s71
	s_delay_alu instid0(VALU_DEP_2) | instskip(NEXT) | instid1(VALU_DEP_1)
	v_cmp_class_f64_e64 s71, v[19:20], 0x1f8
	s_and_saveexec_b32 s72, s71
	s_cbranch_execnz .LBB26_26
.LBB26_22:                              ;   in Loop: Header=BB26_12 Depth=3
	s_or_b32 exec_lo, exec_lo, s72
	s_and_b32 s71, s71, s10
	s_delay_alu instid0(SALU_CYCLE_1)
	s_and_saveexec_b32 s9, s71
	s_cbranch_execz .LBB26_11
	s_branch .LBB26_61
.LBB26_23:                              ;   in Loop: Header=BB26_12 Depth=3
	v_lshlrev_b64 v[21:22], 3, v[11:12]
	v_mov_b32_e32 v23, 0
	v_mov_b32_e32 v24, 0
	s_mov_b32 s72, exec_lo
	s_delay_alu instid0(VALU_DEP_3) | instskip(NEXT) | instid1(VALU_DEP_4)
	v_add_co_u32 v21, vcc_lo, s48, v21
	v_add_co_ci_u32_e32 v22, vcc_lo, s49, v22, vcc_lo
	global_load_b64 v[21:22], v[21:22], off
	s_waitcnt vmcnt(0)
	v_cmpx_lg_f64_e32 0, v[21:22]
; %bb.24:                               ;   in Loop: Header=BB26_12 Depth=3
	v_div_scale_f64 v[23:24], null, v[21:22], v[21:22], v[19:20]
	s_delay_alu instid0(VALU_DEP_1) | instskip(SKIP_2) | instid1(VALU_DEP_1)
	v_rcp_f64_e32 v[41:42], v[23:24]
	s_waitcnt_depctr 0xfff
	v_fma_f64 v[43:44], -v[23:24], v[41:42], 1.0
	v_fma_f64 v[41:42], v[41:42], v[43:44], v[41:42]
	s_delay_alu instid0(VALU_DEP_1) | instskip(NEXT) | instid1(VALU_DEP_1)
	v_fma_f64 v[43:44], -v[23:24], v[41:42], 1.0
	v_fma_f64 v[41:42], v[41:42], v[43:44], v[41:42]
	v_div_scale_f64 v[43:44], vcc_lo, v[19:20], v[21:22], v[19:20]
	s_delay_alu instid0(VALU_DEP_1) | instskip(NEXT) | instid1(VALU_DEP_1)
	v_mul_f64 v[45:46], v[43:44], v[41:42]
	v_fma_f64 v[23:24], -v[23:24], v[45:46], v[43:44]
	s_delay_alu instid0(VALU_DEP_1) | instskip(NEXT) | instid1(VALU_DEP_1)
	v_div_fmas_f64 v[23:24], v[23:24], v[41:42], v[45:46]
	v_div_fixup_f64 v[23:24], v[23:24], v[21:22], v[19:20]
; %bb.25:                               ;   in Loop: Header=BB26_12 Depth=3
	s_or_b32 exec_lo, exec_lo, s72
	s_delay_alu instid0(VALU_DEP_1) | instskip(SKIP_1) | instid1(VALU_DEP_1)
	v_dual_mov_b32 v19, v23 :: v_dual_mov_b32 v20, v24
	s_or_b32 exec_lo, exec_lo, s71
	v_cmp_class_f64_e64 s71, v[19:20], 0x1f8
	s_delay_alu instid0(VALU_DEP_1)
	s_and_saveexec_b32 s72, s71
	s_cbranch_execz .LBB26_22
.LBB26_26:                              ;   in Loop: Header=BB26_12 Depth=3
	s_and_saveexec_b32 s73, s9
	s_delay_alu instid0(SALU_CYCLE_1)
	s_xor_b32 s9, exec_lo, s73
	s_cbranch_execz .LBB26_47
; %bb.27:                               ;   in Loop: Header=BB26_12 Depth=3
	s_mov_b32 s73, exec_lo
	v_cmpx_ge_i32_e64 v7, v11
	s_xor_b32 s73, exec_lo, s73
	s_cbranch_execz .LBB26_33
; %bb.28:                               ;   in Loop: Header=BB26_12 Depth=3
	v_lshlrev_b64 v[21:22], 3, v[11:12]
	s_delay_alu instid0(VALU_DEP_1) | instskip(NEXT) | instid1(VALU_DEP_2)
	v_add_co_u32 v23, vcc_lo, s50, v21
	v_add_co_ci_u32_e32 v24, vcc_lo, s51, v22, vcc_lo
	s_and_not1_b32 vcc_lo, exec_lo, s33
	global_store_b64 v[23:24], v[19:20], off
	s_cbranch_vccnz .LBB26_32
; %bb.29:                               ;   in Loop: Header=BB26_12 Depth=3
	v_add_co_u32 v21, vcc_lo, s48, v21
	v_add_co_ci_u32_e32 v22, vcc_lo, s49, v22, vcc_lo
	global_load_b64 v[21:22], v[21:22], off
	s_waitcnt vmcnt(0)
	v_add_f64 v[19:20], v[21:22], -v[19:20]
	s_delay_alu instid0(VALU_DEP_1) | instskip(NEXT) | instid1(VALU_DEP_1)
	v_cmp_class_f64_e64 s75, v[19:20], 0x1f8
	s_and_saveexec_b32 s74, s75
; %bb.30:                               ;   in Loop: Header=BB26_12 Depth=3
	v_cmp_lt_f64_e64 vcc_lo, v[3:4], |v[19:20]|
	v_and_b32_e32 v9, 0x7fffffff, v20
	s_delay_alu instid0(VALU_DEP_1)
	v_dual_cndmask_b32 v4, v4, v9 :: v_dual_cndmask_b32 v3, v3, v19
; %bb.31:                               ;   in Loop: Header=BB26_12 Depth=3
	s_or_b32 exec_lo, exec_lo, s74
.LBB26_32:                              ;   in Loop: Header=BB26_12 Depth=3
                                        ; implicit-def: $vgpr19_vgpr20
.LBB26_33:                              ;   in Loop: Header=BB26_12 Depth=3
	s_and_not1_saveexec_b32 s73, s73
	s_cbranch_execz .LBB26_46
; %bb.34:                               ;   in Loop: Header=BB26_12 Depth=3
	s_mov_b32 s74, exec_lo
	v_cmpx_lt_i32_e64 v18, v40
	s_cbranch_execz .LBB26_45
; %bb.35:                               ;   in Loop: Header=BB26_12 Depth=3
	v_mov_b32_e32 v9, v18
	s_mov_b32 s75, 0
                                        ; implicit-def: $sgpr76
                                        ; implicit-def: $sgpr78
                                        ; implicit-def: $sgpr77
	s_set_inst_prefetch_distance 0x1
	s_branch .LBB26_37
	.p2align	6
.LBB26_36:                              ;   in Loop: Header=BB26_37 Depth=4
	s_or_b32 exec_lo, exec_lo, s79
	s_delay_alu instid0(SALU_CYCLE_1) | instskip(NEXT) | instid1(SALU_CYCLE_1)
	s_and_b32 s79, exec_lo, s78
	s_or_b32 s75, s79, s75
	s_and_not1_b32 s76, s76, exec_lo
	s_and_b32 s79, s77, exec_lo
	s_delay_alu instid0(SALU_CYCLE_1)
	s_or_b32 s76, s76, s79
	s_and_not1_b32 exec_lo, exec_lo, s75
	s_cbranch_execz .LBB26_39
.LBB26_37:                              ;   Parent Loop BB26_3 Depth=1
                                        ;     Parent Loop BB26_7 Depth=2
                                        ;       Parent Loop BB26_12 Depth=3
                                        ; =>      This Inner Loop Header: Depth=4
	s_delay_alu instid0(VALU_DEP_1) | instskip(SKIP_3) | instid1(VALU_DEP_1)
	v_add_nc_u32_e32 v21, v17, v9
	s_or_b32 s77, s77, exec_lo
	s_or_b32 s78, s78, exec_lo
	s_mov_b32 s79, exec_lo
	v_ashrrev_i32_e32 v22, 31, v21
	s_delay_alu instid0(VALU_DEP_1) | instskip(NEXT) | instid1(VALU_DEP_1)
	v_lshlrev_b64 v[23:24], 2, v[21:22]
	v_add_co_u32 v23, vcc_lo, s16, v23
	s_delay_alu instid0(VALU_DEP_2) | instskip(SKIP_3) | instid1(VALU_DEP_1)
	v_add_co_ci_u32_e32 v24, vcc_lo, s17, v24, vcc_lo
	global_load_b32 v23, v[23:24], off
	s_waitcnt vmcnt(0)
	v_subrev_nc_u32_e32 v23, s62, v23
	v_cmpx_ne_u32_e64 v23, v7
	s_cbranch_execz .LBB26_36
; %bb.38:                               ;   in Loop: Header=BB26_37 Depth=4
	v_add_nc_u32_e32 v9, 1, v9
	s_and_not1_b32 s78, s78, exec_lo
	s_and_not1_b32 s77, s77, exec_lo
	s_delay_alu instid0(VALU_DEP_1) | instskip(SKIP_1) | instid1(SALU_CYCLE_1)
	v_cmp_ge_i32_e32 vcc_lo, v9, v40
	s_and_b32 s80, vcc_lo, exec_lo
	s_or_b32 s78, s78, s80
	s_branch .LBB26_36
.LBB26_39:                              ;   in Loop: Header=BB26_12 Depth=3
	s_set_inst_prefetch_distance 0x2
	s_or_b32 exec_lo, exec_lo, s75
	s_and_saveexec_b32 s75, s76
	s_delay_alu instid0(SALU_CYCLE_1)
	s_xor_b32 s75, exec_lo, s75
	s_cbranch_execz .LBB26_44
; %bb.40:                               ;   in Loop: Header=BB26_12 Depth=3
	v_lshlrev_b64 v[21:22], 3, v[21:22]
	s_delay_alu instid0(VALU_DEP_1) | instskip(NEXT) | instid1(VALU_DEP_2)
	v_add_co_u32 v23, vcc_lo, s34, v21
	v_add_co_ci_u32_e32 v24, vcc_lo, s35, v22, vcc_lo
	s_and_not1_b32 vcc_lo, exec_lo, s33
	global_store_b64 v[23:24], v[19:20], off
	s_cbranch_vccnz .LBB26_44
; %bb.41:                               ;   in Loop: Header=BB26_12 Depth=3
	v_add_co_u32 v21, vcc_lo, s18, v21
	v_add_co_ci_u32_e32 v22, vcc_lo, s19, v22, vcc_lo
	global_load_b64 v[21:22], v[21:22], off
	s_waitcnt vmcnt(0)
	v_add_f64 v[19:20], v[21:22], -v[19:20]
	s_delay_alu instid0(VALU_DEP_1) | instskip(NEXT) | instid1(VALU_DEP_1)
	v_cmp_class_f64_e64 s77, v[19:20], 0x1f8
	s_and_saveexec_b32 s76, s77
; %bb.42:                               ;   in Loop: Header=BB26_12 Depth=3
	v_cmp_lt_f64_e64 vcc_lo, v[3:4], |v[19:20]|
	v_and_b32_e32 v9, 0x7fffffff, v20
	s_delay_alu instid0(VALU_DEP_1)
	v_dual_cndmask_b32 v4, v4, v9 :: v_dual_cndmask_b32 v3, v3, v19
; %bb.43:                               ;   in Loop: Header=BB26_12 Depth=3
	s_or_b32 exec_lo, exec_lo, s76
.LBB26_44:                              ;   in Loop: Header=BB26_12 Depth=3
	s_delay_alu instid0(SALU_CYCLE_1)
	s_or_b32 exec_lo, exec_lo, s75
.LBB26_45:                              ;   in Loop: Header=BB26_12 Depth=3
	s_delay_alu instid0(SALU_CYCLE_1)
	s_or_b32 exec_lo, exec_lo, s74
.LBB26_46:                              ;   in Loop: Header=BB26_12 Depth=3
	s_delay_alu instid0(SALU_CYCLE_1)
	s_or_b32 exec_lo, exec_lo, s73
                                        ; implicit-def: $vgpr19_vgpr20
.LBB26_47:                              ;   in Loop: Header=BB26_12 Depth=3
	s_and_not1_saveexec_b32 s9, s9
	s_cbranch_execz .LBB26_60
; %bb.48:                               ;   in Loop: Header=BB26_12 Depth=3
	s_mov_b32 s73, exec_lo
	v_cmpx_lt_i32_e64 v5, v35
	s_cbranch_execz .LBB26_59
; %bb.49:                               ;   in Loop: Header=BB26_12 Depth=3
	v_mov_b32_e32 v9, v5
	s_mov_b32 s74, 0
                                        ; implicit-def: $sgpr75
                                        ; implicit-def: $sgpr77
                                        ; implicit-def: $sgpr76
	s_set_inst_prefetch_distance 0x1
	s_branch .LBB26_51
	.p2align	6
.LBB26_50:                              ;   in Loop: Header=BB26_51 Depth=4
	s_or_b32 exec_lo, exec_lo, s78
	s_delay_alu instid0(SALU_CYCLE_1) | instskip(NEXT) | instid1(SALU_CYCLE_1)
	s_and_b32 s78, exec_lo, s77
	s_or_b32 s74, s78, s74
	s_and_not1_b32 s75, s75, exec_lo
	s_and_b32 s78, s76, exec_lo
	s_delay_alu instid0(SALU_CYCLE_1)
	s_or_b32 s75, s75, s78
	s_and_not1_b32 exec_lo, exec_lo, s74
	s_cbranch_execz .LBB26_53
.LBB26_51:                              ;   Parent Loop BB26_3 Depth=1
                                        ;     Parent Loop BB26_7 Depth=2
                                        ;       Parent Loop BB26_12 Depth=3
                                        ; =>      This Inner Loop Header: Depth=4
	s_delay_alu instid0(VALU_DEP_1) | instskip(SKIP_3) | instid1(VALU_DEP_1)
	v_add_nc_u32_e32 v21, v10, v9
	s_or_b32 s76, s76, exec_lo
	s_or_b32 s77, s77, exec_lo
	s_mov_b32 s78, exec_lo
	v_ashrrev_i32_e32 v22, 31, v21
	s_delay_alu instid0(VALU_DEP_1) | instskip(NEXT) | instid1(VALU_DEP_1)
	v_lshlrev_b64 v[23:24], 2, v[21:22]
	v_add_co_u32 v23, vcc_lo, s24, v23
	s_delay_alu instid0(VALU_DEP_2) | instskip(SKIP_3) | instid1(VALU_DEP_1)
	v_add_co_ci_u32_e32 v24, vcc_lo, s25, v24, vcc_lo
	global_load_b32 v23, v[23:24], off
	s_waitcnt vmcnt(0)
	v_subrev_nc_u32_e32 v23, s61, v23
	v_cmpx_ne_u32_e64 v23, v11
	s_cbranch_execz .LBB26_50
; %bb.52:                               ;   in Loop: Header=BB26_51 Depth=4
	v_add_nc_u32_e32 v9, 1, v9
	s_and_not1_b32 s77, s77, exec_lo
	s_and_not1_b32 s76, s76, exec_lo
	s_delay_alu instid0(VALU_DEP_1) | instskip(SKIP_1) | instid1(SALU_CYCLE_1)
	v_cmp_ge_i32_e32 vcc_lo, v9, v35
	s_and_b32 s79, vcc_lo, exec_lo
	s_or_b32 s77, s77, s79
	s_branch .LBB26_50
.LBB26_53:                              ;   in Loop: Header=BB26_12 Depth=3
	s_set_inst_prefetch_distance 0x2
	s_or_b32 exec_lo, exec_lo, s74
	s_and_saveexec_b32 s74, s75
	s_delay_alu instid0(SALU_CYCLE_1)
	s_xor_b32 s74, exec_lo, s74
	s_cbranch_execz .LBB26_58
; %bb.54:                               ;   in Loop: Header=BB26_12 Depth=3
	v_lshlrev_b64 v[21:22], 3, v[21:22]
	s_delay_alu instid0(VALU_DEP_1) | instskip(NEXT) | instid1(VALU_DEP_2)
	v_add_co_u32 v23, vcc_lo, s52, v21
	v_add_co_ci_u32_e32 v24, vcc_lo, s53, v22, vcc_lo
	s_and_not1_b32 vcc_lo, exec_lo, s33
	global_store_b64 v[23:24], v[19:20], off
	s_cbranch_vccnz .LBB26_58
; %bb.55:                               ;   in Loop: Header=BB26_12 Depth=3
	v_add_co_u32 v21, vcc_lo, s26, v21
	v_add_co_ci_u32_e32 v22, vcc_lo, s27, v22, vcc_lo
	global_load_b64 v[21:22], v[21:22], off
	s_waitcnt vmcnt(0)
	v_add_f64 v[19:20], v[21:22], -v[19:20]
	s_delay_alu instid0(VALU_DEP_1) | instskip(NEXT) | instid1(VALU_DEP_1)
	v_cmp_class_f64_e64 s76, v[19:20], 0x1f8
	s_and_saveexec_b32 s75, s76
; %bb.56:                               ;   in Loop: Header=BB26_12 Depth=3
	v_cmp_lt_f64_e64 vcc_lo, v[3:4], |v[19:20]|
	v_and_b32_e32 v9, 0x7fffffff, v20
	s_delay_alu instid0(VALU_DEP_1)
	v_dual_cndmask_b32 v4, v4, v9 :: v_dual_cndmask_b32 v3, v3, v19
; %bb.57:                               ;   in Loop: Header=BB26_12 Depth=3
	s_or_b32 exec_lo, exec_lo, s75
.LBB26_58:                              ;   in Loop: Header=BB26_12 Depth=3
	s_delay_alu instid0(SALU_CYCLE_1)
	s_or_b32 exec_lo, exec_lo, s74
.LBB26_59:                              ;   in Loop: Header=BB26_12 Depth=3
	s_delay_alu instid0(SALU_CYCLE_1)
	s_or_b32 exec_lo, exec_lo, s73
.LBB26_60:                              ;   in Loop: Header=BB26_12 Depth=3
	s_delay_alu instid0(SALU_CYCLE_1) | instskip(NEXT) | instid1(SALU_CYCLE_1)
	s_or_b32 exec_lo, exec_lo, s9
	s_or_b32 exec_lo, exec_lo, s72
	s_and_b32 s71, s71, s10
	s_delay_alu instid0(SALU_CYCLE_1)
	s_and_saveexec_b32 s9, s71
	s_cbranch_execz .LBB26_11
.LBB26_61:                              ;   in Loop: Header=BB26_12 Depth=3
	s_mov_b32 s71, exec_lo
	v_cmpx_ge_i32_e64 v18, v40
	s_xor_b32 s71, exec_lo, s71
	s_cbranch_execnz .LBB26_67
; %bb.62:                               ;   in Loop: Header=BB26_12 Depth=3
	s_and_not1_saveexec_b32 s71, s71
	s_cbranch_execnz .LBB26_76
.LBB26_63:                              ;   in Loop: Header=BB26_12 Depth=3
	s_or_b32 exec_lo, exec_lo, s71
	s_delay_alu instid0(SALU_CYCLE_1)
	s_mov_b32 s71, exec_lo
	v_cmpx_eq_u32_e64 v7, v11
	s_cbranch_execz .LBB26_65
.LBB26_64:                              ;   in Loop: Header=BB26_12 Depth=3
	v_lshlrev_b64 v[11:12], 3, v[11:12]
	s_delay_alu instid0(VALU_DEP_1) | instskip(NEXT) | instid1(VALU_DEP_2)
	v_add_co_u32 v11, vcc_lo, s48, v11
	v_add_co_ci_u32_e32 v12, vcc_lo, s49, v12, vcc_lo
	global_load_b64 v[11:12], v[11:12], off
	s_waitcnt vmcnt(0)
	v_add_f64 v[13:14], v[13:14], v[11:12]
.LBB26_65:                              ;   in Loop: Header=BB26_12 Depth=3
	s_or_b32 exec_lo, exec_lo, s71
	s_delay_alu instid0(VALU_DEP_1) | instskip(NEXT) | instid1(VALU_DEP_1)
	v_add_f64 v[11:12], v[15:16], -v[13:14]
	v_cmp_class_f64_e64 s72, v[11:12], 0x1f8
	s_delay_alu instid0(VALU_DEP_1)
	s_and_saveexec_b32 s71, s72
	s_cbranch_execz .LBB26_10
; %bb.66:                               ;   in Loop: Header=BB26_12 Depth=3
	v_cmp_lt_f64_e64 vcc_lo, v[1:2], |v[11:12]|
	v_and_b32_e32 v5, 0x7fffffff, v12
	s_delay_alu instid0(VALU_DEP_1)
	v_dual_cndmask_b32 v2, v2, v5 :: v_dual_cndmask_b32 v1, v1, v11
	s_branch .LBB26_10
.LBB26_67:                              ;   in Loop: Header=BB26_12 Depth=3
	s_mov_b32 s72, exec_lo
	v_cmpx_lt_i32_e64 v5, v35
	s_cbranch_execz .LBB26_75
; %bb.68:                               ;   in Loop: Header=BB26_12 Depth=3
	s_mov_b32 s73, 0
                                        ; implicit-def: $sgpr74
                                        ; implicit-def: $sgpr76
                                        ; implicit-def: $sgpr75
	s_set_inst_prefetch_distance 0x1
	s_branch .LBB26_70
	.p2align	6
.LBB26_69:                              ;   in Loop: Header=BB26_70 Depth=4
	s_or_b32 exec_lo, exec_lo, s77
	s_delay_alu instid0(SALU_CYCLE_1) | instskip(NEXT) | instid1(SALU_CYCLE_1)
	s_and_b32 s77, exec_lo, s76
	s_or_b32 s73, s77, s73
	s_and_not1_b32 s74, s74, exec_lo
	s_and_b32 s77, s75, exec_lo
	s_delay_alu instid0(SALU_CYCLE_1)
	s_or_b32 s74, s74, s77
	s_and_not1_b32 exec_lo, exec_lo, s73
	s_cbranch_execz .LBB26_72
.LBB26_70:                              ;   Parent Loop BB26_3 Depth=1
                                        ;     Parent Loop BB26_7 Depth=2
                                        ;       Parent Loop BB26_12 Depth=3
                                        ; =>      This Inner Loop Header: Depth=4
	v_add_nc_u32_e32 v17, v10, v5
	s_or_b32 s75, s75, exec_lo
	s_or_b32 s76, s76, exec_lo
	s_mov_b32 s77, exec_lo
	s_delay_alu instid0(VALU_DEP_1) | instskip(NEXT) | instid1(VALU_DEP_1)
	v_ashrrev_i32_e32 v18, 31, v17
	v_lshlrev_b64 v[19:20], 2, v[17:18]
	s_delay_alu instid0(VALU_DEP_1) | instskip(NEXT) | instid1(VALU_DEP_2)
	v_add_co_u32 v19, vcc_lo, s24, v19
	v_add_co_ci_u32_e32 v20, vcc_lo, s25, v20, vcc_lo
	global_load_b32 v9, v[19:20], off
	s_waitcnt vmcnt(0)
	v_subrev_nc_u32_e32 v9, s61, v9
	s_delay_alu instid0(VALU_DEP_1)
	v_cmpx_ne_u32_e64 v9, v11
	s_cbranch_execz .LBB26_69
; %bb.71:                               ;   in Loop: Header=BB26_70 Depth=4
	v_add_nc_u32_e32 v5, 1, v5
	s_and_not1_b32 s76, s76, exec_lo
	s_and_not1_b32 s75, s75, exec_lo
	s_delay_alu instid0(VALU_DEP_1) | instskip(SKIP_1) | instid1(SALU_CYCLE_1)
	v_cmp_ge_i32_e32 vcc_lo, v5, v35
	s_and_b32 s78, vcc_lo, exec_lo
	s_or_b32 s76, s76, s78
	s_branch .LBB26_69
.LBB26_72:                              ;   in Loop: Header=BB26_12 Depth=3
	s_set_inst_prefetch_distance 0x2
	s_or_b32 exec_lo, exec_lo, s73
	s_and_saveexec_b32 s73, s74
	s_delay_alu instid0(SALU_CYCLE_1)
	s_xor_b32 s73, exec_lo, s73
	s_cbranch_execz .LBB26_74
; %bb.73:                               ;   in Loop: Header=BB26_12 Depth=3
	v_lshlrev_b64 v[17:18], 3, v[17:18]
	v_lshlrev_b64 v[19:20], 3, v[11:12]
	s_delay_alu instid0(VALU_DEP_2) | instskip(NEXT) | instid1(VALU_DEP_3)
	v_add_co_u32 v17, vcc_lo, s26, v17
	v_add_co_ci_u32_e32 v18, vcc_lo, s27, v18, vcc_lo
	s_delay_alu instid0(VALU_DEP_3) | instskip(NEXT) | instid1(VALU_DEP_4)
	v_add_co_u32 v19, vcc_lo, s48, v19
	v_add_co_ci_u32_e32 v20, vcc_lo, s49, v20, vcc_lo
	global_load_b64 v[17:18], v[17:18], off
	global_load_b64 v[19:20], v[19:20], off
	s_waitcnt vmcnt(0)
	v_fma_f64 v[13:14], v[17:18], v[19:20], v[13:14]
.LBB26_74:                              ;   in Loop: Header=BB26_12 Depth=3
	s_or_b32 exec_lo, exec_lo, s73
.LBB26_75:                              ;   in Loop: Header=BB26_12 Depth=3
	s_delay_alu instid0(SALU_CYCLE_1)
	s_or_b32 exec_lo, exec_lo, s72
                                        ; implicit-def: $vgpr18
                                        ; implicit-def: $vgpr17
                                        ; implicit-def: $vgpr40
	s_and_not1_saveexec_b32 s71, s71
	s_cbranch_execz .LBB26_63
.LBB26_76:                              ;   in Loop: Header=BB26_12 Depth=3
	s_mov_b32 s72, 0
                                        ; implicit-def: $sgpr73
                                        ; implicit-def: $sgpr75
                                        ; implicit-def: $sgpr74
	s_set_inst_prefetch_distance 0x1
	s_branch .LBB26_78
	.p2align	6
.LBB26_77:                              ;   in Loop: Header=BB26_78 Depth=4
	s_or_b32 exec_lo, exec_lo, s76
	s_delay_alu instid0(SALU_CYCLE_1) | instskip(NEXT) | instid1(SALU_CYCLE_1)
	s_and_b32 s76, exec_lo, s75
	s_or_b32 s72, s76, s72
	s_and_not1_b32 s73, s73, exec_lo
	s_and_b32 s76, s74, exec_lo
	s_delay_alu instid0(SALU_CYCLE_1)
	s_or_b32 s73, s73, s76
	s_and_not1_b32 exec_lo, exec_lo, s72
	s_cbranch_execz .LBB26_80
.LBB26_78:                              ;   Parent Loop BB26_3 Depth=1
                                        ;     Parent Loop BB26_7 Depth=2
                                        ;       Parent Loop BB26_12 Depth=3
                                        ; =>      This Inner Loop Header: Depth=4
	v_add_nc_u32_e32 v19, v17, v18
	s_or_b32 s74, s74, exec_lo
	s_or_b32 s75, s75, exec_lo
	s_mov_b32 s76, exec_lo
	s_delay_alu instid0(VALU_DEP_1) | instskip(NEXT) | instid1(VALU_DEP_1)
	v_ashrrev_i32_e32 v20, 31, v19
	v_lshlrev_b64 v[21:22], 2, v[19:20]
	s_delay_alu instid0(VALU_DEP_1) | instskip(NEXT) | instid1(VALU_DEP_2)
	v_add_co_u32 v21, vcc_lo, s16, v21
	v_add_co_ci_u32_e32 v22, vcc_lo, s17, v22, vcc_lo
	global_load_b32 v5, v[21:22], off
	s_waitcnt vmcnt(0)
	v_subrev_nc_u32_e32 v5, s62, v5
	s_delay_alu instid0(VALU_DEP_1)
	v_cmpx_ne_u32_e64 v5, v7
	s_cbranch_execz .LBB26_77
; %bb.79:                               ;   in Loop: Header=BB26_78 Depth=4
	v_add_nc_u32_e32 v18, 1, v18
	s_and_not1_b32 s75, s75, exec_lo
	s_and_not1_b32 s74, s74, exec_lo
	s_delay_alu instid0(VALU_DEP_1) | instskip(SKIP_1) | instid1(SALU_CYCLE_1)
	v_cmp_ge_i32_e32 vcc_lo, v18, v40
	s_and_b32 s77, vcc_lo, exec_lo
	s_or_b32 s75, s75, s77
	s_branch .LBB26_77
.LBB26_80:                              ;   in Loop: Header=BB26_12 Depth=3
	s_set_inst_prefetch_distance 0x2
	s_or_b32 exec_lo, exec_lo, s72
	s_and_saveexec_b32 s72, s73
	s_delay_alu instid0(SALU_CYCLE_1)
	s_xor_b32 s72, exec_lo, s72
	s_cbranch_execz .LBB26_82
; %bb.81:                               ;   in Loop: Header=BB26_12 Depth=3
	v_lshlrev_b64 v[17:18], 3, v[19:20]
	s_delay_alu instid0(VALU_DEP_1) | instskip(NEXT) | instid1(VALU_DEP_2)
	v_add_co_u32 v17, vcc_lo, s18, v17
	v_add_co_ci_u32_e32 v18, vcc_lo, s19, v18, vcc_lo
	global_load_b64 v[17:18], v[17:18], off
	s_waitcnt vmcnt(0)
	v_add_f64 v[13:14], v[13:14], v[17:18]
.LBB26_82:                              ;   in Loop: Header=BB26_12 Depth=3
	s_or_b32 exec_lo, exec_lo, s72
	s_delay_alu instid0(SALU_CYCLE_1) | instskip(NEXT) | instid1(SALU_CYCLE_1)
	s_or_b32 exec_lo, exec_lo, s71
	s_mov_b32 s71, exec_lo
	v_cmpx_eq_u32_e64 v7, v11
	s_cbranch_execnz .LBB26_64
	s_branch .LBB26_65
.LBB26_83:                              ;   in Loop: Header=BB26_3 Depth=1
	v_xor_b32_e32 v12, 16, v27
	v_xor_b32_e32 v11, 8, v27
	;; [unrolled: 1-line block ×5, first 2 shown]
	s_and_b32 vcc_lo, exec_lo, s33
	s_cbranch_vccnz .LBB26_86
; %bb.84:                               ;   in Loop: Header=BB26_3 Depth=1
	s_and_not1_b32 vcc_lo, exec_lo, s10
	s_cbranch_vccz .LBB26_99
.LBB26_85:                              ;   in Loop: Header=BB26_3 Depth=1
	s_and_saveexec_b32 s9, s6
	s_cbranch_execnz .LBB26_112
	s_branch .LBB26_123
.LBB26_86:                              ;   in Loop: Header=BB26_3 Depth=1
	v_cmp_gt_i32_e32 vcc_lo, 32, v12
	v_cmp_gt_i32_e64 s8, 32, v11
	v_cndmask_b32_e32 v7, v27, v12, vcc_lo
	s_delay_alu instid0(VALU_DEP_2) | instskip(SKIP_1) | instid1(VALU_DEP_3)
	v_cndmask_b32_e64 v13, v27, v11, s8
	v_cmp_gt_i32_e64 s8, 32, v10
	v_lshlrev_b32_e32 v8, 2, v7
	ds_bpermute_b32 v7, v8, v3
	ds_bpermute_b32 v8, v8, v4
	s_waitcnt lgkmcnt(0)
	v_cmp_lt_f64_e32 vcc_lo, v[3:4], v[7:8]
	v_dual_cndmask_b32 v4, v4, v8 :: v_dual_lshlrev_b32 v13, 2, v13
	ds_bpermute_b32 v8, v13, v4
	v_cndmask_b32_e32 v3, v3, v7, vcc_lo
	ds_bpermute_b32 v7, v13, v3
	v_cndmask_b32_e64 v13, v27, v10, s8
	v_cmp_gt_i32_e64 s8, 32, v9
	s_waitcnt lgkmcnt(0)
	v_cmp_lt_f64_e32 vcc_lo, v[3:4], v[7:8]
	s_delay_alu instid0(VALU_DEP_3)
	v_dual_cndmask_b32 v4, v4, v8 :: v_dual_lshlrev_b32 v13, 2, v13
	v_cndmask_b32_e32 v3, v3, v7, vcc_lo
	ds_bpermute_b32 v8, v13, v4
	ds_bpermute_b32 v7, v13, v3
	v_cndmask_b32_e64 v13, v27, v9, s8
	v_cmp_gt_i32_e64 s8, 32, v5
	s_delay_alu instid0(VALU_DEP_2)
	v_lshlrev_b32_e32 v13, 2, v13
	s_waitcnt lgkmcnt(0)
	v_cmp_lt_f64_e32 vcc_lo, v[3:4], v[7:8]
	v_dual_cndmask_b32 v4, v4, v8 :: v_dual_cndmask_b32 v3, v3, v7
	ds_bpermute_b32 v8, v13, v4
	ds_bpermute_b32 v7, v13, v3
	v_cndmask_b32_e64 v13, v27, v5, s8
	s_delay_alu instid0(VALU_DEP_1)
	v_lshlrev_b32_e32 v13, 2, v13
	s_waitcnt lgkmcnt(0)
	v_cmp_lt_f64_e32 vcc_lo, v[3:4], v[7:8]
	v_dual_cndmask_b32 v4, v4, v8 :: v_dual_cndmask_b32 v3, v3, v7
	ds_bpermute_b32 v8, v13, v4
	ds_bpermute_b32 v7, v13, v3
	s_and_saveexec_b32 s8, s0
	s_cbranch_execz .LBB26_88
; %bb.87:                               ;   in Loop: Header=BB26_3 Depth=1
	s_waitcnt lgkmcnt(0)
	v_cmp_lt_f64_e32 vcc_lo, v[3:4], v[7:8]
	v_dual_cndmask_b32 v4, v4, v8 :: v_dual_cndmask_b32 v3, v3, v7
	ds_store_b64 v30, v[3:4]
.LBB26_88:                              ;   in Loop: Header=BB26_3 Depth=1
	s_or_b32 exec_lo, exec_lo, s8
	s_waitcnt lgkmcnt(0)
	s_waitcnt_vscnt null, 0x0
	s_barrier
	buffer_gl0_inv
	s_and_saveexec_b32 s8, s1
	s_cbranch_execz .LBB26_90
; %bb.89:                               ;   in Loop: Header=BB26_3 Depth=1
	ds_load_2addr_b64 v[13:16], v28 offset1:16
	s_waitcnt lgkmcnt(0)
	v_cmp_lt_f64_e32 vcc_lo, v[13:14], v[15:16]
	v_dual_cndmask_b32 v4, v14, v16 :: v_dual_cndmask_b32 v3, v13, v15
	ds_store_b64 v28, v[3:4]
.LBB26_90:                              ;   in Loop: Header=BB26_3 Depth=1
	s_or_b32 exec_lo, exec_lo, s8
	s_waitcnt lgkmcnt(0)
	s_barrier
	buffer_gl0_inv
	s_and_saveexec_b32 s8, s2
	s_cbranch_execz .LBB26_92
; %bb.91:                               ;   in Loop: Header=BB26_3 Depth=1
	ds_load_2addr_b64 v[13:16], v28 offset1:8
	s_waitcnt lgkmcnt(0)
	v_cmp_lt_f64_e32 vcc_lo, v[13:14], v[15:16]
	v_dual_cndmask_b32 v4, v14, v16 :: v_dual_cndmask_b32 v3, v13, v15
	ds_store_b64 v28, v[3:4]
.LBB26_92:                              ;   in Loop: Header=BB26_3 Depth=1
	s_or_b32 exec_lo, exec_lo, s8
	s_waitcnt lgkmcnt(0)
	;; [unrolled: 13-line block ×4, first 2 shown]
	s_barrier
	buffer_gl0_inv
	s_and_saveexec_b32 s8, s5
	s_cbranch_execz .LBB26_98
; %bb.97:                               ;   in Loop: Header=BB26_3 Depth=1
	ds_load_b128 v[13:16], v6
	s_waitcnt lgkmcnt(0)
	v_cmp_lt_f64_e32 vcc_lo, v[13:14], v[15:16]
	v_dual_cndmask_b32 v4, v14, v16 :: v_dual_cndmask_b32 v3, v13, v15
	ds_store_b64 v6, v[3:4]
.LBB26_98:                              ;   in Loop: Header=BB26_3 Depth=1
	s_or_b32 exec_lo, exec_lo, s8
	s_waitcnt lgkmcnt(0)
	s_barrier
	buffer_gl0_inv
	ds_load_b64 v[3:4], v6
	s_load_b64 s[8:9], s[54:55], 0x0
	s_waitcnt lgkmcnt(0)
	v_div_scale_f64 v[7:8], null, s[8:9], s[8:9], v[3:4]
	s_delay_alu instid0(VALU_DEP_1) | instskip(SKIP_2) | instid1(VALU_DEP_1)
	v_rcp_f64_e32 v[13:14], v[7:8]
	s_waitcnt_depctr 0xfff
	v_fma_f64 v[15:16], -v[7:8], v[13:14], 1.0
	v_fma_f64 v[13:14], v[13:14], v[15:16], v[13:14]
	s_delay_alu instid0(VALU_DEP_1) | instskip(NEXT) | instid1(VALU_DEP_1)
	v_fma_f64 v[15:16], -v[7:8], v[13:14], 1.0
	v_fma_f64 v[13:14], v[13:14], v[15:16], v[13:14]
	v_div_scale_f64 v[15:16], vcc_lo, v[3:4], s[8:9], v[3:4]
	s_delay_alu instid0(VALU_DEP_1) | instskip(NEXT) | instid1(VALU_DEP_1)
	v_mul_f64 v[17:18], v[15:16], v[13:14]
	v_fma_f64 v[7:8], -v[7:8], v[17:18], v[15:16]
	s_delay_alu instid0(VALU_DEP_1) | instskip(NEXT) | instid1(VALU_DEP_1)
	v_div_fmas_f64 v[7:8], v[7:8], v[13:14], v[17:18]
	v_div_fixup_f64 v[3:4], v[7:8], s[8:9], v[3:4]
	s_and_not1_b32 vcc_lo, exec_lo, s10
	s_cbranch_vccnz .LBB26_85
.LBB26_99:                              ;   in Loop: Header=BB26_3 Depth=1
	v_cmp_gt_i32_e64 s8, 32, v11
	v_cmp_gt_i32_e32 vcc_lo, 32, v12
	s_delay_alu instid0(VALU_DEP_2) | instskip(SKIP_1) | instid1(VALU_DEP_1)
	v_cndmask_b32_e64 v11, v27, v11, s8
	v_cmp_gt_i32_e64 s8, 32, v10
	v_cndmask_b32_e64 v10, v27, v10, s8
	v_cndmask_b32_e32 v7, v27, v12, vcc_lo
	v_cmp_gt_i32_e64 s8, 32, v9
	s_delay_alu instid0(VALU_DEP_3) | instskip(NEXT) | instid1(VALU_DEP_3)
	v_lshlrev_b32_e32 v10, 2, v10
	v_lshlrev_b32_e32 v8, 2, v7
	s_delay_alu instid0(VALU_DEP_3) | instskip(SKIP_4) | instid1(VALU_DEP_1)
	v_cndmask_b32_e64 v9, v27, v9, s8
	v_cmp_gt_i32_e64 s8, 32, v5
	ds_bpermute_b32 v7, v8, v1
	ds_bpermute_b32 v8, v8, v2
	v_cndmask_b32_e64 v5, v27, v5, s8
	v_lshlrev_b32_e32 v5, 2, v5
	s_waitcnt lgkmcnt(0)
	v_cmp_lt_f64_e32 vcc_lo, v[1:2], v[7:8]
	v_dual_cndmask_b32 v2, v2, v8 :: v_dual_lshlrev_b32 v11, 2, v11
	ds_bpermute_b32 v8, v11, v2
	v_cndmask_b32_e32 v1, v1, v7, vcc_lo
	ds_bpermute_b32 v7, v11, v1
	s_waitcnt lgkmcnt(0)
	v_cmp_lt_f64_e32 vcc_lo, v[1:2], v[7:8]
	v_cndmask_b32_e32 v2, v2, v8, vcc_lo
	ds_bpermute_b32 v8, v10, v2
	v_cndmask_b32_e32 v1, v1, v7, vcc_lo
	ds_bpermute_b32 v7, v10, v1
	s_waitcnt lgkmcnt(0)
	v_cmp_lt_f64_e32 vcc_lo, v[1:2], v[7:8]
	v_dual_cndmask_b32 v2, v2, v8 :: v_dual_lshlrev_b32 v9, 2, v9
	v_cndmask_b32_e32 v1, v1, v7, vcc_lo
	ds_bpermute_b32 v8, v9, v2
	ds_bpermute_b32 v7, v9, v1
	s_waitcnt lgkmcnt(0)
	v_cmp_lt_f64_e32 vcc_lo, v[1:2], v[7:8]
	v_dual_cndmask_b32 v2, v2, v8 :: v_dual_cndmask_b32 v1, v1, v7
	ds_bpermute_b32 v8, v5, v2
	ds_bpermute_b32 v7, v5, v1
	s_and_saveexec_b32 s8, s0
	s_cbranch_execz .LBB26_101
; %bb.100:                              ;   in Loop: Header=BB26_3 Depth=1
	s_waitcnt lgkmcnt(0)
	v_cmp_lt_f64_e32 vcc_lo, v[1:2], v[7:8]
	v_dual_cndmask_b32 v2, v2, v8 :: v_dual_cndmask_b32 v1, v1, v7
	ds_store_b64 v30, v[1:2]
.LBB26_101:                             ;   in Loop: Header=BB26_3 Depth=1
	s_or_b32 exec_lo, exec_lo, s8
	s_waitcnt lgkmcnt(0)
	s_waitcnt_vscnt null, 0x0
	s_barrier
	buffer_gl0_inv
	s_and_saveexec_b32 s8, s1
	s_cbranch_execz .LBB26_103
; %bb.102:                              ;   in Loop: Header=BB26_3 Depth=1
	ds_load_2addr_b64 v[7:10], v28 offset1:16
	s_waitcnt lgkmcnt(0)
	v_cmp_lt_f64_e32 vcc_lo, v[7:8], v[9:10]
	v_dual_cndmask_b32 v2, v8, v10 :: v_dual_cndmask_b32 v1, v7, v9
	ds_store_b64 v28, v[1:2]
.LBB26_103:                             ;   in Loop: Header=BB26_3 Depth=1
	s_or_b32 exec_lo, exec_lo, s8
	s_waitcnt lgkmcnt(0)
	s_barrier
	buffer_gl0_inv
	s_and_saveexec_b32 s8, s2
	s_cbranch_execz .LBB26_105
; %bb.104:                              ;   in Loop: Header=BB26_3 Depth=1
	ds_load_2addr_b64 v[7:10], v28 offset1:8
	s_waitcnt lgkmcnt(0)
	v_cmp_lt_f64_e32 vcc_lo, v[7:8], v[9:10]
	v_dual_cndmask_b32 v2, v8, v10 :: v_dual_cndmask_b32 v1, v7, v9
	ds_store_b64 v28, v[1:2]
.LBB26_105:                             ;   in Loop: Header=BB26_3 Depth=1
	s_or_b32 exec_lo, exec_lo, s8
	s_waitcnt lgkmcnt(0)
	;; [unrolled: 13-line block ×4, first 2 shown]
	s_barrier
	buffer_gl0_inv
	s_and_saveexec_b32 s8, s5
	s_cbranch_execz .LBB26_111
; %bb.110:                              ;   in Loop: Header=BB26_3 Depth=1
	ds_load_b128 v[7:10], v6
	s_waitcnt lgkmcnt(0)
	v_cmp_lt_f64_e32 vcc_lo, v[7:8], v[9:10]
	v_dual_cndmask_b32 v2, v8, v10 :: v_dual_cndmask_b32 v1, v7, v9
	ds_store_b64 v6, v[1:2]
.LBB26_111:                             ;   in Loop: Header=BB26_3 Depth=1
	s_or_b32 exec_lo, exec_lo, s8
	s_waitcnt lgkmcnt(0)
	s_barrier
	buffer_gl0_inv
	ds_load_b64 v[1:2], v6
	s_load_b64 s[8:9], s[54:55], 0x0
	s_waitcnt lgkmcnt(0)
	v_div_scale_f64 v[7:8], null, s[8:9], s[8:9], v[1:2]
	s_delay_alu instid0(VALU_DEP_1) | instskip(SKIP_2) | instid1(VALU_DEP_1)
	v_rcp_f64_e32 v[9:10], v[7:8]
	s_waitcnt_depctr 0xfff
	v_fma_f64 v[11:12], -v[7:8], v[9:10], 1.0
	v_fma_f64 v[9:10], v[9:10], v[11:12], v[9:10]
	s_delay_alu instid0(VALU_DEP_1) | instskip(NEXT) | instid1(VALU_DEP_1)
	v_fma_f64 v[11:12], -v[7:8], v[9:10], 1.0
	v_fma_f64 v[9:10], v[9:10], v[11:12], v[9:10]
	v_div_scale_f64 v[11:12], vcc_lo, v[1:2], s[8:9], v[1:2]
	s_delay_alu instid0(VALU_DEP_1) | instskip(NEXT) | instid1(VALU_DEP_1)
	v_mul_f64 v[13:14], v[11:12], v[9:10]
	v_fma_f64 v[7:8], -v[7:8], v[13:14], v[11:12]
	s_delay_alu instid0(VALU_DEP_1) | instskip(NEXT) | instid1(VALU_DEP_1)
	v_div_fmas_f64 v[7:8], v[7:8], v[9:10], v[13:14]
	v_div_fixup_f64 v[1:2], v[7:8], s[8:9], v[1:2]
	s_and_saveexec_b32 s9, s6
	s_cbranch_execz .LBB26_123
.LBB26_112:                             ;   in Loop: Header=BB26_3 Depth=1
	v_mov_b32_e32 v7, v29
	s_mov_b32 s67, 0
	s_branch .LBB26_114
.LBB26_113:                             ;   in Loop: Header=BB26_114 Depth=2
	s_or_b32 exec_lo, exec_lo, s68
	v_add_nc_u32_e32 v7, 32, v7
	s_delay_alu instid0(VALU_DEP_1) | instskip(SKIP_1) | instid1(SALU_CYCLE_1)
	v_cmp_le_u32_e32 vcc_lo, s63, v7
	s_or_b32 s67, vcc_lo, s67
	s_and_not1_b32 exec_lo, exec_lo, s67
	s_cbranch_execz .LBB26_123
.LBB26_114:                             ;   Parent Loop BB26_3 Depth=1
                                        ; =>  This Loop Header: Depth=2
                                        ;       Child Loop BB26_117 Depth 3
                                        ;       Child Loop BB26_120 Depth 3
	s_mov_b32 s68, exec_lo
	s_delay_alu instid0(VALU_DEP_1)
	v_cmpx_gt_i32_e64 s56, v7
	s_cbranch_execz .LBB26_113
; %bb.115:                              ;   in Loop: Header=BB26_114 Depth=2
	v_ashrrev_i32_e32 v8, 31, v7
	s_mov_b32 s69, exec_lo
	s_delay_alu instid0(VALU_DEP_1) | instskip(NEXT) | instid1(VALU_DEP_1)
	v_lshlrev_b64 v[9:10], 2, v[7:8]
	v_add_co_u32 v11, vcc_lo, s20, v9
	s_delay_alu instid0(VALU_DEP_2)
	v_add_co_ci_u32_e32 v12, vcc_lo, s21, v10, vcc_lo
	v_add_co_u32 v13, vcc_lo, s22, v9
	v_add_co_ci_u32_e32 v14, vcc_lo, s23, v10, vcc_lo
	global_load_b32 v5, v[11:12], off
	global_load_b32 v12, v[13:14], off
	s_waitcnt vmcnt(1)
	v_add_nc_u32_e32 v11, v32, v5
	s_waitcnt vmcnt(0)
	v_subrev_nc_u32_e32 v5, s61, v12
	s_delay_alu instid0(VALU_DEP_1)
	v_cmpx_lt_i32_e64 v11, v5
	s_cbranch_execz .LBB26_118
; %bb.116:                              ;   in Loop: Header=BB26_114 Depth=2
	v_ashrrev_i32_e32 v12, 31, v11
	s_mov_b32 s70, 0
	s_delay_alu instid0(VALU_DEP_1) | instskip(NEXT) | instid1(VALU_DEP_1)
	v_lshlrev_b64 v[14:15], 3, v[11:12]
	v_add_co_u32 v12, vcc_lo, s52, v14
	s_delay_alu instid0(VALU_DEP_2)
	v_add_co_ci_u32_e32 v13, vcc_lo, s53, v15, vcc_lo
	v_add_co_u32 v14, vcc_lo, s26, v14
	v_add_co_ci_u32_e32 v15, vcc_lo, s27, v15, vcc_lo
	.p2align	6
.LBB26_117:                             ;   Parent Loop BB26_3 Depth=1
                                        ;     Parent Loop BB26_114 Depth=2
                                        ; =>    This Inner Loop Header: Depth=3
	global_load_b64 v[16:17], v[12:13], off
	v_add_nc_u32_e32 v11, 32, v11
	v_add_co_u32 v12, vcc_lo, 0x100, v12
	v_add_co_ci_u32_e32 v13, vcc_lo, 0, v13, vcc_lo
	s_delay_alu instid0(VALU_DEP_3) | instskip(SKIP_4) | instid1(VALU_DEP_1)
	v_cmp_ge_i32_e32 vcc_lo, v11, v5
	s_or_b32 s70, vcc_lo, s70
	s_waitcnt vmcnt(0)
	global_store_b64 v[14:15], v[16:17], off
	v_add_co_u32 v14, s8, 0x100, v14
	v_add_co_ci_u32_e64 v15, s8, 0, v15, s8
	s_and_not1_b32 exec_lo, exec_lo, s70
	s_cbranch_execnz .LBB26_117
.LBB26_118:                             ;   in Loop: Header=BB26_114 Depth=2
	s_or_b32 exec_lo, exec_lo, s69
	v_add_co_u32 v11, vcc_lo, s12, v9
	v_add_co_ci_u32_e32 v12, vcc_lo, s13, v10, vcc_lo
	v_add_co_u32 v9, vcc_lo, s14, v9
	v_add_co_ci_u32_e32 v10, vcc_lo, s15, v10, vcc_lo
	s_mov_b32 s69, exec_lo
	global_load_b32 v5, v[11:12], off
	global_load_b32 v10, v[9:10], off
	s_waitcnt vmcnt(1)
	v_add_nc_u32_e32 v9, v33, v5
	s_waitcnt vmcnt(0)
	v_subrev_nc_u32_e32 v5, s62, v10
	s_delay_alu instid0(VALU_DEP_1)
	v_cmpx_lt_i32_e64 v9, v5
	s_cbranch_execz .LBB26_121
; %bb.119:                              ;   in Loop: Header=BB26_114 Depth=2
	v_ashrrev_i32_e32 v10, 31, v9
	s_mov_b32 s70, 0
	s_delay_alu instid0(VALU_DEP_1) | instskip(NEXT) | instid1(VALU_DEP_1)
	v_lshlrev_b64 v[12:13], 3, v[9:10]
	v_add_co_u32 v10, vcc_lo, s34, v12
	s_delay_alu instid0(VALU_DEP_2)
	v_add_co_ci_u32_e32 v11, vcc_lo, s35, v13, vcc_lo
	v_add_co_u32 v12, vcc_lo, s18, v12
	v_add_co_ci_u32_e32 v13, vcc_lo, s19, v13, vcc_lo
	.p2align	6
.LBB26_120:                             ;   Parent Loop BB26_3 Depth=1
                                        ;     Parent Loop BB26_114 Depth=2
                                        ; =>    This Inner Loop Header: Depth=3
	global_load_b64 v[14:15], v[10:11], off
	v_add_nc_u32_e32 v9, 32, v9
	v_add_co_u32 v10, vcc_lo, 0x100, v10
	v_add_co_ci_u32_e32 v11, vcc_lo, 0, v11, vcc_lo
	s_delay_alu instid0(VALU_DEP_3) | instskip(SKIP_4) | instid1(VALU_DEP_1)
	v_cmp_ge_i32_e32 vcc_lo, v9, v5
	s_or_b32 s70, vcc_lo, s70
	s_waitcnt vmcnt(0)
	global_store_b64 v[12:13], v[14:15], off
	v_add_co_u32 v12, s8, 0x100, v12
	v_add_co_ci_u32_e64 v13, s8, 0, v13, s8
	s_and_not1_b32 exec_lo, exec_lo, s70
	s_cbranch_execnz .LBB26_120
.LBB26_121:                             ;   in Loop: Header=BB26_114 Depth=2
	s_or_b32 exec_lo, exec_lo, s69
	s_delay_alu instid0(SALU_CYCLE_1)
	s_and_b32 exec_lo, exec_lo, s7
	s_cbranch_execz .LBB26_113
; %bb.122:                              ;   in Loop: Header=BB26_114 Depth=2
	v_lshlrev_b64 v[8:9], 3, v[7:8]
	s_delay_alu instid0(VALU_DEP_1) | instskip(NEXT) | instid1(VALU_DEP_2)
	v_add_co_u32 v10, vcc_lo, s50, v8
	v_add_co_ci_u32_e32 v11, vcc_lo, s51, v9, vcc_lo
	v_add_co_u32 v8, vcc_lo, s48, v8
	v_add_co_ci_u32_e32 v9, vcc_lo, s49, v9, vcc_lo
	global_load_b64 v[10:11], v[10:11], off
	s_waitcnt vmcnt(0)
	global_store_b64 v[8:9], v[10:11], off
	s_branch .LBB26_113
.LBB26_123:                             ;   in Loop: Header=BB26_3 Depth=1
	s_or_b32 exec_lo, exec_lo, s9
	s_mov_b32 s9, -1
	s_and_b32 vcc_lo, exec_lo, s57
	s_mov_b32 s8, -1
	s_cbranch_vccz .LBB26_133
; %bb.124:                              ;   in Loop: Header=BB26_3 Depth=1
	s_and_b32 vcc_lo, exec_lo, s65
                                        ; implicit-def: $sgpr67
	s_cbranch_vccz .LBB26_130
; %bb.125:                              ;   in Loop: Header=BB26_3 Depth=1
	s_and_b32 vcc_lo, exec_lo, s64
                                        ; implicit-def: $sgpr67
	s_cbranch_vccz .LBB26_127
; %bb.126:                              ;   in Loop: Header=BB26_3 Depth=1
	s_delay_alu instid0(VALU_DEP_1)
	v_cmp_ge_f64_e32 vcc_lo, s[46:47], v[1:2]
	s_mov_b32 s8, 0
	s_and_b32 s67, vcc_lo, exec_lo
.LBB26_127:                             ;   in Loop: Header=BB26_3 Depth=1
	s_and_not1_b32 vcc_lo, exec_lo, s8
	s_cbranch_vccnz .LBB26_129
; %bb.128:                              ;   in Loop: Header=BB26_3 Depth=1
	s_delay_alu instid0(VALU_DEP_1) | instskip(SKIP_2) | instid1(SALU_CYCLE_1)
	v_cmp_ge_f64_e32 vcc_lo, s[46:47], v[3:4]
	s_and_not1_b32 s8, s67, exec_lo
	s_and_b32 s67, vcc_lo, exec_lo
	s_or_b32 s67, s8, s67
.LBB26_129:                             ;   in Loop: Header=BB26_3 Depth=1
	s_mov_b32 s8, 0
.LBB26_130:                             ;   in Loop: Header=BB26_3 Depth=1
	s_delay_alu instid0(SALU_CYCLE_1)
	s_and_not1_b32 vcc_lo, exec_lo, s8
	s_cbranch_vccnz .LBB26_132
; %bb.131:                              ;   in Loop: Header=BB26_3 Depth=1
	s_delay_alu instid0(VALU_DEP_1) | instskip(NEXT) | instid1(VALU_DEP_2)
	v_cmp_ge_f64_e32 vcc_lo, s[46:47], v[3:4]
	v_cmp_ge_f64_e64 s8, s[46:47], v[1:2]
	s_and_not1_b32 s67, s67, exec_lo
	s_delay_alu instid0(VALU_DEP_1) | instskip(NEXT) | instid1(SALU_CYCLE_1)
	s_and_b32 s8, vcc_lo, s8
	s_and_b32 s8, s8, exec_lo
	s_delay_alu instid0(SALU_CYCLE_1)
	s_or_b32 s67, s67, s8
.LBB26_132:                             ;   in Loop: Header=BB26_3 Depth=1
	s_delay_alu instid0(SALU_CYCLE_1)
	s_xor_b32 s8, s67, -1
.LBB26_133:                             ;   in Loop: Header=BB26_3 Depth=1
	v_mov_b32_e32 v5, s66
	s_and_saveexec_b32 s67, s8
	s_cbranch_execz .LBB26_2
; %bb.134:                              ;   in Loop: Header=BB26_3 Depth=1
	s_add_i32 s66, s66, 1
	v_mov_b32_e32 v5, s11
	s_cmp_eq_u32 s66, s11
	s_cselect_b32 s8, -1, 0
	s_delay_alu instid0(SALU_CYCLE_1)
	s_or_not1_b32 s9, s8, exec_lo
	s_branch .LBB26_2
.LBB26_135:
	s_or_b32 exec_lo, exec_lo, s58
.LBB26_136:
	s_delay_alu instid0(SALU_CYCLE_1) | instskip(NEXT) | instid1(SALU_CYCLE_1)
	s_or_b32 exec_lo, exec_lo, s59
	s_and_not1_b32 vcc_lo, exec_lo, s57
	s_cbranch_vccnz .LBB26_153
; %bb.137:
	v_xor_b32_e32 v6, 16, v27
	v_xor_b32_e32 v7, 8, v27
	s_mov_b32 s0, exec_lo
	s_delay_alu instid0(VALU_DEP_2) | instskip(SKIP_1) | instid1(VALU_DEP_3)
	v_cmp_gt_i32_e32 vcc_lo, 32, v6
	v_cndmask_b32_e32 v6, v27, v6, vcc_lo
	v_cmp_gt_i32_e32 vcc_lo, 32, v7
	v_cndmask_b32_e32 v7, v27, v7, vcc_lo
	s_delay_alu instid0(VALU_DEP_1) | instskip(NEXT) | instid1(VALU_DEP_4)
	v_lshlrev_b32_e32 v7, 2, v7
	v_lshlrev_b32_e32 v6, 2, v6
	ds_bpermute_b32 v6, v6, v5
	s_waitcnt lgkmcnt(0)
	v_max_i32_e32 v5, v5, v6
	ds_bpermute_b32 v6, v7, v5
	v_xor_b32_e32 v7, 4, v27
	s_delay_alu instid0(VALU_DEP_1) | instskip(SKIP_1) | instid1(VALU_DEP_1)
	v_cmp_gt_i32_e32 vcc_lo, 32, v7
	v_cndmask_b32_e32 v7, v27, v7, vcc_lo
	v_lshlrev_b32_e32 v7, 2, v7
	s_waitcnt lgkmcnt(0)
	v_max_i32_e32 v5, v5, v6
	ds_bpermute_b32 v6, v7, v5
	v_xor_b32_e32 v7, 2, v27
	s_delay_alu instid0(VALU_DEP_1) | instskip(SKIP_1) | instid1(VALU_DEP_1)
	v_cmp_gt_i32_e32 vcc_lo, 32, v7
	v_cndmask_b32_e32 v7, v27, v7, vcc_lo
	v_lshlrev_b32_e32 v7, 2, v7
	s_waitcnt lgkmcnt(0)
	v_max_i32_e32 v5, v5, v6
	ds_bpermute_b32 v6, v7, v5
	v_xor_b32_e32 v7, 1, v27
	s_delay_alu instid0(VALU_DEP_1) | instskip(SKIP_3) | instid1(VALU_DEP_2)
	v_cmp_gt_i32_e32 vcc_lo, 32, v7
	v_cndmask_b32_e32 v7, v27, v7, vcc_lo
	s_waitcnt lgkmcnt(0)
	v_max_i32_e32 v5, v5, v6
	v_lshlrev_b32_e32 v6, 2, v7
	ds_bpermute_b32 v6, v6, v5
	v_cmpx_eq_u32_e32 31, v26
	s_cbranch_execz .LBB26_139
; %bb.138:
	v_lshlrev_b32_e32 v7, 2, v25
	s_waitcnt lgkmcnt(0)
	v_max_i32_e32 v5, v5, v6
	ds_store_b32 v7, v5 offset:256
.LBB26_139:
	s_or_b32 exec_lo, exec_lo, s0
	v_lshlrev_b32_e32 v5, 2, v0
	s_mov_b32 s0, exec_lo
	s_waitcnt lgkmcnt(0)
	s_waitcnt_vscnt null, 0x0
	s_barrier
	buffer_gl0_inv
	v_cmpx_gt_u32_e32 16, v0
	s_cbranch_execz .LBB26_141
; %bb.140:
	ds_load_2addr_b32 v[6:7], v5 offset0:64 offset1:80
	s_waitcnt lgkmcnt(0)
	v_max_i32_e32 v6, v6, v7
	ds_store_b32 v5, v6 offset:256
.LBB26_141:
	s_or_b32 exec_lo, exec_lo, s0
	s_delay_alu instid0(SALU_CYCLE_1)
	s_mov_b32 s0, exec_lo
	s_waitcnt lgkmcnt(0)
	s_barrier
	buffer_gl0_inv
	v_cmpx_gt_u32_e32 8, v0
	s_cbranch_execz .LBB26_143
; %bb.142:
	ds_load_2addr_b32 v[6:7], v5 offset0:64 offset1:72
	s_waitcnt lgkmcnt(0)
	v_max_i32_e32 v6, v6, v7
	ds_store_b32 v5, v6 offset:256
.LBB26_143:
	s_or_b32 exec_lo, exec_lo, s0
	s_delay_alu instid0(SALU_CYCLE_1)
	s_mov_b32 s0, exec_lo
	s_waitcnt lgkmcnt(0)
	s_barrier
	buffer_gl0_inv
	v_cmpx_gt_u32_e32 4, v0
	s_cbranch_execz .LBB26_145
; %bb.144:
	ds_load_2addr_b32 v[6:7], v5 offset0:64 offset1:68
	s_waitcnt lgkmcnt(0)
	v_max_i32_e32 v6, v6, v7
	ds_store_b32 v5, v6 offset:256
.LBB26_145:
	s_or_b32 exec_lo, exec_lo, s0
	s_delay_alu instid0(SALU_CYCLE_1)
	s_mov_b32 s0, exec_lo
	s_waitcnt lgkmcnt(0)
	s_barrier
	buffer_gl0_inv
	v_cmpx_gt_u32_e32 2, v0
	s_cbranch_execz .LBB26_147
; %bb.146:
	ds_load_2addr_b32 v[6:7], v5 offset0:64 offset1:66
	s_waitcnt lgkmcnt(0)
	v_max_i32_e32 v6, v6, v7
	ds_store_b32 v5, v6 offset:256
.LBB26_147:
	s_or_b32 exec_lo, exec_lo, s0
	v_cmp_eq_u32_e32 vcc_lo, 0, v0
	s_waitcnt lgkmcnt(0)
	s_barrier
	buffer_gl0_inv
	s_and_saveexec_b32 s0, vcc_lo
	s_cbranch_execz .LBB26_149
; %bb.148:
	v_mov_b32_e32 v7, 0
	ds_load_b64 v[5:6], v7 offset:256
	s_waitcnt lgkmcnt(0)
	v_max_i32_e32 v5, v5, v6
	ds_store_b32 v7, v5 offset:256
.LBB26_149:
	s_or_b32 exec_lo, exec_lo, s0
	s_waitcnt lgkmcnt(0)
	s_barrier
	buffer_gl0_inv
	s_and_saveexec_b32 s0, vcc_lo
	s_cbranch_execz .LBB26_152
; %bb.150:
	v_mbcnt_lo_u32_b32 v5, exec_lo, 0
	s_delay_alu instid0(VALU_DEP_1)
	v_cmp_eq_u32_e32 vcc_lo, 0, v5
	s_and_b32 exec_lo, exec_lo, vcc_lo
	s_cbranch_execz .LBB26_152
; %bb.151:
	v_mov_b32_e32 v5, 0
	ds_load_b32 v6, v5 offset:256
	s_waitcnt lgkmcnt(0)
	v_add_nc_u32_e32 v6, 1, v6
	global_atomic_max_i32 v5, v6, s[44:45]
.LBB26_152:
	s_or_b32 exec_lo, exec_lo, s0
.LBB26_153:
	v_cmp_eq_u32_e32 vcc_lo, 0, v0
	s_mov_b32 s2, 0
	s_and_b32 s0, vcc_lo, s33
	s_delay_alu instid0(SALU_CYCLE_1)
	s_and_saveexec_b32 s4, s0
	s_cbranch_execz .LBB26_158
; %bb.154:
	v_mov_b32_e32 v0, 0
	s_delay_alu instid0(VALU_DEP_4)
	v_cmp_eq_f64_e64 s0, 0, v[3:4]
	s_brev_b32 s3, 1
                                        ; implicit-def: $sgpr5
	global_load_b64 v[5:6], v0, s[28:29] glc
	s_waitcnt vmcnt(0)
	v_cmp_eq_u64_e64 s6, s[2:3], v[5:6]
                                        ; implicit-def: $sgpr3
	s_set_inst_prefetch_distance 0x1
	s_branch .LBB26_156
	.p2align	6
.LBB26_155:                             ;   in Loop: Header=BB26_156 Depth=1
	s_or_b32 exec_lo, exec_lo, s7
	s_delay_alu instid0(SALU_CYCLE_1) | instskip(NEXT) | instid1(SALU_CYCLE_1)
	s_and_b32 s1, exec_lo, s3
	s_or_b32 s2, s1, s2
	s_and_not1_b32 s1, s6, exec_lo
	s_and_b32 s6, s5, exec_lo
	s_delay_alu instid0(SALU_CYCLE_1)
	s_or_b32 s6, s1, s6
	s_and_not1_b32 exec_lo, exec_lo, s2
	s_cbranch_execz .LBB26_158
.LBB26_156:                             ; =>This Inner Loop Header: Depth=1
	v_cmp_lt_f64_e64 s1, v[5:6], v[3:4]
	s_delay_alu instid0(VALU_DEP_2) | instskip(SKIP_2) | instid1(VALU_DEP_1)
	s_and_b32 s7, s0, s6
	s_and_not1_b32 s5, s5, exec_lo
	s_or_b32 s3, s3, exec_lo
	s_or_b32 s1, s1, s7
	s_delay_alu instid0(SALU_CYCLE_1)
	s_and_saveexec_b32 s7, s1
	s_cbranch_execz .LBB26_155
; %bb.157:                              ;   in Loop: Header=BB26_156 Depth=1
	global_atomic_cmpswap_b64 v[7:8], v0, v[3:6], s[28:29] glc
	s_and_not1_b32 s5, s5, exec_lo
	s_and_not1_b32 s3, s3, exec_lo
	s_waitcnt vmcnt(0)
	v_cmp_eq_u64_e64 s1, v[7:8], v[5:6]
	s_delay_alu instid0(VALU_DEP_1) | instskip(SKIP_2) | instid1(SALU_CYCLE_1)
	v_cndmask_b32_e64 v6, v8, v6, s1
	v_cndmask_b32_e64 v5, v7, v5, s1
	s_and_b32 s1, s1, exec_lo
	s_or_b32 s3, s3, s1
	s_delay_alu instid0(VALU_DEP_1) | instskip(SKIP_1) | instid1(VALU_DEP_2)
	v_cmp_class_f64_e64 s6, v[5:6], 32
	v_dual_mov_b32 v5, v7 :: v_dual_mov_b32 v6, v8
	s_and_b32 s6, s6, exec_lo
	s_delay_alu instid0(SALU_CYCLE_1)
	s_or_b32 s5, s5, s6
                                        ; implicit-def: $sgpr6
	s_branch .LBB26_155
.LBB26_158:
	s_set_inst_prefetch_distance 0x2
	s_or_b32 exec_lo, exec_lo, s4
	s_and_b32 s0, vcc_lo, s10
	s_delay_alu instid0(SALU_CYCLE_1)
	s_and_saveexec_b32 s1, s0
	s_cbranch_execz .LBB26_163
; %bb.159:
	v_mov_b32_e32 v0, 0
	s_delay_alu instid0(VALU_DEP_4)
	v_cmp_eq_f64_e32 vcc_lo, 0, v[1:2]
	s_brev_b32 s3, 1
	s_mov_b32 s2, 0
                                        ; implicit-def: $sgpr1
	global_load_b64 v[3:4], v0, s[30:31] glc
	s_waitcnt vmcnt(0)
	v_cmp_eq_u64_e64 s4, s[2:3], v[3:4]
                                        ; implicit-def: $sgpr3
	s_set_inst_prefetch_distance 0x1
	s_branch .LBB26_161
	.p2align	6
.LBB26_160:                             ;   in Loop: Header=BB26_161 Depth=1
	s_or_b32 exec_lo, exec_lo, s5
	s_delay_alu instid0(SALU_CYCLE_1) | instskip(NEXT) | instid1(SALU_CYCLE_1)
	s_and_b32 s0, exec_lo, s1
	s_or_b32 s2, s0, s2
	s_and_not1_b32 s0, s4, exec_lo
	s_and_b32 s4, s3, exec_lo
	s_delay_alu instid0(SALU_CYCLE_1)
	s_or_b32 s4, s0, s4
	s_and_not1_b32 exec_lo, exec_lo, s2
	s_cbranch_execz .LBB26_163
.LBB26_161:                             ; =>This Inner Loop Header: Depth=1
	v_cmp_lt_f64_e64 s0, v[3:4], v[1:2]
	s_delay_alu instid0(VALU_DEP_2) | instskip(SKIP_2) | instid1(VALU_DEP_1)
	s_and_b32 s5, vcc_lo, s4
	s_and_not1_b32 s3, s3, exec_lo
	s_or_b32 s1, s1, exec_lo
	s_or_b32 s0, s0, s5
	s_delay_alu instid0(SALU_CYCLE_1)
	s_and_saveexec_b32 s5, s0
	s_cbranch_execz .LBB26_160
; %bb.162:                              ;   in Loop: Header=BB26_161 Depth=1
	global_atomic_cmpswap_b64 v[5:6], v0, v[1:4], s[30:31] glc
	s_and_not1_b32 s3, s3, exec_lo
	s_and_not1_b32 s1, s1, exec_lo
	s_waitcnt vmcnt(0)
	v_cmp_eq_u64_e64 s0, v[5:6], v[3:4]
	s_delay_alu instid0(VALU_DEP_1) | instskip(SKIP_2) | instid1(SALU_CYCLE_1)
	v_cndmask_b32_e64 v4, v6, v4, s0
	v_cndmask_b32_e64 v3, v5, v3, s0
	s_and_b32 s0, s0, exec_lo
	s_or_b32 s1, s1, s0
	s_delay_alu instid0(VALU_DEP_1) | instskip(SKIP_1) | instid1(VALU_DEP_2)
	v_cmp_class_f64_e64 s4, v[3:4], 32
	v_dual_mov_b32 v3, v5 :: v_dual_mov_b32 v4, v6
	s_and_b32 s4, s4, exec_lo
	s_delay_alu instid0(SALU_CYCLE_1)
	s_or_b32 s3, s3, s4
                                        ; implicit-def: $sgpr4
	s_branch .LBB26_160
.LBB26_163:
	s_set_inst_prefetch_distance 0x2
	s_nop 0
	s_sendmsg sendmsg(MSG_DEALLOC_VGPRS)
	s_endpgm
	.section	.rodata,"a",@progbits
	.p2align	6, 0x0
	.amdhsa_kernel _ZN9rocsparseL6kernelILi1024ELi32EdiiEEvbbbT3_PS1_NS_15floating_traitsIT1_E6data_tES1_T2_PKS7_S9_PKS1_PKS4_21rocsparse_index_base_S9_S9_SB_PS4_SF_SE_S9_S9_SB_SF_SF_SE_SF_SF_PS6_SG_PKS6_
		.amdhsa_group_segment_fixed_size 384
		.amdhsa_private_segment_fixed_size 0
		.amdhsa_kernarg_size 208
		.amdhsa_user_sgpr_count 15
		.amdhsa_user_sgpr_dispatch_ptr 0
		.amdhsa_user_sgpr_queue_ptr 0
		.amdhsa_user_sgpr_kernarg_segment_ptr 1
		.amdhsa_user_sgpr_dispatch_id 0
		.amdhsa_user_sgpr_private_segment_size 0
		.amdhsa_wavefront_size32 1
		.amdhsa_uses_dynamic_stack 0
		.amdhsa_enable_private_segment 0
		.amdhsa_system_sgpr_workgroup_id_x 1
		.amdhsa_system_sgpr_workgroup_id_y 0
		.amdhsa_system_sgpr_workgroup_id_z 0
		.amdhsa_system_sgpr_workgroup_info 0
		.amdhsa_system_vgpr_workitem_id 0
		.amdhsa_next_free_vgpr 47
		.amdhsa_next_free_sgpr 81
		.amdhsa_reserve_vcc 1
		.amdhsa_float_round_mode_32 0
		.amdhsa_float_round_mode_16_64 0
		.amdhsa_float_denorm_mode_32 3
		.amdhsa_float_denorm_mode_16_64 3
		.amdhsa_dx10_clamp 1
		.amdhsa_ieee_mode 1
		.amdhsa_fp16_overflow 0
		.amdhsa_workgroup_processor_mode 1
		.amdhsa_memory_ordered 1
		.amdhsa_forward_progress 0
		.amdhsa_shared_vgpr_count 0
		.amdhsa_exception_fp_ieee_invalid_op 0
		.amdhsa_exception_fp_denorm_src 0
		.amdhsa_exception_fp_ieee_div_zero 0
		.amdhsa_exception_fp_ieee_overflow 0
		.amdhsa_exception_fp_ieee_underflow 0
		.amdhsa_exception_fp_ieee_inexact 0
		.amdhsa_exception_int_div_zero 0
	.end_amdhsa_kernel
	.section	.text._ZN9rocsparseL6kernelILi1024ELi32EdiiEEvbbbT3_PS1_NS_15floating_traitsIT1_E6data_tES1_T2_PKS7_S9_PKS1_PKS4_21rocsparse_index_base_S9_S9_SB_PS4_SF_SE_S9_S9_SB_SF_SF_SE_SF_SF_PS6_SG_PKS6_,"axG",@progbits,_ZN9rocsparseL6kernelILi1024ELi32EdiiEEvbbbT3_PS1_NS_15floating_traitsIT1_E6data_tES1_T2_PKS7_S9_PKS1_PKS4_21rocsparse_index_base_S9_S9_SB_PS4_SF_SE_S9_S9_SB_SF_SF_SE_SF_SF_PS6_SG_PKS6_,comdat
.Lfunc_end26:
	.size	_ZN9rocsparseL6kernelILi1024ELi32EdiiEEvbbbT3_PS1_NS_15floating_traitsIT1_E6data_tES1_T2_PKS7_S9_PKS1_PKS4_21rocsparse_index_base_S9_S9_SB_PS4_SF_SE_S9_S9_SB_SF_SF_SE_SF_SF_PS6_SG_PKS6_, .Lfunc_end26-_ZN9rocsparseL6kernelILi1024ELi32EdiiEEvbbbT3_PS1_NS_15floating_traitsIT1_E6data_tES1_T2_PKS7_S9_PKS1_PKS4_21rocsparse_index_base_S9_S9_SB_PS4_SF_SE_S9_S9_SB_SF_SF_SE_SF_SF_PS6_SG_PKS6_
                                        ; -- End function
	.section	.AMDGPU.csdata,"",@progbits
; Kernel info:
; codeLenInByte = 6676
; NumSgprs: 83
; NumVgprs: 47
; ScratchSize: 0
; MemoryBound: 1
; FloatMode: 240
; IeeeMode: 1
; LDSByteSize: 384 bytes/workgroup (compile time only)
; SGPRBlocks: 10
; VGPRBlocks: 5
; NumSGPRsForWavesPerEU: 83
; NumVGPRsForWavesPerEU: 47
; Occupancy: 16
; WaveLimiterHint : 1
; COMPUTE_PGM_RSRC2:SCRATCH_EN: 0
; COMPUTE_PGM_RSRC2:USER_SGPR: 15
; COMPUTE_PGM_RSRC2:TRAP_HANDLER: 0
; COMPUTE_PGM_RSRC2:TGID_X_EN: 1
; COMPUTE_PGM_RSRC2:TGID_Y_EN: 0
; COMPUTE_PGM_RSRC2:TGID_Z_EN: 0
; COMPUTE_PGM_RSRC2:TIDIG_COMP_CNT: 0
	.section	.text._ZN9rocsparseL6kernelILi1024ELi64EdiiEEvbbbT3_PS1_NS_15floating_traitsIT1_E6data_tES1_T2_PKS7_S9_PKS1_PKS4_21rocsparse_index_base_S9_S9_SB_PS4_SF_SE_S9_S9_SB_SF_SF_SE_SF_SF_PS6_SG_PKS6_,"axG",@progbits,_ZN9rocsparseL6kernelILi1024ELi64EdiiEEvbbbT3_PS1_NS_15floating_traitsIT1_E6data_tES1_T2_PKS7_S9_PKS1_PKS4_21rocsparse_index_base_S9_S9_SB_PS4_SF_SE_S9_S9_SB_SF_SF_SE_SF_SF_PS6_SG_PKS6_,comdat
	.globl	_ZN9rocsparseL6kernelILi1024ELi64EdiiEEvbbbT3_PS1_NS_15floating_traitsIT1_E6data_tES1_T2_PKS7_S9_PKS1_PKS4_21rocsparse_index_base_S9_S9_SB_PS4_SF_SE_S9_S9_SB_SF_SF_SE_SF_SF_PS6_SG_PKS6_ ; -- Begin function _ZN9rocsparseL6kernelILi1024ELi64EdiiEEvbbbT3_PS1_NS_15floating_traitsIT1_E6data_tES1_T2_PKS7_S9_PKS1_PKS4_21rocsparse_index_base_S9_S9_SB_PS4_SF_SE_S9_S9_SB_SF_SF_SE_SF_SF_PS6_SG_PKS6_
	.p2align	8
	.type	_ZN9rocsparseL6kernelILi1024ELi64EdiiEEvbbbT3_PS1_NS_15floating_traitsIT1_E6data_tES1_T2_PKS7_S9_PKS1_PKS4_21rocsparse_index_base_S9_S9_SB_PS4_SF_SE_S9_S9_SB_SF_SF_SE_SF_SF_PS6_SG_PKS6_,@function
_ZN9rocsparseL6kernelILi1024ELi64EdiiEEvbbbT3_PS1_NS_15floating_traitsIT1_E6data_tES1_T2_PKS7_S9_PKS1_PKS4_21rocsparse_index_base_S9_S9_SB_PS4_SF_SE_S9_S9_SB_SF_SF_SE_SF_SF_PS6_SG_PKS6_: ; @_ZN9rocsparseL6kernelILi1024ELi64EdiiEEvbbbT3_PS1_NS_15floating_traitsIT1_E6data_tES1_T2_PKS7_S9_PKS1_PKS4_21rocsparse_index_base_S9_S9_SB_PS4_SF_SE_S9_S9_SB_SF_SF_SE_SF_SF_PS6_SG_PKS6_
; %bb.0:
	s_clause 0x4
	s_load_b32 s2, s[0:1], 0x0
	s_load_b64 s[8:9], s[0:1], 0x0
	s_load_b32 s55, s[0:1], 0x18
	s_load_b128 s[44:47], s[0:1], 0x8
	s_load_b128 s[28:31], s[0:1], 0xb8
	v_dual_mov_b32 v5, 0 :: v_dual_lshlrev_b32 v28, 3, v0
	v_lshrrev_b32_e32 v25, 6, v0
	v_mov_b32_e32 v1, 0
	v_mov_b32_e32 v2, 0
	s_delay_alu instid0(VALU_DEP_4)
	v_mov_b32_e32 v6, v5
	v_and_b32_e32 v26, 63, v0
	v_mbcnt_lo_u32_b32 v27, -1, 0
	s_mov_b32 s57, 0
	v_dual_mov_b32 v4, v2 :: v_dual_mov_b32 v3, v1
	ds_store_b64 v28, v[5:6]
	s_waitcnt lgkmcnt(0)
	s_barrier
	buffer_gl0_inv
	s_bitcmp1_b32 s2, 0
	s_cselect_b32 s56, -1, 0
	s_bitcmp1_b32 s2, 8
	s_cselect_b32 s54, -1, 0
	;; [unrolled: 2-line block ×3, first 2 shown]
	s_lshl_b32 s62, s15, 10
	s_cmp_gt_i32 s9, 0
	v_or_b32_e32 v29, s62, v25
	s_cselect_b32 s2, -1, 0
	s_delay_alu instid0(VALU_DEP_1) | instskip(SKIP_1) | instid1(SALU_CYCLE_1)
	v_cmp_gt_i32_e32 vcc_lo, s55, v29
	s_and_b32 s2, s2, vcc_lo
	s_and_saveexec_b32 s58, s2
	s_cbranch_execz .LBB27_132
; %bb.1:
	s_clause 0x9
	s_load_b32 s59, s[0:1], 0x40
	s_load_b32 s60, s[0:1], 0x70
	;; [unrolled: 1-line block ×3, first 2 shown]
	s_load_b64 s[10:11], s[0:1], 0x98
	s_load_b64 s[34:35], s[0:1], 0x68
	;; [unrolled: 1-line block ×3, first 2 shown]
	s_load_b128 s[48:51], s[0:1], 0xa8
	s_load_b256 s[12:19], s[0:1], 0x78
	s_load_b256 s[20:27], s[0:1], 0x48
	;; [unrolled: 1-line block ×3, first 2 shown]
	v_dual_mov_b32 v3, 0 :: v_dual_lshlrev_b32 v30, 3, v25
	v_mov_b32_e32 v4, 0
	s_addk_i32 s62, 0x400
	s_delay_alu instid0(VALU_DEP_2)
	v_dual_mov_b32 v6, 0 :: v_dual_mov_b32 v1, v3
	v_cmp_eq_u32_e64 s0, 63, v26
	v_cmp_gt_u32_e64 s1, 8, v0
	v_cmp_gt_u32_e64 s2, 4, v0
	;; [unrolled: 1-line block ×3, first 2 shown]
	v_cmp_eq_u32_e64 s4, 0, v0
	v_cmp_gt_u32_e64 s5, s62, v29
	s_waitcnt lgkmcnt(0)
	v_subrev_nc_u32_e32 v31, s59, v26
	v_subrev_nc_u32_e32 v32, s60, v26
	;; [unrolled: 1-line block ×3, first 2 shown]
	v_cmp_eq_u32_e64 s6, 0, v26
	v_mov_b32_e32 v2, v4
	s_and_b32 s7, s54, s33
	s_xor_b32 s63, s54, -1
	s_xor_b32 s64, s7, -1
	s_mov_b32 s65, 0
	s_branch .LBB27_3
.LBB27_2:                               ;   in Loop: Header=BB27_3 Depth=1
	s_or_b32 exec_lo, exec_lo, s66
	s_delay_alu instid0(SALU_CYCLE_1) | instskip(NEXT) | instid1(SALU_CYCLE_1)
	s_and_b32 s7, exec_lo, s8
	s_or_b32 s57, s7, s57
	s_delay_alu instid0(SALU_CYCLE_1)
	s_and_not1_b32 exec_lo, exec_lo, s57
	s_cbranch_execz .LBB27_131
.LBB27_3:                               ; =>This Loop Header: Depth=1
                                        ;     Child Loop BB27_7 Depth 2
                                        ;       Child Loop BB27_12 Depth 3
                                        ;         Child Loop BB27_16 Depth 4
                                        ;         Child Loop BB27_37 Depth 4
	;; [unrolled: 1-line block ×5, first 2 shown]
                                        ;     Child Loop BB27_110 Depth 2
                                        ;       Child Loop BB27_113 Depth 3
                                        ;       Child Loop BB27_116 Depth 3
	s_delay_alu instid0(VALU_DEP_2) | instskip(NEXT) | instid1(VALU_DEP_3)
	v_cndmask_b32_e64 v4, v4, 0, s54
	v_cndmask_b32_e64 v3, v3, 0, s54
	s_delay_alu instid0(VALU_DEP_4)
	v_cndmask_b32_e64 v2, v2, 0, s33
	v_cndmask_b32_e64 v1, v1, 0, s33
	s_mov_b32 s66, 0
	s_branch .LBB27_7
.LBB27_4:                               ;   in Loop: Header=BB27_7 Depth=2
	s_or_b32 exec_lo, exec_lo, s69
.LBB27_5:                               ;   in Loop: Header=BB27_7 Depth=2
	s_delay_alu instid0(SALU_CYCLE_1)
	s_or_b32 exec_lo, exec_lo, s68
.LBB27_6:                               ;   in Loop: Header=BB27_7 Depth=2
	s_delay_alu instid0(SALU_CYCLE_1) | instskip(SKIP_1) | instid1(SALU_CYCLE_1)
	s_or_b32 exec_lo, exec_lo, s67
	s_add_i32 s66, s66, 1
	s_cmp_eq_u32 s66, 64
	s_cbranch_scc1 .LBB27_83
.LBB27_7:                               ;   Parent Loop BB27_3 Depth=1
                                        ; =>  This Loop Header: Depth=2
                                        ;       Child Loop BB27_12 Depth 3
                                        ;         Child Loop BB27_16 Depth 4
                                        ;         Child Loop BB27_37 Depth 4
	;; [unrolled: 1-line block ×5, first 2 shown]
	v_lshl_add_u32 v7, s66, 4, v29
	s_mov_b32 s67, exec_lo
	s_delay_alu instid0(VALU_DEP_1)
	v_cmpx_gt_i32_e64 s55, v7
	s_cbranch_execz .LBB27_6
; %bb.8:                                ;   in Loop: Header=BB27_7 Depth=2
	v_ashrrev_i32_e32 v8, 31, v7
	s_mov_b32 s68, exec_lo
	s_delay_alu instid0(VALU_DEP_1) | instskip(NEXT) | instid1(VALU_DEP_1)
	v_lshlrev_b64 v[9:10], 2, v[7:8]
	v_add_co_u32 v11, vcc_lo, s36, v9
	s_delay_alu instid0(VALU_DEP_2)
	v_add_co_ci_u32_e32 v12, vcc_lo, s37, v10, vcc_lo
	v_add_co_u32 v13, vcc_lo, s38, v9
	v_add_co_ci_u32_e32 v14, vcc_lo, s39, v10, vcc_lo
	global_load_b32 v5, v[11:12], off
	global_load_b32 v11, v[13:14], off
	s_waitcnt vmcnt(1)
	v_add_nc_u32_e32 v8, v31, v5
	s_waitcnt vmcnt(0)
	v_subrev_nc_u32_e32 v34, s59, v11
	s_delay_alu instid0(VALU_DEP_1)
	v_cmpx_lt_i32_e64 v8, v34
	s_cbranch_execz .LBB27_5
; %bb.9:                                ;   in Loop: Header=BB27_7 Depth=2
	v_add_co_u32 v11, vcc_lo, s20, v9
	v_add_co_ci_u32_e32 v12, vcc_lo, s21, v10, vcc_lo
	v_add_co_u32 v9, vcc_lo, s22, v9
	v_add_co_ci_u32_e32 v10, vcc_lo, s23, v10, vcc_lo
	global_load_b32 v5, v[11:12], off
	s_mov_b32 s69, 0
	global_load_b32 v9, v[9:10], off
	s_waitcnt vmcnt(1)
	v_subrev_nc_u32_e32 v10, s60, v5
	s_waitcnt vmcnt(0)
	v_sub_nc_u32_e32 v35, v9, v5
	s_delay_alu instid0(VALU_DEP_2) | instskip(NEXT) | instid1(VALU_DEP_2)
	v_ashrrev_i32_e32 v11, 31, v10
	v_cmp_lt_i32_e64 s7, 0, v35
	s_delay_alu instid0(VALU_DEP_2) | instskip(SKIP_1) | instid1(VALU_DEP_2)
	v_lshlrev_b64 v[12:13], 2, v[10:11]
	v_lshlrev_b64 v[14:15], 3, v[10:11]
	v_add_co_u32 v36, vcc_lo, s24, v12
	s_delay_alu instid0(VALU_DEP_3) | instskip(NEXT) | instid1(VALU_DEP_3)
	v_add_co_ci_u32_e32 v37, vcc_lo, s25, v13, vcc_lo
	v_add_co_u32 v38, vcc_lo, s26, v14
	s_delay_alu instid0(VALU_DEP_4)
	v_add_co_ci_u32_e32 v39, vcc_lo, s27, v15, vcc_lo
	s_branch .LBB27_12
.LBB27_10:                              ;   in Loop: Header=BB27_12 Depth=3
	s_or_b32 exec_lo, exec_lo, s70
.LBB27_11:                              ;   in Loop: Header=BB27_12 Depth=3
	s_delay_alu instid0(SALU_CYCLE_1) | instskip(SKIP_1) | instid1(VALU_DEP_1)
	s_or_b32 exec_lo, exec_lo, s8
	v_add_nc_u32_e32 v8, 64, v8
	v_cmp_ge_i32_e32 vcc_lo, v8, v34
	s_or_b32 s69, vcc_lo, s69
	s_delay_alu instid0(SALU_CYCLE_1)
	s_and_not1_b32 exec_lo, exec_lo, s69
	s_cbranch_execz .LBB27_4
.LBB27_12:                              ;   Parent Loop BB27_3 Depth=1
                                        ;     Parent Loop BB27_7 Depth=2
                                        ; =>    This Loop Header: Depth=3
                                        ;         Child Loop BB27_16 Depth 4
                                        ;         Child Loop BB27_37 Depth 4
	;; [unrolled: 1-line block ×5, first 2 shown]
	v_ashrrev_i32_e32 v9, 31, v8
	v_mov_b32_e32 v18, 0
	s_delay_alu instid0(VALU_DEP_2) | instskip(NEXT) | instid1(VALU_DEP_1)
	v_lshlrev_b64 v[11:12], 2, v[8:9]
	v_add_co_u32 v11, vcc_lo, s40, v11
	s_delay_alu instid0(VALU_DEP_2) | instskip(SKIP_3) | instid1(VALU_DEP_1)
	v_add_co_ci_u32_e32 v12, vcc_lo, s41, v12, vcc_lo
	global_load_b32 v5, v[11:12], off
	s_waitcnt vmcnt(0)
	v_subrev_nc_u32_e32 v11, s59, v5
	v_ashrrev_i32_e32 v12, 31, v11
	s_delay_alu instid0(VALU_DEP_1) | instskip(NEXT) | instid1(VALU_DEP_1)
	v_lshlrev_b64 v[13:14], 2, v[11:12]
	v_add_co_u32 v15, vcc_lo, s12, v13
	s_delay_alu instid0(VALU_DEP_2)
	v_add_co_ci_u32_e32 v16, vcc_lo, s13, v14, vcc_lo
	v_add_co_u32 v13, vcc_lo, s14, v13
	v_add_co_ci_u32_e32 v14, vcc_lo, s15, v14, vcc_lo
	global_load_b32 v5, v[15:16], off
	global_load_b32 v15, v[13:14], off
	v_mov_b32_e32 v13, 0
	v_mov_b32_e32 v14, 0
	s_waitcnt vmcnt(1)
	v_subrev_nc_u32_e32 v17, s61, v5
	s_waitcnt vmcnt(0)
	v_sub_nc_u32_e32 v40, v15, v5
	v_mov_b32_e32 v5, 0
	s_and_saveexec_b32 s70, s7
	s_cbranch_execz .LBB27_20
; %bb.13:                               ;   in Loop: Header=BB27_12 Depth=3
	v_ashrrev_i32_e32 v18, 31, v17
	v_mov_b32_e32 v5, 0
	s_mov_b32 s71, 0
                                        ; implicit-def: $sgpr72
	s_delay_alu instid0(VALU_DEP_2) | instskip(SKIP_1) | instid1(VALU_DEP_2)
	v_lshlrev_b64 v[13:14], 2, v[17:18]
	v_lshlrev_b64 v[18:19], 3, v[17:18]
	v_add_co_u32 v15, vcc_lo, s16, v13
	s_delay_alu instid0(VALU_DEP_3) | instskip(NEXT) | instid1(VALU_DEP_3)
	v_add_co_ci_u32_e32 v16, vcc_lo, s17, v14, vcc_lo
	v_add_co_u32 v20, vcc_lo, s18, v18
	v_mov_b32_e32 v13, 0
	v_add_co_ci_u32_e32 v21, vcc_lo, s19, v19, vcc_lo
	v_mov_b32_e32 v14, 0
	v_mov_b32_e32 v18, v5
	s_branch .LBB27_16
.LBB27_14:                              ;   in Loop: Header=BB27_16 Depth=4
	s_or_b32 exec_lo, exec_lo, s8
	v_cmp_le_i32_e32 vcc_lo, v22, v23
	v_cmp_ge_i32_e64 s8, v22, v23
	v_add_co_ci_u32_e32 v5, vcc_lo, 0, v5, vcc_lo
	s_delay_alu instid0(VALU_DEP_2) | instskip(SKIP_1) | instid1(VALU_DEP_2)
	v_add_co_ci_u32_e64 v18, s8, 0, v18, s8
	s_and_not1_b32 s8, s72, exec_lo
	v_cmp_ge_i32_e32 vcc_lo, v5, v35
	s_and_b32 s72, vcc_lo, exec_lo
	s_delay_alu instid0(SALU_CYCLE_1)
	s_or_b32 s72, s8, s72
.LBB27_15:                              ;   in Loop: Header=BB27_16 Depth=4
	s_or_b32 exec_lo, exec_lo, s73
	s_delay_alu instid0(SALU_CYCLE_1) | instskip(NEXT) | instid1(SALU_CYCLE_1)
	s_and_b32 s8, exec_lo, s72
	s_or_b32 s71, s8, s71
	s_delay_alu instid0(SALU_CYCLE_1)
	s_and_not1_b32 exec_lo, exec_lo, s71
	s_cbranch_execz .LBB27_19
.LBB27_16:                              ;   Parent Loop BB27_3 Depth=1
                                        ;     Parent Loop BB27_7 Depth=2
                                        ;       Parent Loop BB27_12 Depth=3
                                        ; =>      This Inner Loop Header: Depth=4
	s_or_b32 s72, s72, exec_lo
	s_mov_b32 s73, exec_lo
	s_delay_alu instid0(VALU_DEP_1)
	v_cmpx_lt_i32_e64 v18, v40
	s_cbranch_execz .LBB27_15
; %bb.17:                               ;   in Loop: Header=BB27_16 Depth=4
	v_mov_b32_e32 v19, v6
	v_lshlrev_b64 v[22:23], 2, v[5:6]
	s_mov_b32 s8, exec_lo
	s_delay_alu instid0(VALU_DEP_2) | instskip(NEXT) | instid1(VALU_DEP_2)
	v_lshlrev_b64 v[41:42], 2, v[18:19]
	v_add_co_u32 v22, vcc_lo, v36, v22
	s_delay_alu instid0(VALU_DEP_3) | instskip(NEXT) | instid1(VALU_DEP_3)
	v_add_co_ci_u32_e32 v23, vcc_lo, v37, v23, vcc_lo
	v_add_co_u32 v41, vcc_lo, v15, v41
	s_delay_alu instid0(VALU_DEP_4)
	v_add_co_ci_u32_e32 v42, vcc_lo, v16, v42, vcc_lo
	global_load_b32 v22, v[22:23], off
	global_load_b32 v23, v[41:42], off
	s_waitcnt vmcnt(1)
	v_subrev_nc_u32_e32 v22, s60, v22
	s_waitcnt vmcnt(0)
	v_subrev_nc_u32_e32 v23, s61, v23
	s_delay_alu instid0(VALU_DEP_1)
	v_cmpx_eq_u32_e64 v22, v23
	s_cbranch_execz .LBB27_14
; %bb.18:                               ;   in Loop: Header=BB27_16 Depth=4
	v_lshlrev_b64 v[41:42], 3, v[5:6]
	v_lshlrev_b64 v[43:44], 3, v[18:19]
	s_delay_alu instid0(VALU_DEP_2) | instskip(NEXT) | instid1(VALU_DEP_3)
	v_add_co_u32 v41, vcc_lo, v38, v41
	v_add_co_ci_u32_e32 v42, vcc_lo, v39, v42, vcc_lo
	s_delay_alu instid0(VALU_DEP_3) | instskip(NEXT) | instid1(VALU_DEP_4)
	v_add_co_u32 v43, vcc_lo, v20, v43
	v_add_co_ci_u32_e32 v44, vcc_lo, v21, v44, vcc_lo
	global_load_b64 v[41:42], v[41:42], off
	global_load_b64 v[43:44], v[43:44], off
	s_waitcnt vmcnt(0)
	v_fma_f64 v[13:14], v[41:42], v[43:44], v[13:14]
	s_branch .LBB27_14
.LBB27_19:                              ;   in Loop: Header=BB27_12 Depth=3
	s_or_b32 exec_lo, exec_lo, s71
.LBB27_20:                              ;   in Loop: Header=BB27_12 Depth=3
	s_delay_alu instid0(SALU_CYCLE_1) | instskip(SKIP_3) | instid1(VALU_DEP_2)
	s_or_b32 exec_lo, exec_lo, s70
	v_lshlrev_b64 v[15:16], 3, v[8:9]
	v_cmp_le_i32_e64 s8, v7, v11
	s_mov_b32 s70, exec_lo
	v_add_co_u32 v15, vcc_lo, s42, v15
	s_delay_alu instid0(VALU_DEP_3)
	v_add_co_ci_u32_e32 v16, vcc_lo, s43, v16, vcc_lo
	global_load_b64 v[15:16], v[15:16], off
	s_waitcnt vmcnt(0)
	v_add_f64 v[19:20], v[15:16], -v[13:14]
	v_cmpx_gt_i32_e64 v7, v11
	s_cbranch_execnz .LBB27_23
; %bb.21:                               ;   in Loop: Header=BB27_12 Depth=3
	s_or_b32 exec_lo, exec_lo, s70
	s_delay_alu instid0(VALU_DEP_2) | instskip(NEXT) | instid1(VALU_DEP_1)
	v_cmp_class_f64_e64 s70, v[19:20], 0x1f8
	s_and_saveexec_b32 s71, s70
	s_cbranch_execnz .LBB27_26
.LBB27_22:                              ;   in Loop: Header=BB27_12 Depth=3
	s_or_b32 exec_lo, exec_lo, s71
	s_and_b32 s70, s70, s33
	s_delay_alu instid0(SALU_CYCLE_1)
	s_and_saveexec_b32 s8, s70
	s_cbranch_execz .LBB27_11
	s_branch .LBB27_61
.LBB27_23:                              ;   in Loop: Header=BB27_12 Depth=3
	v_lshlrev_b64 v[21:22], 3, v[11:12]
	v_mov_b32_e32 v23, 0
	v_mov_b32_e32 v24, 0
	s_mov_b32 s71, exec_lo
	s_delay_alu instid0(VALU_DEP_3) | instskip(NEXT) | instid1(VALU_DEP_4)
	v_add_co_u32 v21, vcc_lo, s48, v21
	v_add_co_ci_u32_e32 v22, vcc_lo, s49, v22, vcc_lo
	global_load_b64 v[21:22], v[21:22], off
	s_waitcnt vmcnt(0)
	v_cmpx_lg_f64_e32 0, v[21:22]
; %bb.24:                               ;   in Loop: Header=BB27_12 Depth=3
	v_div_scale_f64 v[23:24], null, v[21:22], v[21:22], v[19:20]
	s_delay_alu instid0(VALU_DEP_1) | instskip(SKIP_2) | instid1(VALU_DEP_1)
	v_rcp_f64_e32 v[41:42], v[23:24]
	s_waitcnt_depctr 0xfff
	v_fma_f64 v[43:44], -v[23:24], v[41:42], 1.0
	v_fma_f64 v[41:42], v[41:42], v[43:44], v[41:42]
	s_delay_alu instid0(VALU_DEP_1) | instskip(NEXT) | instid1(VALU_DEP_1)
	v_fma_f64 v[43:44], -v[23:24], v[41:42], 1.0
	v_fma_f64 v[41:42], v[41:42], v[43:44], v[41:42]
	v_div_scale_f64 v[43:44], vcc_lo, v[19:20], v[21:22], v[19:20]
	s_delay_alu instid0(VALU_DEP_1) | instskip(NEXT) | instid1(VALU_DEP_1)
	v_mul_f64 v[45:46], v[43:44], v[41:42]
	v_fma_f64 v[23:24], -v[23:24], v[45:46], v[43:44]
	s_delay_alu instid0(VALU_DEP_1) | instskip(NEXT) | instid1(VALU_DEP_1)
	v_div_fmas_f64 v[23:24], v[23:24], v[41:42], v[45:46]
	v_div_fixup_f64 v[23:24], v[23:24], v[21:22], v[19:20]
; %bb.25:                               ;   in Loop: Header=BB27_12 Depth=3
	s_or_b32 exec_lo, exec_lo, s71
	s_delay_alu instid0(VALU_DEP_1) | instskip(SKIP_1) | instid1(VALU_DEP_1)
	v_dual_mov_b32 v19, v23 :: v_dual_mov_b32 v20, v24
	s_or_b32 exec_lo, exec_lo, s70
	v_cmp_class_f64_e64 s70, v[19:20], 0x1f8
	s_delay_alu instid0(VALU_DEP_1)
	s_and_saveexec_b32 s71, s70
	s_cbranch_execz .LBB27_22
.LBB27_26:                              ;   in Loop: Header=BB27_12 Depth=3
	s_and_saveexec_b32 s72, s8
	s_delay_alu instid0(SALU_CYCLE_1)
	s_xor_b32 s8, exec_lo, s72
	s_cbranch_execz .LBB27_47
; %bb.27:                               ;   in Loop: Header=BB27_12 Depth=3
	s_mov_b32 s72, exec_lo
	v_cmpx_ge_i32_e64 v7, v11
	s_xor_b32 s72, exec_lo, s72
	s_cbranch_execz .LBB27_33
; %bb.28:                               ;   in Loop: Header=BB27_12 Depth=3
	v_lshlrev_b64 v[21:22], 3, v[11:12]
	s_delay_alu instid0(VALU_DEP_1) | instskip(NEXT) | instid1(VALU_DEP_2)
	v_add_co_u32 v23, vcc_lo, s50, v21
	v_add_co_ci_u32_e32 v24, vcc_lo, s51, v22, vcc_lo
	s_and_not1_b32 vcc_lo, exec_lo, s54
	global_store_b64 v[23:24], v[19:20], off
	s_cbranch_vccnz .LBB27_32
; %bb.29:                               ;   in Loop: Header=BB27_12 Depth=3
	v_add_co_u32 v21, vcc_lo, s48, v21
	v_add_co_ci_u32_e32 v22, vcc_lo, s49, v22, vcc_lo
	global_load_b64 v[21:22], v[21:22], off
	s_waitcnt vmcnt(0)
	v_add_f64 v[19:20], v[21:22], -v[19:20]
	s_delay_alu instid0(VALU_DEP_1) | instskip(NEXT) | instid1(VALU_DEP_1)
	v_cmp_class_f64_e64 s74, v[19:20], 0x1f8
	s_and_saveexec_b32 s73, s74
; %bb.30:                               ;   in Loop: Header=BB27_12 Depth=3
	v_cmp_lt_f64_e64 vcc_lo, v[3:4], |v[19:20]|
	v_and_b32_e32 v9, 0x7fffffff, v20
	s_delay_alu instid0(VALU_DEP_1)
	v_dual_cndmask_b32 v4, v4, v9 :: v_dual_cndmask_b32 v3, v3, v19
; %bb.31:                               ;   in Loop: Header=BB27_12 Depth=3
	s_or_b32 exec_lo, exec_lo, s73
.LBB27_32:                              ;   in Loop: Header=BB27_12 Depth=3
                                        ; implicit-def: $vgpr19_vgpr20
.LBB27_33:                              ;   in Loop: Header=BB27_12 Depth=3
	s_and_not1_saveexec_b32 s72, s72
	s_cbranch_execz .LBB27_46
; %bb.34:                               ;   in Loop: Header=BB27_12 Depth=3
	s_mov_b32 s73, exec_lo
	v_cmpx_lt_i32_e64 v18, v40
	s_cbranch_execz .LBB27_45
; %bb.35:                               ;   in Loop: Header=BB27_12 Depth=3
	v_mov_b32_e32 v9, v18
	s_mov_b32 s74, 0
                                        ; implicit-def: $sgpr75
                                        ; implicit-def: $sgpr77
                                        ; implicit-def: $sgpr76
	s_set_inst_prefetch_distance 0x1
	s_branch .LBB27_37
	.p2align	6
.LBB27_36:                              ;   in Loop: Header=BB27_37 Depth=4
	s_or_b32 exec_lo, exec_lo, s78
	s_delay_alu instid0(SALU_CYCLE_1) | instskip(NEXT) | instid1(SALU_CYCLE_1)
	s_and_b32 s78, exec_lo, s77
	s_or_b32 s74, s78, s74
	s_and_not1_b32 s75, s75, exec_lo
	s_and_b32 s78, s76, exec_lo
	s_delay_alu instid0(SALU_CYCLE_1)
	s_or_b32 s75, s75, s78
	s_and_not1_b32 exec_lo, exec_lo, s74
	s_cbranch_execz .LBB27_39
.LBB27_37:                              ;   Parent Loop BB27_3 Depth=1
                                        ;     Parent Loop BB27_7 Depth=2
                                        ;       Parent Loop BB27_12 Depth=3
                                        ; =>      This Inner Loop Header: Depth=4
	s_delay_alu instid0(VALU_DEP_1) | instskip(SKIP_3) | instid1(VALU_DEP_1)
	v_add_nc_u32_e32 v21, v17, v9
	s_or_b32 s76, s76, exec_lo
	s_or_b32 s77, s77, exec_lo
	s_mov_b32 s78, exec_lo
	v_ashrrev_i32_e32 v22, 31, v21
	s_delay_alu instid0(VALU_DEP_1) | instskip(NEXT) | instid1(VALU_DEP_1)
	v_lshlrev_b64 v[23:24], 2, v[21:22]
	v_add_co_u32 v23, vcc_lo, s16, v23
	s_delay_alu instid0(VALU_DEP_2) | instskip(SKIP_3) | instid1(VALU_DEP_1)
	v_add_co_ci_u32_e32 v24, vcc_lo, s17, v24, vcc_lo
	global_load_b32 v23, v[23:24], off
	s_waitcnt vmcnt(0)
	v_subrev_nc_u32_e32 v23, s61, v23
	v_cmpx_ne_u32_e64 v23, v7
	s_cbranch_execz .LBB27_36
; %bb.38:                               ;   in Loop: Header=BB27_37 Depth=4
	v_add_nc_u32_e32 v9, 1, v9
	s_and_not1_b32 s77, s77, exec_lo
	s_and_not1_b32 s76, s76, exec_lo
	s_delay_alu instid0(VALU_DEP_1) | instskip(SKIP_1) | instid1(SALU_CYCLE_1)
	v_cmp_ge_i32_e32 vcc_lo, v9, v40
	s_and_b32 s79, vcc_lo, exec_lo
	s_or_b32 s77, s77, s79
	s_branch .LBB27_36
.LBB27_39:                              ;   in Loop: Header=BB27_12 Depth=3
	s_set_inst_prefetch_distance 0x2
	s_or_b32 exec_lo, exec_lo, s74
	s_and_saveexec_b32 s74, s75
	s_delay_alu instid0(SALU_CYCLE_1)
	s_xor_b32 s74, exec_lo, s74
	s_cbranch_execz .LBB27_44
; %bb.40:                               ;   in Loop: Header=BB27_12 Depth=3
	v_lshlrev_b64 v[21:22], 3, v[21:22]
	s_delay_alu instid0(VALU_DEP_1) | instskip(NEXT) | instid1(VALU_DEP_2)
	v_add_co_u32 v23, vcc_lo, s10, v21
	v_add_co_ci_u32_e32 v24, vcc_lo, s11, v22, vcc_lo
	s_and_not1_b32 vcc_lo, exec_lo, s54
	global_store_b64 v[23:24], v[19:20], off
	s_cbranch_vccnz .LBB27_44
; %bb.41:                               ;   in Loop: Header=BB27_12 Depth=3
	v_add_co_u32 v21, vcc_lo, s18, v21
	v_add_co_ci_u32_e32 v22, vcc_lo, s19, v22, vcc_lo
	global_load_b64 v[21:22], v[21:22], off
	s_waitcnt vmcnt(0)
	v_add_f64 v[19:20], v[21:22], -v[19:20]
	s_delay_alu instid0(VALU_DEP_1) | instskip(NEXT) | instid1(VALU_DEP_1)
	v_cmp_class_f64_e64 s76, v[19:20], 0x1f8
	s_and_saveexec_b32 s75, s76
; %bb.42:                               ;   in Loop: Header=BB27_12 Depth=3
	v_cmp_lt_f64_e64 vcc_lo, v[3:4], |v[19:20]|
	v_and_b32_e32 v9, 0x7fffffff, v20
	s_delay_alu instid0(VALU_DEP_1)
	v_dual_cndmask_b32 v4, v4, v9 :: v_dual_cndmask_b32 v3, v3, v19
; %bb.43:                               ;   in Loop: Header=BB27_12 Depth=3
	s_or_b32 exec_lo, exec_lo, s75
.LBB27_44:                              ;   in Loop: Header=BB27_12 Depth=3
	s_delay_alu instid0(SALU_CYCLE_1)
	s_or_b32 exec_lo, exec_lo, s74
.LBB27_45:                              ;   in Loop: Header=BB27_12 Depth=3
	s_delay_alu instid0(SALU_CYCLE_1)
	s_or_b32 exec_lo, exec_lo, s73
.LBB27_46:                              ;   in Loop: Header=BB27_12 Depth=3
	s_delay_alu instid0(SALU_CYCLE_1)
	s_or_b32 exec_lo, exec_lo, s72
                                        ; implicit-def: $vgpr19_vgpr20
.LBB27_47:                              ;   in Loop: Header=BB27_12 Depth=3
	s_and_not1_saveexec_b32 s8, s8
	s_cbranch_execz .LBB27_60
; %bb.48:                               ;   in Loop: Header=BB27_12 Depth=3
	s_mov_b32 s72, exec_lo
	v_cmpx_lt_i32_e64 v5, v35
	s_cbranch_execz .LBB27_59
; %bb.49:                               ;   in Loop: Header=BB27_12 Depth=3
	v_mov_b32_e32 v9, v5
	s_mov_b32 s73, 0
                                        ; implicit-def: $sgpr74
                                        ; implicit-def: $sgpr76
                                        ; implicit-def: $sgpr75
	s_set_inst_prefetch_distance 0x1
	s_branch .LBB27_51
	.p2align	6
.LBB27_50:                              ;   in Loop: Header=BB27_51 Depth=4
	s_or_b32 exec_lo, exec_lo, s77
	s_delay_alu instid0(SALU_CYCLE_1) | instskip(NEXT) | instid1(SALU_CYCLE_1)
	s_and_b32 s77, exec_lo, s76
	s_or_b32 s73, s77, s73
	s_and_not1_b32 s74, s74, exec_lo
	s_and_b32 s77, s75, exec_lo
	s_delay_alu instid0(SALU_CYCLE_1)
	s_or_b32 s74, s74, s77
	s_and_not1_b32 exec_lo, exec_lo, s73
	s_cbranch_execz .LBB27_53
.LBB27_51:                              ;   Parent Loop BB27_3 Depth=1
                                        ;     Parent Loop BB27_7 Depth=2
                                        ;       Parent Loop BB27_12 Depth=3
                                        ; =>      This Inner Loop Header: Depth=4
	s_delay_alu instid0(VALU_DEP_1) | instskip(SKIP_3) | instid1(VALU_DEP_1)
	v_add_nc_u32_e32 v21, v10, v9
	s_or_b32 s75, s75, exec_lo
	s_or_b32 s76, s76, exec_lo
	s_mov_b32 s77, exec_lo
	v_ashrrev_i32_e32 v22, 31, v21
	s_delay_alu instid0(VALU_DEP_1) | instskip(NEXT) | instid1(VALU_DEP_1)
	v_lshlrev_b64 v[23:24], 2, v[21:22]
	v_add_co_u32 v23, vcc_lo, s24, v23
	s_delay_alu instid0(VALU_DEP_2) | instskip(SKIP_3) | instid1(VALU_DEP_1)
	v_add_co_ci_u32_e32 v24, vcc_lo, s25, v24, vcc_lo
	global_load_b32 v23, v[23:24], off
	s_waitcnt vmcnt(0)
	v_subrev_nc_u32_e32 v23, s60, v23
	v_cmpx_ne_u32_e64 v23, v11
	s_cbranch_execz .LBB27_50
; %bb.52:                               ;   in Loop: Header=BB27_51 Depth=4
	v_add_nc_u32_e32 v9, 1, v9
	s_and_not1_b32 s76, s76, exec_lo
	s_and_not1_b32 s75, s75, exec_lo
	s_delay_alu instid0(VALU_DEP_1) | instskip(SKIP_1) | instid1(SALU_CYCLE_1)
	v_cmp_ge_i32_e32 vcc_lo, v9, v35
	s_and_b32 s78, vcc_lo, exec_lo
	s_or_b32 s76, s76, s78
	s_branch .LBB27_50
.LBB27_53:                              ;   in Loop: Header=BB27_12 Depth=3
	s_set_inst_prefetch_distance 0x2
	s_or_b32 exec_lo, exec_lo, s73
	s_and_saveexec_b32 s73, s74
	s_delay_alu instid0(SALU_CYCLE_1)
	s_xor_b32 s73, exec_lo, s73
	s_cbranch_execz .LBB27_58
; %bb.54:                               ;   in Loop: Header=BB27_12 Depth=3
	v_lshlrev_b64 v[21:22], 3, v[21:22]
	s_delay_alu instid0(VALU_DEP_1) | instskip(NEXT) | instid1(VALU_DEP_2)
	v_add_co_u32 v23, vcc_lo, s34, v21
	v_add_co_ci_u32_e32 v24, vcc_lo, s35, v22, vcc_lo
	s_and_not1_b32 vcc_lo, exec_lo, s54
	global_store_b64 v[23:24], v[19:20], off
	s_cbranch_vccnz .LBB27_58
; %bb.55:                               ;   in Loop: Header=BB27_12 Depth=3
	v_add_co_u32 v21, vcc_lo, s26, v21
	v_add_co_ci_u32_e32 v22, vcc_lo, s27, v22, vcc_lo
	global_load_b64 v[21:22], v[21:22], off
	s_waitcnt vmcnt(0)
	v_add_f64 v[19:20], v[21:22], -v[19:20]
	s_delay_alu instid0(VALU_DEP_1) | instskip(NEXT) | instid1(VALU_DEP_1)
	v_cmp_class_f64_e64 s75, v[19:20], 0x1f8
	s_and_saveexec_b32 s74, s75
; %bb.56:                               ;   in Loop: Header=BB27_12 Depth=3
	v_cmp_lt_f64_e64 vcc_lo, v[3:4], |v[19:20]|
	v_and_b32_e32 v9, 0x7fffffff, v20
	s_delay_alu instid0(VALU_DEP_1)
	v_dual_cndmask_b32 v4, v4, v9 :: v_dual_cndmask_b32 v3, v3, v19
; %bb.57:                               ;   in Loop: Header=BB27_12 Depth=3
	s_or_b32 exec_lo, exec_lo, s74
.LBB27_58:                              ;   in Loop: Header=BB27_12 Depth=3
	s_delay_alu instid0(SALU_CYCLE_1)
	s_or_b32 exec_lo, exec_lo, s73
.LBB27_59:                              ;   in Loop: Header=BB27_12 Depth=3
	s_delay_alu instid0(SALU_CYCLE_1)
	s_or_b32 exec_lo, exec_lo, s72
.LBB27_60:                              ;   in Loop: Header=BB27_12 Depth=3
	s_delay_alu instid0(SALU_CYCLE_1) | instskip(NEXT) | instid1(SALU_CYCLE_1)
	s_or_b32 exec_lo, exec_lo, s8
	s_or_b32 exec_lo, exec_lo, s71
	s_and_b32 s70, s70, s33
	s_delay_alu instid0(SALU_CYCLE_1)
	s_and_saveexec_b32 s8, s70
	s_cbranch_execz .LBB27_11
.LBB27_61:                              ;   in Loop: Header=BB27_12 Depth=3
	s_mov_b32 s70, exec_lo
	v_cmpx_ge_i32_e64 v18, v40
	s_xor_b32 s70, exec_lo, s70
	s_cbranch_execnz .LBB27_67
; %bb.62:                               ;   in Loop: Header=BB27_12 Depth=3
	s_and_not1_saveexec_b32 s70, s70
	s_cbranch_execnz .LBB27_76
.LBB27_63:                              ;   in Loop: Header=BB27_12 Depth=3
	s_or_b32 exec_lo, exec_lo, s70
	s_delay_alu instid0(SALU_CYCLE_1)
	s_mov_b32 s70, exec_lo
	v_cmpx_eq_u32_e64 v7, v11
	s_cbranch_execz .LBB27_65
.LBB27_64:                              ;   in Loop: Header=BB27_12 Depth=3
	v_lshlrev_b64 v[11:12], 3, v[11:12]
	s_delay_alu instid0(VALU_DEP_1) | instskip(NEXT) | instid1(VALU_DEP_2)
	v_add_co_u32 v11, vcc_lo, s48, v11
	v_add_co_ci_u32_e32 v12, vcc_lo, s49, v12, vcc_lo
	global_load_b64 v[11:12], v[11:12], off
	s_waitcnt vmcnt(0)
	v_add_f64 v[13:14], v[13:14], v[11:12]
.LBB27_65:                              ;   in Loop: Header=BB27_12 Depth=3
	s_or_b32 exec_lo, exec_lo, s70
	s_delay_alu instid0(VALU_DEP_1) | instskip(NEXT) | instid1(VALU_DEP_1)
	v_add_f64 v[11:12], v[15:16], -v[13:14]
	v_cmp_class_f64_e64 s71, v[11:12], 0x1f8
	s_delay_alu instid0(VALU_DEP_1)
	s_and_saveexec_b32 s70, s71
	s_cbranch_execz .LBB27_10
; %bb.66:                               ;   in Loop: Header=BB27_12 Depth=3
	v_cmp_lt_f64_e64 vcc_lo, v[1:2], |v[11:12]|
	v_and_b32_e32 v5, 0x7fffffff, v12
	s_delay_alu instid0(VALU_DEP_1)
	v_dual_cndmask_b32 v2, v2, v5 :: v_dual_cndmask_b32 v1, v1, v11
	s_branch .LBB27_10
.LBB27_67:                              ;   in Loop: Header=BB27_12 Depth=3
	s_mov_b32 s71, exec_lo
	v_cmpx_lt_i32_e64 v5, v35
	s_cbranch_execz .LBB27_75
; %bb.68:                               ;   in Loop: Header=BB27_12 Depth=3
	s_mov_b32 s72, 0
                                        ; implicit-def: $sgpr73
                                        ; implicit-def: $sgpr75
                                        ; implicit-def: $sgpr74
	s_set_inst_prefetch_distance 0x1
	s_branch .LBB27_70
	.p2align	6
.LBB27_69:                              ;   in Loop: Header=BB27_70 Depth=4
	s_or_b32 exec_lo, exec_lo, s76
	s_delay_alu instid0(SALU_CYCLE_1) | instskip(NEXT) | instid1(SALU_CYCLE_1)
	s_and_b32 s76, exec_lo, s75
	s_or_b32 s72, s76, s72
	s_and_not1_b32 s73, s73, exec_lo
	s_and_b32 s76, s74, exec_lo
	s_delay_alu instid0(SALU_CYCLE_1)
	s_or_b32 s73, s73, s76
	s_and_not1_b32 exec_lo, exec_lo, s72
	s_cbranch_execz .LBB27_72
.LBB27_70:                              ;   Parent Loop BB27_3 Depth=1
                                        ;     Parent Loop BB27_7 Depth=2
                                        ;       Parent Loop BB27_12 Depth=3
                                        ; =>      This Inner Loop Header: Depth=4
	v_add_nc_u32_e32 v17, v10, v5
	s_or_b32 s74, s74, exec_lo
	s_or_b32 s75, s75, exec_lo
	s_mov_b32 s76, exec_lo
	s_delay_alu instid0(VALU_DEP_1) | instskip(NEXT) | instid1(VALU_DEP_1)
	v_ashrrev_i32_e32 v18, 31, v17
	v_lshlrev_b64 v[19:20], 2, v[17:18]
	s_delay_alu instid0(VALU_DEP_1) | instskip(NEXT) | instid1(VALU_DEP_2)
	v_add_co_u32 v19, vcc_lo, s24, v19
	v_add_co_ci_u32_e32 v20, vcc_lo, s25, v20, vcc_lo
	global_load_b32 v9, v[19:20], off
	s_waitcnt vmcnt(0)
	v_subrev_nc_u32_e32 v9, s60, v9
	s_delay_alu instid0(VALU_DEP_1)
	v_cmpx_ne_u32_e64 v9, v11
	s_cbranch_execz .LBB27_69
; %bb.71:                               ;   in Loop: Header=BB27_70 Depth=4
	v_add_nc_u32_e32 v5, 1, v5
	s_and_not1_b32 s75, s75, exec_lo
	s_and_not1_b32 s74, s74, exec_lo
	s_delay_alu instid0(VALU_DEP_1) | instskip(SKIP_1) | instid1(SALU_CYCLE_1)
	v_cmp_ge_i32_e32 vcc_lo, v5, v35
	s_and_b32 s77, vcc_lo, exec_lo
	s_or_b32 s75, s75, s77
	s_branch .LBB27_69
.LBB27_72:                              ;   in Loop: Header=BB27_12 Depth=3
	s_set_inst_prefetch_distance 0x2
	s_or_b32 exec_lo, exec_lo, s72
	s_and_saveexec_b32 s72, s73
	s_delay_alu instid0(SALU_CYCLE_1)
	s_xor_b32 s72, exec_lo, s72
	s_cbranch_execz .LBB27_74
; %bb.73:                               ;   in Loop: Header=BB27_12 Depth=3
	v_lshlrev_b64 v[17:18], 3, v[17:18]
	v_lshlrev_b64 v[19:20], 3, v[11:12]
	s_delay_alu instid0(VALU_DEP_2) | instskip(NEXT) | instid1(VALU_DEP_3)
	v_add_co_u32 v17, vcc_lo, s26, v17
	v_add_co_ci_u32_e32 v18, vcc_lo, s27, v18, vcc_lo
	s_delay_alu instid0(VALU_DEP_3) | instskip(NEXT) | instid1(VALU_DEP_4)
	v_add_co_u32 v19, vcc_lo, s48, v19
	v_add_co_ci_u32_e32 v20, vcc_lo, s49, v20, vcc_lo
	global_load_b64 v[17:18], v[17:18], off
	global_load_b64 v[19:20], v[19:20], off
	s_waitcnt vmcnt(0)
	v_fma_f64 v[13:14], v[17:18], v[19:20], v[13:14]
.LBB27_74:                              ;   in Loop: Header=BB27_12 Depth=3
	s_or_b32 exec_lo, exec_lo, s72
.LBB27_75:                              ;   in Loop: Header=BB27_12 Depth=3
	s_delay_alu instid0(SALU_CYCLE_1)
	s_or_b32 exec_lo, exec_lo, s71
                                        ; implicit-def: $vgpr18
                                        ; implicit-def: $vgpr17
                                        ; implicit-def: $vgpr40
	s_and_not1_saveexec_b32 s70, s70
	s_cbranch_execz .LBB27_63
.LBB27_76:                              ;   in Loop: Header=BB27_12 Depth=3
	s_mov_b32 s71, 0
                                        ; implicit-def: $sgpr72
                                        ; implicit-def: $sgpr74
                                        ; implicit-def: $sgpr73
	s_set_inst_prefetch_distance 0x1
	s_branch .LBB27_78
	.p2align	6
.LBB27_77:                              ;   in Loop: Header=BB27_78 Depth=4
	s_or_b32 exec_lo, exec_lo, s75
	s_delay_alu instid0(SALU_CYCLE_1) | instskip(NEXT) | instid1(SALU_CYCLE_1)
	s_and_b32 s75, exec_lo, s74
	s_or_b32 s71, s75, s71
	s_and_not1_b32 s72, s72, exec_lo
	s_and_b32 s75, s73, exec_lo
	s_delay_alu instid0(SALU_CYCLE_1)
	s_or_b32 s72, s72, s75
	s_and_not1_b32 exec_lo, exec_lo, s71
	s_cbranch_execz .LBB27_80
.LBB27_78:                              ;   Parent Loop BB27_3 Depth=1
                                        ;     Parent Loop BB27_7 Depth=2
                                        ;       Parent Loop BB27_12 Depth=3
                                        ; =>      This Inner Loop Header: Depth=4
	v_add_nc_u32_e32 v19, v17, v18
	s_or_b32 s73, s73, exec_lo
	s_or_b32 s74, s74, exec_lo
	s_mov_b32 s75, exec_lo
	s_delay_alu instid0(VALU_DEP_1) | instskip(NEXT) | instid1(VALU_DEP_1)
	v_ashrrev_i32_e32 v20, 31, v19
	v_lshlrev_b64 v[21:22], 2, v[19:20]
	s_delay_alu instid0(VALU_DEP_1) | instskip(NEXT) | instid1(VALU_DEP_2)
	v_add_co_u32 v21, vcc_lo, s16, v21
	v_add_co_ci_u32_e32 v22, vcc_lo, s17, v22, vcc_lo
	global_load_b32 v5, v[21:22], off
	s_waitcnt vmcnt(0)
	v_subrev_nc_u32_e32 v5, s61, v5
	s_delay_alu instid0(VALU_DEP_1)
	v_cmpx_ne_u32_e64 v5, v7
	s_cbranch_execz .LBB27_77
; %bb.79:                               ;   in Loop: Header=BB27_78 Depth=4
	v_add_nc_u32_e32 v18, 1, v18
	s_and_not1_b32 s74, s74, exec_lo
	s_and_not1_b32 s73, s73, exec_lo
	s_delay_alu instid0(VALU_DEP_1) | instskip(SKIP_1) | instid1(SALU_CYCLE_1)
	v_cmp_ge_i32_e32 vcc_lo, v18, v40
	s_and_b32 s76, vcc_lo, exec_lo
	s_or_b32 s74, s74, s76
	s_branch .LBB27_77
.LBB27_80:                              ;   in Loop: Header=BB27_12 Depth=3
	s_set_inst_prefetch_distance 0x2
	s_or_b32 exec_lo, exec_lo, s71
	s_and_saveexec_b32 s71, s72
	s_delay_alu instid0(SALU_CYCLE_1)
	s_xor_b32 s71, exec_lo, s71
	s_cbranch_execz .LBB27_82
; %bb.81:                               ;   in Loop: Header=BB27_12 Depth=3
	v_lshlrev_b64 v[17:18], 3, v[19:20]
	s_delay_alu instid0(VALU_DEP_1) | instskip(NEXT) | instid1(VALU_DEP_2)
	v_add_co_u32 v17, vcc_lo, s18, v17
	v_add_co_ci_u32_e32 v18, vcc_lo, s19, v18, vcc_lo
	global_load_b64 v[17:18], v[17:18], off
	s_waitcnt vmcnt(0)
	v_add_f64 v[13:14], v[13:14], v[17:18]
.LBB27_82:                              ;   in Loop: Header=BB27_12 Depth=3
	s_or_b32 exec_lo, exec_lo, s71
	s_delay_alu instid0(SALU_CYCLE_1) | instskip(NEXT) | instid1(SALU_CYCLE_1)
	s_or_b32 exec_lo, exec_lo, s70
	s_mov_b32 s70, exec_lo
	v_cmpx_eq_u32_e64 v7, v11
	s_cbranch_execnz .LBB27_64
	s_branch .LBB27_65
.LBB27_83:                              ;   in Loop: Header=BB27_3 Depth=1
	v_or_b32_e32 v13, 32, v27
	v_xor_b32_e32 v12, 16, v27
	v_xor_b32_e32 v11, 8, v27
	;; [unrolled: 1-line block ×5, first 2 shown]
	s_and_b32 vcc_lo, exec_lo, s54
	s_cbranch_vccnz .LBB27_86
; %bb.84:                               ;   in Loop: Header=BB27_3 Depth=1
	s_and_not1_b32 vcc_lo, exec_lo, s33
	s_cbranch_vccz .LBB27_97
.LBB27_85:                              ;   in Loop: Header=BB27_3 Depth=1
	s_and_saveexec_b32 s8, s5
	s_cbranch_execnz .LBB27_108
	s_branch .LBB27_119
.LBB27_86:                              ;   in Loop: Header=BB27_3 Depth=1
	v_cmp_gt_i32_e32 vcc_lo, 32, v13
	v_cmp_gt_i32_e64 s7, 32, v12
	s_delay_alu instid0(VALU_DEP_1) | instskip(SKIP_2) | instid1(VALU_DEP_3)
	v_cndmask_b32_e64 v14, v27, v12, s7
	v_cndmask_b32_e32 v7, v27, v13, vcc_lo
	v_cmp_gt_i32_e64 s7, 32, v11
	v_lshlrev_b32_e32 v14, 2, v14
	s_delay_alu instid0(VALU_DEP_3)
	v_lshlrev_b32_e32 v8, 2, v7
	ds_bpermute_b32 v7, v8, v3
	ds_bpermute_b32 v8, v8, v4
	s_waitcnt lgkmcnt(0)
	v_cmp_lt_f64_e32 vcc_lo, v[3:4], v[7:8]
	v_dual_cndmask_b32 v4, v4, v8 :: v_dual_cndmask_b32 v3, v3, v7
	ds_bpermute_b32 v8, v14, v4
	ds_bpermute_b32 v7, v14, v3
	v_cndmask_b32_e64 v14, v27, v11, s7
	v_cmp_gt_i32_e64 s7, 32, v10
	s_waitcnt lgkmcnt(0)
	v_cmp_lt_f64_e32 vcc_lo, v[3:4], v[7:8]
	s_delay_alu instid0(VALU_DEP_3)
	v_dual_cndmask_b32 v3, v3, v7 :: v_dual_lshlrev_b32 v14, 2, v14
	ds_bpermute_b32 v7, v14, v3
	v_cndmask_b32_e32 v4, v4, v8, vcc_lo
	ds_bpermute_b32 v8, v14, v4
	v_cndmask_b32_e64 v14, v27, v10, s7
	v_cmp_gt_i32_e64 s7, 32, v9
	s_waitcnt lgkmcnt(0)
	v_cmp_lt_f64_e32 vcc_lo, v[3:4], v[7:8]
	s_delay_alu instid0(VALU_DEP_3)
	v_dual_cndmask_b32 v3, v3, v7 :: v_dual_lshlrev_b32 v14, 2, v14
	v_cndmask_b32_e32 v4, v4, v8, vcc_lo
	ds_bpermute_b32 v7, v14, v3
	ds_bpermute_b32 v8, v14, v4
	v_cndmask_b32_e64 v14, v27, v9, s7
	v_cmp_gt_i32_e64 s7, 32, v5
	s_delay_alu instid0(VALU_DEP_2)
	v_lshlrev_b32_e32 v14, 2, v14
	s_waitcnt lgkmcnt(0)
	v_cmp_lt_f64_e32 vcc_lo, v[3:4], v[7:8]
	v_dual_cndmask_b32 v4, v4, v8 :: v_dual_cndmask_b32 v3, v3, v7
	ds_bpermute_b32 v8, v14, v4
	ds_bpermute_b32 v7, v14, v3
	v_cndmask_b32_e64 v14, v27, v5, s7
	s_delay_alu instid0(VALU_DEP_1)
	v_lshlrev_b32_e32 v14, 2, v14
	s_waitcnt lgkmcnt(0)
	v_cmp_lt_f64_e32 vcc_lo, v[3:4], v[7:8]
	v_dual_cndmask_b32 v3, v3, v7 :: v_dual_cndmask_b32 v4, v4, v8
	ds_bpermute_b32 v7, v14, v3
	ds_bpermute_b32 v8, v14, v4
	s_and_saveexec_b32 s7, s0
	s_cbranch_execz .LBB27_88
; %bb.87:                               ;   in Loop: Header=BB27_3 Depth=1
	s_waitcnt lgkmcnt(0)
	v_cmp_lt_f64_e32 vcc_lo, v[3:4], v[7:8]
	v_dual_cndmask_b32 v4, v4, v8 :: v_dual_cndmask_b32 v3, v3, v7
	ds_store_b64 v30, v[3:4]
.LBB27_88:                              ;   in Loop: Header=BB27_3 Depth=1
	s_or_b32 exec_lo, exec_lo, s7
	s_waitcnt lgkmcnt(0)
	s_waitcnt_vscnt null, 0x0
	s_barrier
	buffer_gl0_inv
	s_and_saveexec_b32 s7, s1
	s_cbranch_execz .LBB27_90
; %bb.89:                               ;   in Loop: Header=BB27_3 Depth=1
	ds_load_2addr_b64 v[14:17], v28 offset1:8
	s_waitcnt lgkmcnt(0)
	v_cmp_lt_f64_e32 vcc_lo, v[14:15], v[16:17]
	v_dual_cndmask_b32 v4, v15, v17 :: v_dual_cndmask_b32 v3, v14, v16
	ds_store_b64 v28, v[3:4]
.LBB27_90:                              ;   in Loop: Header=BB27_3 Depth=1
	s_or_b32 exec_lo, exec_lo, s7
	s_waitcnt lgkmcnt(0)
	s_barrier
	buffer_gl0_inv
	s_and_saveexec_b32 s7, s2
	s_cbranch_execz .LBB27_92
; %bb.91:                               ;   in Loop: Header=BB27_3 Depth=1
	ds_load_2addr_b64 v[14:17], v28 offset1:4
	s_waitcnt lgkmcnt(0)
	v_cmp_lt_f64_e32 vcc_lo, v[14:15], v[16:17]
	v_dual_cndmask_b32 v4, v15, v17 :: v_dual_cndmask_b32 v3, v14, v16
	ds_store_b64 v28, v[3:4]
.LBB27_92:                              ;   in Loop: Header=BB27_3 Depth=1
	s_or_b32 exec_lo, exec_lo, s7
	s_waitcnt lgkmcnt(0)
	;; [unrolled: 13-line block ×3, first 2 shown]
	s_barrier
	buffer_gl0_inv
	s_and_saveexec_b32 s7, s4
	s_cbranch_execz .LBB27_96
; %bb.95:                               ;   in Loop: Header=BB27_3 Depth=1
	ds_load_b128 v[14:17], v6
	s_waitcnt lgkmcnt(0)
	v_cmp_lt_f64_e32 vcc_lo, v[14:15], v[16:17]
	v_dual_cndmask_b32 v4, v15, v17 :: v_dual_cndmask_b32 v3, v14, v16
	ds_store_b64 v6, v[3:4]
.LBB27_96:                              ;   in Loop: Header=BB27_3 Depth=1
	s_or_b32 exec_lo, exec_lo, s7
	s_waitcnt lgkmcnt(0)
	s_barrier
	buffer_gl0_inv
	ds_load_b64 v[3:4], v6
	s_load_b64 s[66:67], s[52:53], 0x0
	s_waitcnt lgkmcnt(0)
	v_div_scale_f64 v[7:8], null, s[66:67], s[66:67], v[3:4]
	s_delay_alu instid0(VALU_DEP_1) | instskip(SKIP_2) | instid1(VALU_DEP_1)
	v_rcp_f64_e32 v[14:15], v[7:8]
	s_waitcnt_depctr 0xfff
	v_fma_f64 v[16:17], -v[7:8], v[14:15], 1.0
	v_fma_f64 v[14:15], v[14:15], v[16:17], v[14:15]
	s_delay_alu instid0(VALU_DEP_1) | instskip(NEXT) | instid1(VALU_DEP_1)
	v_fma_f64 v[16:17], -v[7:8], v[14:15], 1.0
	v_fma_f64 v[14:15], v[14:15], v[16:17], v[14:15]
	v_div_scale_f64 v[16:17], vcc_lo, v[3:4], s[66:67], v[3:4]
	s_delay_alu instid0(VALU_DEP_1) | instskip(NEXT) | instid1(VALU_DEP_1)
	v_mul_f64 v[18:19], v[16:17], v[14:15]
	v_fma_f64 v[7:8], -v[7:8], v[18:19], v[16:17]
	s_delay_alu instid0(VALU_DEP_1) | instskip(NEXT) | instid1(VALU_DEP_1)
	v_div_fmas_f64 v[7:8], v[7:8], v[14:15], v[18:19]
	v_div_fixup_f64 v[3:4], v[7:8], s[66:67], v[3:4]
	s_and_not1_b32 vcc_lo, exec_lo, s33
	s_cbranch_vccnz .LBB27_85
.LBB27_97:                              ;   in Loop: Header=BB27_3 Depth=1
	v_cmp_gt_i32_e32 vcc_lo, 32, v13
	v_cmp_gt_i32_e64 s7, 32, v12
	s_delay_alu instid0(VALU_DEP_1) | instskip(SKIP_2) | instid1(VALU_DEP_3)
	v_cndmask_b32_e64 v12, v27, v12, s7
	v_cndmask_b32_e32 v7, v27, v13, vcc_lo
	v_cmp_gt_i32_e64 s7, 32, v11
	v_lshlrev_b32_e32 v12, 2, v12
	s_delay_alu instid0(VALU_DEP_3) | instskip(NEXT) | instid1(VALU_DEP_3)
	v_lshlrev_b32_e32 v8, 2, v7
	v_cndmask_b32_e64 v11, v27, v11, s7
	v_cmp_gt_i32_e64 s7, 32, v10
	ds_bpermute_b32 v7, v8, v1
	ds_bpermute_b32 v8, v8, v2
	v_cndmask_b32_e64 v10, v27, v10, s7
	v_cmp_gt_i32_e64 s7, 32, v9
	s_delay_alu instid0(VALU_DEP_2) | instskip(NEXT) | instid1(VALU_DEP_2)
	v_lshlrev_b32_e32 v10, 2, v10
	v_cndmask_b32_e64 v9, v27, v9, s7
	v_cmp_gt_i32_e64 s7, 32, v5
	s_delay_alu instid0(VALU_DEP_1) | instskip(NEXT) | instid1(VALU_DEP_1)
	v_cndmask_b32_e64 v5, v27, v5, s7
	v_lshlrev_b32_e32 v5, 2, v5
	s_waitcnt lgkmcnt(0)
	v_cmp_lt_f64_e32 vcc_lo, v[1:2], v[7:8]
	v_dual_cndmask_b32 v2, v2, v8 :: v_dual_cndmask_b32 v1, v1, v7
	ds_bpermute_b32 v8, v12, v2
	ds_bpermute_b32 v7, v12, v1
	s_waitcnt lgkmcnt(0)
	v_cmp_lt_f64_e32 vcc_lo, v[1:2], v[7:8]
	v_dual_cndmask_b32 v2, v2, v8 :: v_dual_lshlrev_b32 v11, 2, v11
	v_cndmask_b32_e32 v1, v1, v7, vcc_lo
	ds_bpermute_b32 v8, v11, v2
	ds_bpermute_b32 v7, v11, v1
	s_waitcnt lgkmcnt(0)
	v_cmp_lt_f64_e32 vcc_lo, v[1:2], v[7:8]
	v_dual_cndmask_b32 v2, v2, v8 :: v_dual_cndmask_b32 v1, v1, v7
	ds_bpermute_b32 v8, v10, v2
	ds_bpermute_b32 v7, v10, v1
	s_waitcnt lgkmcnt(0)
	v_cmp_lt_f64_e32 vcc_lo, v[1:2], v[7:8]
	v_dual_cndmask_b32 v2, v2, v8 :: v_dual_lshlrev_b32 v9, 2, v9
	ds_bpermute_b32 v8, v9, v2
	v_cndmask_b32_e32 v1, v1, v7, vcc_lo
	ds_bpermute_b32 v7, v9, v1
	s_waitcnt lgkmcnt(0)
	v_cmp_lt_f64_e32 vcc_lo, v[1:2], v[7:8]
	v_dual_cndmask_b32 v2, v2, v8 :: v_dual_cndmask_b32 v1, v1, v7
	ds_bpermute_b32 v8, v5, v2
	ds_bpermute_b32 v7, v5, v1
	s_and_saveexec_b32 s7, s0
	s_cbranch_execz .LBB27_99
; %bb.98:                               ;   in Loop: Header=BB27_3 Depth=1
	s_waitcnt lgkmcnt(0)
	v_cmp_lt_f64_e32 vcc_lo, v[1:2], v[7:8]
	v_dual_cndmask_b32 v2, v2, v8 :: v_dual_cndmask_b32 v1, v1, v7
	ds_store_b64 v30, v[1:2]
.LBB27_99:                              ;   in Loop: Header=BB27_3 Depth=1
	s_or_b32 exec_lo, exec_lo, s7
	s_waitcnt lgkmcnt(0)
	s_waitcnt_vscnt null, 0x0
	s_barrier
	buffer_gl0_inv
	s_and_saveexec_b32 s7, s1
	s_cbranch_execz .LBB27_101
; %bb.100:                              ;   in Loop: Header=BB27_3 Depth=1
	ds_load_2addr_b64 v[7:10], v28 offset1:8
	s_waitcnt lgkmcnt(0)
	v_cmp_lt_f64_e32 vcc_lo, v[7:8], v[9:10]
	v_dual_cndmask_b32 v2, v8, v10 :: v_dual_cndmask_b32 v1, v7, v9
	ds_store_b64 v28, v[1:2]
.LBB27_101:                             ;   in Loop: Header=BB27_3 Depth=1
	s_or_b32 exec_lo, exec_lo, s7
	s_waitcnt lgkmcnt(0)
	s_barrier
	buffer_gl0_inv
	s_and_saveexec_b32 s7, s2
	s_cbranch_execz .LBB27_103
; %bb.102:                              ;   in Loop: Header=BB27_3 Depth=1
	ds_load_2addr_b64 v[7:10], v28 offset1:4
	s_waitcnt lgkmcnt(0)
	v_cmp_lt_f64_e32 vcc_lo, v[7:8], v[9:10]
	v_dual_cndmask_b32 v2, v8, v10 :: v_dual_cndmask_b32 v1, v7, v9
	ds_store_b64 v28, v[1:2]
.LBB27_103:                             ;   in Loop: Header=BB27_3 Depth=1
	s_or_b32 exec_lo, exec_lo, s7
	s_waitcnt lgkmcnt(0)
	;; [unrolled: 13-line block ×3, first 2 shown]
	s_barrier
	buffer_gl0_inv
	s_and_saveexec_b32 s7, s4
	s_cbranch_execz .LBB27_107
; %bb.106:                              ;   in Loop: Header=BB27_3 Depth=1
	ds_load_b128 v[7:10], v6
	s_waitcnt lgkmcnt(0)
	v_cmp_lt_f64_e32 vcc_lo, v[7:8], v[9:10]
	v_dual_cndmask_b32 v2, v8, v10 :: v_dual_cndmask_b32 v1, v7, v9
	ds_store_b64 v6, v[1:2]
.LBB27_107:                             ;   in Loop: Header=BB27_3 Depth=1
	s_or_b32 exec_lo, exec_lo, s7
	s_waitcnt lgkmcnt(0)
	s_barrier
	buffer_gl0_inv
	ds_load_b64 v[1:2], v6
	s_load_b64 s[66:67], s[52:53], 0x0
	s_waitcnt lgkmcnt(0)
	v_div_scale_f64 v[7:8], null, s[66:67], s[66:67], v[1:2]
	s_delay_alu instid0(VALU_DEP_1) | instskip(SKIP_2) | instid1(VALU_DEP_1)
	v_rcp_f64_e32 v[9:10], v[7:8]
	s_waitcnt_depctr 0xfff
	v_fma_f64 v[11:12], -v[7:8], v[9:10], 1.0
	v_fma_f64 v[9:10], v[9:10], v[11:12], v[9:10]
	s_delay_alu instid0(VALU_DEP_1) | instskip(NEXT) | instid1(VALU_DEP_1)
	v_fma_f64 v[11:12], -v[7:8], v[9:10], 1.0
	v_fma_f64 v[9:10], v[9:10], v[11:12], v[9:10]
	v_div_scale_f64 v[11:12], vcc_lo, v[1:2], s[66:67], v[1:2]
	s_delay_alu instid0(VALU_DEP_1) | instskip(NEXT) | instid1(VALU_DEP_1)
	v_mul_f64 v[13:14], v[11:12], v[9:10]
	v_fma_f64 v[7:8], -v[7:8], v[13:14], v[11:12]
	s_delay_alu instid0(VALU_DEP_1) | instskip(NEXT) | instid1(VALU_DEP_1)
	v_div_fmas_f64 v[7:8], v[7:8], v[9:10], v[13:14]
	v_div_fixup_f64 v[1:2], v[7:8], s[66:67], v[1:2]
	s_and_saveexec_b32 s8, s5
	s_cbranch_execz .LBB27_119
.LBB27_108:                             ;   in Loop: Header=BB27_3 Depth=1
	v_mov_b32_e32 v7, v29
	s_mov_b32 s66, 0
	s_branch .LBB27_110
.LBB27_109:                             ;   in Loop: Header=BB27_110 Depth=2
	s_or_b32 exec_lo, exec_lo, s67
	v_add_nc_u32_e32 v7, 16, v7
	s_delay_alu instid0(VALU_DEP_1) | instskip(SKIP_1) | instid1(SALU_CYCLE_1)
	v_cmp_le_u32_e32 vcc_lo, s62, v7
	s_or_b32 s66, vcc_lo, s66
	s_and_not1_b32 exec_lo, exec_lo, s66
	s_cbranch_execz .LBB27_119
.LBB27_110:                             ;   Parent Loop BB27_3 Depth=1
                                        ; =>  This Loop Header: Depth=2
                                        ;       Child Loop BB27_113 Depth 3
                                        ;       Child Loop BB27_116 Depth 3
	s_mov_b32 s67, exec_lo
	s_delay_alu instid0(VALU_DEP_1)
	v_cmpx_gt_i32_e64 s55, v7
	s_cbranch_execz .LBB27_109
; %bb.111:                              ;   in Loop: Header=BB27_110 Depth=2
	v_ashrrev_i32_e32 v8, 31, v7
	s_mov_b32 s68, exec_lo
	s_delay_alu instid0(VALU_DEP_1) | instskip(NEXT) | instid1(VALU_DEP_1)
	v_lshlrev_b64 v[9:10], 2, v[7:8]
	v_add_co_u32 v11, vcc_lo, s20, v9
	s_delay_alu instid0(VALU_DEP_2)
	v_add_co_ci_u32_e32 v12, vcc_lo, s21, v10, vcc_lo
	v_add_co_u32 v13, vcc_lo, s22, v9
	v_add_co_ci_u32_e32 v14, vcc_lo, s23, v10, vcc_lo
	global_load_b32 v5, v[11:12], off
	global_load_b32 v12, v[13:14], off
	s_waitcnt vmcnt(1)
	v_add_nc_u32_e32 v11, v32, v5
	s_waitcnt vmcnt(0)
	v_subrev_nc_u32_e32 v5, s60, v12
	s_delay_alu instid0(VALU_DEP_1)
	v_cmpx_lt_i32_e64 v11, v5
	s_cbranch_execz .LBB27_114
; %bb.112:                              ;   in Loop: Header=BB27_110 Depth=2
	v_ashrrev_i32_e32 v12, 31, v11
	s_mov_b32 s69, 0
	s_delay_alu instid0(VALU_DEP_1) | instskip(NEXT) | instid1(VALU_DEP_1)
	v_lshlrev_b64 v[14:15], 3, v[11:12]
	v_add_co_u32 v12, vcc_lo, s34, v14
	s_delay_alu instid0(VALU_DEP_2)
	v_add_co_ci_u32_e32 v13, vcc_lo, s35, v15, vcc_lo
	v_add_co_u32 v14, vcc_lo, s26, v14
	v_add_co_ci_u32_e32 v15, vcc_lo, s27, v15, vcc_lo
	.p2align	6
.LBB27_113:                             ;   Parent Loop BB27_3 Depth=1
                                        ;     Parent Loop BB27_110 Depth=2
                                        ; =>    This Inner Loop Header: Depth=3
	global_load_b64 v[16:17], v[12:13], off
	v_add_nc_u32_e32 v11, 64, v11
	v_add_co_u32 v12, vcc_lo, 0x200, v12
	v_add_co_ci_u32_e32 v13, vcc_lo, 0, v13, vcc_lo
	s_delay_alu instid0(VALU_DEP_3) | instskip(SKIP_4) | instid1(VALU_DEP_1)
	v_cmp_ge_i32_e32 vcc_lo, v11, v5
	s_or_b32 s69, vcc_lo, s69
	s_waitcnt vmcnt(0)
	global_store_b64 v[14:15], v[16:17], off
	v_add_co_u32 v14, s7, 0x200, v14
	v_add_co_ci_u32_e64 v15, s7, 0, v15, s7
	s_and_not1_b32 exec_lo, exec_lo, s69
	s_cbranch_execnz .LBB27_113
.LBB27_114:                             ;   in Loop: Header=BB27_110 Depth=2
	s_or_b32 exec_lo, exec_lo, s68
	v_add_co_u32 v11, vcc_lo, s12, v9
	v_add_co_ci_u32_e32 v12, vcc_lo, s13, v10, vcc_lo
	v_add_co_u32 v9, vcc_lo, s14, v9
	v_add_co_ci_u32_e32 v10, vcc_lo, s15, v10, vcc_lo
	s_mov_b32 s68, exec_lo
	global_load_b32 v5, v[11:12], off
	global_load_b32 v10, v[9:10], off
	s_waitcnt vmcnt(1)
	v_add_nc_u32_e32 v9, v33, v5
	s_waitcnt vmcnt(0)
	v_subrev_nc_u32_e32 v5, s61, v10
	s_delay_alu instid0(VALU_DEP_1)
	v_cmpx_lt_i32_e64 v9, v5
	s_cbranch_execz .LBB27_117
; %bb.115:                              ;   in Loop: Header=BB27_110 Depth=2
	v_ashrrev_i32_e32 v10, 31, v9
	s_mov_b32 s69, 0
	s_delay_alu instid0(VALU_DEP_1) | instskip(NEXT) | instid1(VALU_DEP_1)
	v_lshlrev_b64 v[12:13], 3, v[9:10]
	v_add_co_u32 v10, vcc_lo, s10, v12
	s_delay_alu instid0(VALU_DEP_2)
	v_add_co_ci_u32_e32 v11, vcc_lo, s11, v13, vcc_lo
	v_add_co_u32 v12, vcc_lo, s18, v12
	v_add_co_ci_u32_e32 v13, vcc_lo, s19, v13, vcc_lo
	.p2align	6
.LBB27_116:                             ;   Parent Loop BB27_3 Depth=1
                                        ;     Parent Loop BB27_110 Depth=2
                                        ; =>    This Inner Loop Header: Depth=3
	global_load_b64 v[14:15], v[10:11], off
	v_add_nc_u32_e32 v9, 64, v9
	v_add_co_u32 v10, vcc_lo, 0x200, v10
	v_add_co_ci_u32_e32 v11, vcc_lo, 0, v11, vcc_lo
	s_delay_alu instid0(VALU_DEP_3) | instskip(SKIP_4) | instid1(VALU_DEP_1)
	v_cmp_ge_i32_e32 vcc_lo, v9, v5
	s_or_b32 s69, vcc_lo, s69
	s_waitcnt vmcnt(0)
	global_store_b64 v[12:13], v[14:15], off
	v_add_co_u32 v12, s7, 0x200, v12
	v_add_co_ci_u32_e64 v13, s7, 0, v13, s7
	s_and_not1_b32 exec_lo, exec_lo, s69
	s_cbranch_execnz .LBB27_116
.LBB27_117:                             ;   in Loop: Header=BB27_110 Depth=2
	s_or_b32 exec_lo, exec_lo, s68
	s_delay_alu instid0(SALU_CYCLE_1)
	s_and_b32 exec_lo, exec_lo, s6
	s_cbranch_execz .LBB27_109
; %bb.118:                              ;   in Loop: Header=BB27_110 Depth=2
	v_lshlrev_b64 v[8:9], 3, v[7:8]
	s_delay_alu instid0(VALU_DEP_1) | instskip(NEXT) | instid1(VALU_DEP_2)
	v_add_co_u32 v10, vcc_lo, s50, v8
	v_add_co_ci_u32_e32 v11, vcc_lo, s51, v9, vcc_lo
	v_add_co_u32 v8, vcc_lo, s48, v8
	v_add_co_ci_u32_e32 v9, vcc_lo, s49, v9, vcc_lo
	global_load_b64 v[10:11], v[10:11], off
	s_waitcnt vmcnt(0)
	global_store_b64 v[8:9], v[10:11], off
	s_branch .LBB27_109
.LBB27_119:                             ;   in Loop: Header=BB27_3 Depth=1
	s_or_b32 exec_lo, exec_lo, s8
	s_mov_b32 s8, -1
	s_and_b32 vcc_lo, exec_lo, s56
	s_mov_b32 s7, -1
	s_cbranch_vccz .LBB27_129
; %bb.120:                              ;   in Loop: Header=BB27_3 Depth=1
	s_and_b32 vcc_lo, exec_lo, s64
                                        ; implicit-def: $sgpr66
	s_cbranch_vccz .LBB27_126
; %bb.121:                              ;   in Loop: Header=BB27_3 Depth=1
	s_and_b32 vcc_lo, exec_lo, s63
                                        ; implicit-def: $sgpr66
	s_cbranch_vccz .LBB27_123
; %bb.122:                              ;   in Loop: Header=BB27_3 Depth=1
	s_delay_alu instid0(VALU_DEP_1)
	v_cmp_ge_f64_e32 vcc_lo, s[46:47], v[1:2]
	s_mov_b32 s7, 0
	s_and_b32 s66, vcc_lo, exec_lo
.LBB27_123:                             ;   in Loop: Header=BB27_3 Depth=1
	s_and_not1_b32 vcc_lo, exec_lo, s7
	s_cbranch_vccnz .LBB27_125
; %bb.124:                              ;   in Loop: Header=BB27_3 Depth=1
	s_delay_alu instid0(VALU_DEP_1) | instskip(SKIP_2) | instid1(SALU_CYCLE_1)
	v_cmp_ge_f64_e32 vcc_lo, s[46:47], v[3:4]
	s_and_not1_b32 s7, s66, exec_lo
	s_and_b32 s66, vcc_lo, exec_lo
	s_or_b32 s66, s7, s66
.LBB27_125:                             ;   in Loop: Header=BB27_3 Depth=1
	s_mov_b32 s7, 0
.LBB27_126:                             ;   in Loop: Header=BB27_3 Depth=1
	s_delay_alu instid0(SALU_CYCLE_1)
	s_and_not1_b32 vcc_lo, exec_lo, s7
	s_cbranch_vccnz .LBB27_128
; %bb.127:                              ;   in Loop: Header=BB27_3 Depth=1
	s_delay_alu instid0(VALU_DEP_1) | instskip(NEXT) | instid1(VALU_DEP_2)
	v_cmp_ge_f64_e32 vcc_lo, s[46:47], v[3:4]
	v_cmp_ge_f64_e64 s7, s[46:47], v[1:2]
	s_and_not1_b32 s66, s66, exec_lo
	s_delay_alu instid0(VALU_DEP_1) | instskip(NEXT) | instid1(SALU_CYCLE_1)
	s_and_b32 s7, vcc_lo, s7
	s_and_b32 s7, s7, exec_lo
	s_delay_alu instid0(SALU_CYCLE_1)
	s_or_b32 s66, s66, s7
.LBB27_128:                             ;   in Loop: Header=BB27_3 Depth=1
	s_delay_alu instid0(SALU_CYCLE_1)
	s_xor_b32 s7, s66, -1
.LBB27_129:                             ;   in Loop: Header=BB27_3 Depth=1
	v_mov_b32_e32 v5, s65
	s_and_saveexec_b32 s66, s7
	s_cbranch_execz .LBB27_2
; %bb.130:                              ;   in Loop: Header=BB27_3 Depth=1
	s_add_i32 s65, s65, 1
	v_mov_b32_e32 v5, s9
	s_cmp_eq_u32 s65, s9
	s_cselect_b32 s7, -1, 0
	s_delay_alu instid0(SALU_CYCLE_1)
	s_or_not1_b32 s8, s7, exec_lo
	s_branch .LBB27_2
.LBB27_131:
	s_or_b32 exec_lo, exec_lo, s57
.LBB27_132:
	s_delay_alu instid0(SALU_CYCLE_1) | instskip(NEXT) | instid1(SALU_CYCLE_1)
	s_or_b32 exec_lo, exec_lo, s58
	s_and_not1_b32 vcc_lo, exec_lo, s56
	s_cbranch_vccnz .LBB27_147
; %bb.133:
	v_or_b32_e32 v6, 32, v27
	v_xor_b32_e32 v7, 16, v27
	s_mov_b32 s0, exec_lo
	s_delay_alu instid0(VALU_DEP_2) | instskip(SKIP_1) | instid1(VALU_DEP_3)
	v_cmp_gt_i32_e32 vcc_lo, 32, v6
	v_cndmask_b32_e32 v6, v27, v6, vcc_lo
	v_cmp_gt_i32_e32 vcc_lo, 32, v7
	v_cndmask_b32_e32 v7, v27, v7, vcc_lo
	s_delay_alu instid0(VALU_DEP_1) | instskip(NEXT) | instid1(VALU_DEP_4)
	v_lshlrev_b32_e32 v7, 2, v7
	v_lshlrev_b32_e32 v6, 2, v6
	ds_bpermute_b32 v6, v6, v5
	s_waitcnt lgkmcnt(0)
	v_max_i32_e32 v5, v5, v6
	ds_bpermute_b32 v6, v7, v5
	v_xor_b32_e32 v7, 8, v27
	s_delay_alu instid0(VALU_DEP_1) | instskip(SKIP_1) | instid1(VALU_DEP_1)
	v_cmp_gt_i32_e32 vcc_lo, 32, v7
	v_cndmask_b32_e32 v7, v27, v7, vcc_lo
	v_lshlrev_b32_e32 v7, 2, v7
	s_waitcnt lgkmcnt(0)
	v_max_i32_e32 v5, v5, v6
	ds_bpermute_b32 v6, v7, v5
	v_xor_b32_e32 v7, 4, v27
	s_delay_alu instid0(VALU_DEP_1) | instskip(SKIP_1) | instid1(VALU_DEP_1)
	v_cmp_gt_i32_e32 vcc_lo, 32, v7
	v_cndmask_b32_e32 v7, v27, v7, vcc_lo
	v_lshlrev_b32_e32 v7, 2, v7
	;; [unrolled: 8-line block ×3, first 2 shown]
	s_waitcnt lgkmcnt(0)
	v_max_i32_e32 v5, v5, v6
	ds_bpermute_b32 v6, v7, v5
	v_xor_b32_e32 v7, 1, v27
	s_delay_alu instid0(VALU_DEP_1) | instskip(SKIP_3) | instid1(VALU_DEP_2)
	v_cmp_gt_i32_e32 vcc_lo, 32, v7
	v_cndmask_b32_e32 v7, v27, v7, vcc_lo
	s_waitcnt lgkmcnt(0)
	v_max_i32_e32 v5, v5, v6
	v_lshlrev_b32_e32 v6, 2, v7
	ds_bpermute_b32 v6, v6, v5
	v_cmpx_eq_u32_e32 63, v26
	s_cbranch_execz .LBB27_135
; %bb.134:
	v_lshlrev_b32_e32 v7, 2, v25
	s_waitcnt lgkmcnt(0)
	v_max_i32_e32 v5, v5, v6
	ds_store_b32 v7, v5 offset:128
.LBB27_135:
	s_or_b32 exec_lo, exec_lo, s0
	v_lshlrev_b32_e32 v5, 2, v0
	s_mov_b32 s0, exec_lo
	s_waitcnt lgkmcnt(0)
	s_waitcnt_vscnt null, 0x0
	s_barrier
	buffer_gl0_inv
	v_cmpx_gt_u32_e32 8, v0
	s_cbranch_execz .LBB27_137
; %bb.136:
	ds_load_2addr_b32 v[6:7], v5 offset0:32 offset1:40
	s_waitcnt lgkmcnt(0)
	v_max_i32_e32 v6, v6, v7
	ds_store_b32 v5, v6 offset:128
.LBB27_137:
	s_or_b32 exec_lo, exec_lo, s0
	s_delay_alu instid0(SALU_CYCLE_1)
	s_mov_b32 s0, exec_lo
	s_waitcnt lgkmcnt(0)
	s_barrier
	buffer_gl0_inv
	v_cmpx_gt_u32_e32 4, v0
	s_cbranch_execz .LBB27_139
; %bb.138:
	ds_load_2addr_b32 v[6:7], v5 offset0:32 offset1:36
	s_waitcnt lgkmcnt(0)
	v_max_i32_e32 v6, v6, v7
	ds_store_b32 v5, v6 offset:128
.LBB27_139:
	s_or_b32 exec_lo, exec_lo, s0
	s_delay_alu instid0(SALU_CYCLE_1)
	s_mov_b32 s0, exec_lo
	s_waitcnt lgkmcnt(0)
	s_barrier
	buffer_gl0_inv
	v_cmpx_gt_u32_e32 2, v0
	s_cbranch_execz .LBB27_141
; %bb.140:
	ds_load_2addr_b32 v[6:7], v5 offset0:32 offset1:34
	s_waitcnt lgkmcnt(0)
	v_max_i32_e32 v6, v6, v7
	ds_store_b32 v5, v6 offset:128
.LBB27_141:
	s_or_b32 exec_lo, exec_lo, s0
	v_cmp_eq_u32_e32 vcc_lo, 0, v0
	s_waitcnt lgkmcnt(0)
	s_barrier
	buffer_gl0_inv
	s_and_saveexec_b32 s0, vcc_lo
	s_cbranch_execz .LBB27_143
; %bb.142:
	v_mov_b32_e32 v7, 0
	ds_load_b64 v[5:6], v7 offset:128
	s_waitcnt lgkmcnt(0)
	v_max_i32_e32 v5, v5, v6
	ds_store_b32 v7, v5 offset:128
.LBB27_143:
	s_or_b32 exec_lo, exec_lo, s0
	s_waitcnt lgkmcnt(0)
	s_barrier
	buffer_gl0_inv
	s_and_saveexec_b32 s0, vcc_lo
	s_cbranch_execz .LBB27_146
; %bb.144:
	v_mbcnt_lo_u32_b32 v5, exec_lo, 0
	s_delay_alu instid0(VALU_DEP_1)
	v_cmp_eq_u32_e32 vcc_lo, 0, v5
	s_and_b32 exec_lo, exec_lo, vcc_lo
	s_cbranch_execz .LBB27_146
; %bb.145:
	v_mov_b32_e32 v5, 0
	ds_load_b32 v6, v5 offset:128
	s_waitcnt lgkmcnt(0)
	v_add_nc_u32_e32 v6, 1, v6
	global_atomic_max_i32 v5, v6, s[44:45]
.LBB27_146:
	s_or_b32 exec_lo, exec_lo, s0
.LBB27_147:
	v_cmp_eq_u32_e32 vcc_lo, 0, v0
	s_mov_b32 s2, 0
	s_and_b32 s0, vcc_lo, s54
	s_delay_alu instid0(SALU_CYCLE_1)
	s_and_saveexec_b32 s4, s0
	s_cbranch_execz .LBB27_152
; %bb.148:
	v_mov_b32_e32 v0, 0
	s_delay_alu instid0(VALU_DEP_4)
	v_cmp_eq_f64_e64 s0, 0, v[3:4]
	s_brev_b32 s3, 1
                                        ; implicit-def: $sgpr5
	global_load_b64 v[5:6], v0, s[28:29] glc
	s_waitcnt vmcnt(0)
	v_cmp_eq_u64_e64 s6, s[2:3], v[5:6]
                                        ; implicit-def: $sgpr3
	s_set_inst_prefetch_distance 0x1
	s_branch .LBB27_150
	.p2align	6
.LBB27_149:                             ;   in Loop: Header=BB27_150 Depth=1
	s_or_b32 exec_lo, exec_lo, s7
	s_delay_alu instid0(SALU_CYCLE_1) | instskip(NEXT) | instid1(SALU_CYCLE_1)
	s_and_b32 s1, exec_lo, s3
	s_or_b32 s2, s1, s2
	s_and_not1_b32 s1, s6, exec_lo
	s_and_b32 s6, s5, exec_lo
	s_delay_alu instid0(SALU_CYCLE_1)
	s_or_b32 s6, s1, s6
	s_and_not1_b32 exec_lo, exec_lo, s2
	s_cbranch_execz .LBB27_152
.LBB27_150:                             ; =>This Inner Loop Header: Depth=1
	v_cmp_lt_f64_e64 s1, v[5:6], v[3:4]
	s_delay_alu instid0(VALU_DEP_2) | instskip(SKIP_2) | instid1(VALU_DEP_1)
	s_and_b32 s7, s0, s6
	s_and_not1_b32 s5, s5, exec_lo
	s_or_b32 s3, s3, exec_lo
	s_or_b32 s1, s1, s7
	s_delay_alu instid0(SALU_CYCLE_1)
	s_and_saveexec_b32 s7, s1
	s_cbranch_execz .LBB27_149
; %bb.151:                              ;   in Loop: Header=BB27_150 Depth=1
	global_atomic_cmpswap_b64 v[7:8], v0, v[3:6], s[28:29] glc
	s_and_not1_b32 s5, s5, exec_lo
	s_and_not1_b32 s3, s3, exec_lo
	s_waitcnt vmcnt(0)
	v_cmp_eq_u64_e64 s1, v[7:8], v[5:6]
	s_delay_alu instid0(VALU_DEP_1) | instskip(SKIP_2) | instid1(SALU_CYCLE_1)
	v_cndmask_b32_e64 v6, v8, v6, s1
	v_cndmask_b32_e64 v5, v7, v5, s1
	s_and_b32 s1, s1, exec_lo
	s_or_b32 s3, s3, s1
	s_delay_alu instid0(VALU_DEP_1) | instskip(SKIP_1) | instid1(VALU_DEP_2)
	v_cmp_class_f64_e64 s6, v[5:6], 32
	v_dual_mov_b32 v5, v7 :: v_dual_mov_b32 v6, v8
	s_and_b32 s6, s6, exec_lo
	s_delay_alu instid0(SALU_CYCLE_1)
	s_or_b32 s5, s5, s6
                                        ; implicit-def: $sgpr6
	s_branch .LBB27_149
.LBB27_152:
	s_set_inst_prefetch_distance 0x2
	s_or_b32 exec_lo, exec_lo, s4
	s_and_b32 s0, vcc_lo, s33
	s_delay_alu instid0(SALU_CYCLE_1)
	s_and_saveexec_b32 s1, s0
	s_cbranch_execz .LBB27_157
; %bb.153:
	v_mov_b32_e32 v0, 0
	s_delay_alu instid0(VALU_DEP_4)
	v_cmp_eq_f64_e32 vcc_lo, 0, v[1:2]
	s_brev_b32 s3, 1
	s_mov_b32 s2, 0
                                        ; implicit-def: $sgpr1
	global_load_b64 v[3:4], v0, s[30:31] glc
	s_waitcnt vmcnt(0)
	v_cmp_eq_u64_e64 s4, s[2:3], v[3:4]
                                        ; implicit-def: $sgpr3
	s_set_inst_prefetch_distance 0x1
	s_branch .LBB27_155
	.p2align	6
.LBB27_154:                             ;   in Loop: Header=BB27_155 Depth=1
	s_or_b32 exec_lo, exec_lo, s5
	s_delay_alu instid0(SALU_CYCLE_1) | instskip(NEXT) | instid1(SALU_CYCLE_1)
	s_and_b32 s0, exec_lo, s1
	s_or_b32 s2, s0, s2
	s_and_not1_b32 s0, s4, exec_lo
	s_and_b32 s4, s3, exec_lo
	s_delay_alu instid0(SALU_CYCLE_1)
	s_or_b32 s4, s0, s4
	s_and_not1_b32 exec_lo, exec_lo, s2
	s_cbranch_execz .LBB27_157
.LBB27_155:                             ; =>This Inner Loop Header: Depth=1
	v_cmp_lt_f64_e64 s0, v[3:4], v[1:2]
	s_delay_alu instid0(VALU_DEP_2) | instskip(SKIP_2) | instid1(VALU_DEP_1)
	s_and_b32 s5, vcc_lo, s4
	s_and_not1_b32 s3, s3, exec_lo
	s_or_b32 s1, s1, exec_lo
	s_or_b32 s0, s0, s5
	s_delay_alu instid0(SALU_CYCLE_1)
	s_and_saveexec_b32 s5, s0
	s_cbranch_execz .LBB27_154
; %bb.156:                              ;   in Loop: Header=BB27_155 Depth=1
	global_atomic_cmpswap_b64 v[5:6], v0, v[1:4], s[30:31] glc
	s_and_not1_b32 s3, s3, exec_lo
	s_and_not1_b32 s1, s1, exec_lo
	s_waitcnt vmcnt(0)
	v_cmp_eq_u64_e64 s0, v[5:6], v[3:4]
	s_delay_alu instid0(VALU_DEP_1) | instskip(SKIP_2) | instid1(SALU_CYCLE_1)
	v_cndmask_b32_e64 v4, v6, v4, s0
	v_cndmask_b32_e64 v3, v5, v3, s0
	s_and_b32 s0, s0, exec_lo
	s_or_b32 s1, s1, s0
	s_delay_alu instid0(VALU_DEP_1) | instskip(SKIP_1) | instid1(VALU_DEP_2)
	v_cmp_class_f64_e64 s4, v[3:4], 32
	v_dual_mov_b32 v3, v5 :: v_dual_mov_b32 v4, v6
	s_and_b32 s4, s4, exec_lo
	s_delay_alu instid0(SALU_CYCLE_1)
	s_or_b32 s3, s3, s4
                                        ; implicit-def: $sgpr4
	s_branch .LBB27_154
.LBB27_157:
	s_set_inst_prefetch_distance 0x2
	s_nop 0
	s_sendmsg sendmsg(MSG_DEALLOC_VGPRS)
	s_endpgm
	.section	.rodata,"a",@progbits
	.p2align	6, 0x0
	.amdhsa_kernel _ZN9rocsparseL6kernelILi1024ELi64EdiiEEvbbbT3_PS1_NS_15floating_traitsIT1_E6data_tES1_T2_PKS7_S9_PKS1_PKS4_21rocsparse_index_base_S9_S9_SB_PS4_SF_SE_S9_S9_SB_SF_SF_SE_SF_SF_PS6_SG_PKS6_
		.amdhsa_group_segment_fixed_size 192
		.amdhsa_private_segment_fixed_size 0
		.amdhsa_kernarg_size 208
		.amdhsa_user_sgpr_count 15
		.amdhsa_user_sgpr_dispatch_ptr 0
		.amdhsa_user_sgpr_queue_ptr 0
		.amdhsa_user_sgpr_kernarg_segment_ptr 1
		.amdhsa_user_sgpr_dispatch_id 0
		.amdhsa_user_sgpr_private_segment_size 0
		.amdhsa_wavefront_size32 1
		.amdhsa_uses_dynamic_stack 0
		.amdhsa_enable_private_segment 0
		.amdhsa_system_sgpr_workgroup_id_x 1
		.amdhsa_system_sgpr_workgroup_id_y 0
		.amdhsa_system_sgpr_workgroup_id_z 0
		.amdhsa_system_sgpr_workgroup_info 0
		.amdhsa_system_vgpr_workitem_id 0
		.amdhsa_next_free_vgpr 47
		.amdhsa_next_free_sgpr 80
		.amdhsa_reserve_vcc 1
		.amdhsa_float_round_mode_32 0
		.amdhsa_float_round_mode_16_64 0
		.amdhsa_float_denorm_mode_32 3
		.amdhsa_float_denorm_mode_16_64 3
		.amdhsa_dx10_clamp 1
		.amdhsa_ieee_mode 1
		.amdhsa_fp16_overflow 0
		.amdhsa_workgroup_processor_mode 1
		.amdhsa_memory_ordered 1
		.amdhsa_forward_progress 0
		.amdhsa_shared_vgpr_count 0
		.amdhsa_exception_fp_ieee_invalid_op 0
		.amdhsa_exception_fp_denorm_src 0
		.amdhsa_exception_fp_ieee_div_zero 0
		.amdhsa_exception_fp_ieee_overflow 0
		.amdhsa_exception_fp_ieee_underflow 0
		.amdhsa_exception_fp_ieee_inexact 0
		.amdhsa_exception_int_div_zero 0
	.end_amdhsa_kernel
	.section	.text._ZN9rocsparseL6kernelILi1024ELi64EdiiEEvbbbT3_PS1_NS_15floating_traitsIT1_E6data_tES1_T2_PKS7_S9_PKS1_PKS4_21rocsparse_index_base_S9_S9_SB_PS4_SF_SE_S9_S9_SB_SF_SF_SE_SF_SF_PS6_SG_PKS6_,"axG",@progbits,_ZN9rocsparseL6kernelILi1024ELi64EdiiEEvbbbT3_PS1_NS_15floating_traitsIT1_E6data_tES1_T2_PKS7_S9_PKS1_PKS4_21rocsparse_index_base_S9_S9_SB_PS4_SF_SE_S9_S9_SB_SF_SF_SE_SF_SF_PS6_SG_PKS6_,comdat
.Lfunc_end27:
	.size	_ZN9rocsparseL6kernelILi1024ELi64EdiiEEvbbbT3_PS1_NS_15floating_traitsIT1_E6data_tES1_T2_PKS7_S9_PKS1_PKS4_21rocsparse_index_base_S9_S9_SB_PS4_SF_SE_S9_S9_SB_SF_SF_SE_SF_SF_PS6_SG_PKS6_, .Lfunc_end27-_ZN9rocsparseL6kernelILi1024ELi64EdiiEEvbbbT3_PS1_NS_15floating_traitsIT1_E6data_tES1_T2_PKS7_S9_PKS1_PKS4_21rocsparse_index_base_S9_S9_SB_PS4_SF_SE_S9_S9_SB_SF_SF_SE_SF_SF_PS6_SG_PKS6_
                                        ; -- End function
	.section	.AMDGPU.csdata,"",@progbits
; Kernel info:
; codeLenInByte = 6644
; NumSgprs: 82
; NumVgprs: 47
; ScratchSize: 0
; MemoryBound: 1
; FloatMode: 240
; IeeeMode: 1
; LDSByteSize: 192 bytes/workgroup (compile time only)
; SGPRBlocks: 10
; VGPRBlocks: 5
; NumSGPRsForWavesPerEU: 82
; NumVGPRsForWavesPerEU: 47
; Occupancy: 16
; WaveLimiterHint : 1
; COMPUTE_PGM_RSRC2:SCRATCH_EN: 0
; COMPUTE_PGM_RSRC2:USER_SGPR: 15
; COMPUTE_PGM_RSRC2:TRAP_HANDLER: 0
; COMPUTE_PGM_RSRC2:TGID_X_EN: 1
; COMPUTE_PGM_RSRC2:TGID_Y_EN: 0
; COMPUTE_PGM_RSRC2:TGID_Z_EN: 0
; COMPUTE_PGM_RSRC2:TIDIG_COMP_CNT: 0
	.section	.text._ZN9rocsparseL14kernel_freerunILi1024ELi1E21rocsparse_complex_numIfEiiEEvT3_S3_T2_PKS4_S6_PKS3_PKT1_21rocsparse_index_base_S6_S6_S8_PS9_SD_SC_S6_S6_S8_SD_SD_SC_SD_SD_,"axG",@progbits,_ZN9rocsparseL14kernel_freerunILi1024ELi1E21rocsparse_complex_numIfEiiEEvT3_S3_T2_PKS4_S6_PKS3_PKT1_21rocsparse_index_base_S6_S6_S8_PS9_SD_SC_S6_S6_S8_SD_SD_SC_SD_SD_,comdat
	.globl	_ZN9rocsparseL14kernel_freerunILi1024ELi1E21rocsparse_complex_numIfEiiEEvT3_S3_T2_PKS4_S6_PKS3_PKT1_21rocsparse_index_base_S6_S6_S8_PS9_SD_SC_S6_S6_S8_SD_SD_SC_SD_SD_ ; -- Begin function _ZN9rocsparseL14kernel_freerunILi1024ELi1E21rocsparse_complex_numIfEiiEEvT3_S3_T2_PKS4_S6_PKS3_PKT1_21rocsparse_index_base_S6_S6_S8_PS9_SD_SC_S6_S6_S8_SD_SD_SC_SD_SD_
	.p2align	8
	.type	_ZN9rocsparseL14kernel_freerunILi1024ELi1E21rocsparse_complex_numIfEiiEEvT3_S3_T2_PKS4_S6_PKS3_PKT1_21rocsparse_index_base_S6_S6_S8_PS9_SD_SC_S6_S6_S8_SD_SD_SC_SD_SD_,@function
_ZN9rocsparseL14kernel_freerunILi1024ELi1E21rocsparse_complex_numIfEiiEEvT3_S3_T2_PKS4_S6_PKS3_PKT1_21rocsparse_index_base_S6_S6_S8_PS9_SD_SC_S6_S6_S8_SD_SD_SC_SD_SD_: ; @_ZN9rocsparseL14kernel_freerunILi1024ELi1E21rocsparse_complex_numIfEiiEEvT3_S3_T2_PKS4_S6_PKS3_PKT1_21rocsparse_index_base_S6_S6_S8_PS9_SD_SC_S6_S6_S8_SD_SD_SC_SD_SD_
; %bb.0:
	s_load_b64 s[6:7], s[0:1], 0x0
	s_lshl_b32 s39, s15, 10
	s_mov_b32 s5, 0
	v_or_b32_e32 v0, s39, v0
	s_waitcnt lgkmcnt(0)
	s_delay_alu instid0(VALU_DEP_1) | instskip(SKIP_2) | instid1(SALU_CYCLE_1)
	v_cmp_gt_i32_e32 vcc_lo, s7, v0
	s_cmp_gt_i32 s6, 0
	s_cselect_b32 s2, -1, 0
	s_and_b32 s2, vcc_lo, s2
	s_delay_alu instid0(SALU_CYCLE_1)
	s_and_saveexec_b32 s3, s2
	s_cbranch_execz .LBB28_68
; %bb.1:
	s_clause 0x1
	s_load_b256 s[8:15], s[0:1], 0x38
	s_load_b256 s[16:23], s[0:1], 0x10
	v_ashrrev_i32_e32 v1, 31, v0
	s_addk_i32 s39, 0x400
	s_delay_alu instid0(VALU_DEP_1) | instskip(SKIP_1) | instid1(VALU_DEP_1)
	v_lshlrev_b64 v[1:2], 2, v[0:1]
	s_waitcnt lgkmcnt(0)
	v_add_co_u32 v3, vcc_lo, s8, v1
	s_delay_alu instid0(VALU_DEP_2)
	v_add_co_ci_u32_e32 v4, vcc_lo, s9, v2, vcc_lo
	v_add_co_u32 v5, vcc_lo, s10, v1
	v_add_co_ci_u32_e32 v6, vcc_lo, s11, v2, vcc_lo
	global_load_b32 v7, v[3:4], off
	v_add_co_u32 v3, vcc_lo, s16, v1
	v_add_co_ci_u32_e32 v4, vcc_lo, s17, v2, vcc_lo
	v_add_co_u32 v1, vcc_lo, s18, v1
	v_add_co_ci_u32_e32 v2, vcc_lo, s19, v2, vcc_lo
	global_load_b32 v5, v[5:6], off
	global_load_b32 v6, v[3:4], off
	;; [unrolled: 1-line block ×3, first 2 shown]
	s_clause 0x6
	s_load_b32 s33, s[0:1], 0x60
	s_load_b32 s38, s[0:1], 0x30
	s_load_b64 s[34:35], s[0:1], 0x58
	s_load_b128 s[16:19], s[0:1], 0x98
	s_load_b256 s[24:31], s[0:1], 0x68
	s_load_b64 s[36:37], s[0:1], 0x88
	s_load_b32 s40, s[0:1], 0x90
	v_cmp_gt_u32_e64 s0, s39, v0
	s_waitcnt vmcnt(3) lgkmcnt(0)
	v_subrev_nc_u32_e32 v1, s33, v7
	s_delay_alu instid0(VALU_DEP_1)
	v_ashrrev_i32_e32 v2, 31, v1
	s_waitcnt vmcnt(2)
	v_sub_nc_u32_e32 v15, v5, v7
	s_waitcnt vmcnt(1)
	v_subrev_nc_u32_e32 v16, s38, v6
	v_lshlrev_b64 v[3:4], 2, v[1:2]
	s_waitcnt vmcnt(0)
	v_cmp_lt_i32_e64 s1, v6, v8
	v_lshlrev_b64 v[5:6], 3, v[1:2]
	v_subrev_nc_u32_e32 v17, s38, v8
	v_cmp_lt_i32_e64 s2, 0, v15
	v_add_co_u32 v18, vcc_lo, s12, v3
	v_add_co_ci_u32_e32 v19, vcc_lo, s13, v4, vcc_lo
	v_add_co_u32 v20, vcc_lo, s14, v5
	v_add_co_ci_u32_e32 v21, vcc_lo, s15, v6, vcc_lo
	v_mov_b32_e32 v3, 0
	s_branch .LBB28_3
.LBB28_2:                               ;   in Loop: Header=BB28_3 Depth=1
	s_or_b32 exec_lo, exec_lo, s4
	s_add_i32 s5, s5, 1
	s_delay_alu instid0(SALU_CYCLE_1)
	s_cmp_eq_u32 s5, s6
	s_cbranch_scc1 .LBB28_68
.LBB28_3:                               ; =>This Loop Header: Depth=1
                                        ;     Child Loop BB28_6 Depth 2
                                        ;       Child Loop BB28_10 Depth 3
                                        ;       Child Loop BB28_40 Depth 3
	;; [unrolled: 1-line block ×3, first 2 shown]
                                        ;     Child Loop BB28_61 Depth 2
                                        ;       Child Loop BB28_64 Depth 3
                                        ;       Child Loop BB28_67 Depth 3
	s_and_saveexec_b32 s41, s1
	s_cbranch_execz .LBB28_57
; %bb.4:                                ;   in Loop: Header=BB28_3 Depth=1
	v_mov_b32_e32 v4, v16
	s_mov_b32 s42, 0
	s_branch .LBB28_6
.LBB28_5:                               ;   in Loop: Header=BB28_6 Depth=2
	s_or_b32 exec_lo, exec_lo, s4
	v_add_nc_u32_e32 v4, 1, v4
	s_delay_alu instid0(VALU_DEP_1) | instskip(SKIP_1) | instid1(SALU_CYCLE_1)
	v_cmp_ge_i32_e32 vcc_lo, v4, v17
	s_or_b32 s42, vcc_lo, s42
	s_and_not1_b32 exec_lo, exec_lo, s42
	s_cbranch_execz .LBB28_57
.LBB28_6:                               ;   Parent Loop BB28_3 Depth=1
                                        ; =>  This Loop Header: Depth=2
                                        ;       Child Loop BB28_10 Depth 3
                                        ;       Child Loop BB28_40 Depth 3
	;; [unrolled: 1-line block ×3, first 2 shown]
	s_delay_alu instid0(VALU_DEP_1) | instskip(NEXT) | instid1(VALU_DEP_1)
	v_ashrrev_i32_e32 v5, 31, v4
	v_lshlrev_b64 v[6:7], 2, v[4:5]
	s_delay_alu instid0(VALU_DEP_1) | instskip(NEXT) | instid1(VALU_DEP_2)
	v_add_co_u32 v6, vcc_lo, s20, v6
	v_add_co_ci_u32_e32 v7, vcc_lo, s21, v7, vcc_lo
	global_load_b32 v2, v[6:7], off
	s_waitcnt vmcnt(0)
	v_subrev_nc_u32_e32 v6, s38, v2
	v_mov_b32_e32 v2, 0
	s_delay_alu instid0(VALU_DEP_2) | instskip(NEXT) | instid1(VALU_DEP_1)
	v_ashrrev_i32_e32 v7, 31, v6
	v_lshlrev_b64 v[8:9], 2, v[6:7]
	s_delay_alu instid0(VALU_DEP_1) | instskip(NEXT) | instid1(VALU_DEP_2)
	v_add_co_u32 v10, vcc_lo, s24, v8
	v_add_co_ci_u32_e32 v11, vcc_lo, s25, v9, vcc_lo
	v_add_co_u32 v8, vcc_lo, s26, v8
	v_add_co_ci_u32_e32 v9, vcc_lo, s27, v9, vcc_lo
	global_load_b32 v11, v[10:11], off
	global_load_b32 v12, v[8:9], off
	v_dual_mov_b32 v8, 0 :: v_dual_mov_b32 v9, 0
	s_waitcnt vmcnt(1)
	v_subrev_nc_u32_e32 v10, s40, v11
	s_waitcnt vmcnt(0)
	v_sub_nc_u32_e32 v22, v12, v11
	v_mov_b32_e32 v12, 0
	s_and_saveexec_b32 s4, s2
	s_cbranch_execz .LBB28_14
; %bb.7:                                ;   in Loop: Header=BB28_6 Depth=2
	v_ashrrev_i32_e32 v11, 31, v10
	v_mov_b32_e32 v12, 0
	s_mov_b32 s43, 0
                                        ; implicit-def: $sgpr44
	s_delay_alu instid0(VALU_DEP_2) | instskip(SKIP_1) | instid1(VALU_DEP_2)
	v_lshlrev_b64 v[8:9], 2, v[10:11]
	v_lshlrev_b64 v[23:24], 3, v[10:11]
	v_add_co_u32 v11, vcc_lo, s28, v8
	s_delay_alu instid0(VALU_DEP_3) | instskip(SKIP_1) | instid1(VALU_DEP_4)
	v_add_co_ci_u32_e32 v14, vcc_lo, s29, v9, vcc_lo
	v_mov_b32_e32 v9, 0
	v_add_co_u32 v23, vcc_lo, s30, v23
	v_add_co_ci_u32_e32 v24, vcc_lo, s31, v24, vcc_lo
	v_mov_b32_e32 v2, v12
	v_mov_b32_e32 v8, 0
	s_branch .LBB28_10
.LBB28_8:                               ;   in Loop: Header=BB28_10 Depth=3
	s_or_b32 exec_lo, exec_lo, s3
	v_cmp_le_i32_e32 vcc_lo, v25, v26
	v_cmp_ge_i32_e64 s3, v25, v26
	v_add_co_ci_u32_e32 v2, vcc_lo, 0, v2, vcc_lo
	s_delay_alu instid0(VALU_DEP_2) | instskip(SKIP_1) | instid1(VALU_DEP_2)
	v_add_co_ci_u32_e64 v12, s3, 0, v12, s3
	s_and_not1_b32 s3, s44, exec_lo
	v_cmp_ge_i32_e32 vcc_lo, v2, v15
	s_and_b32 s44, vcc_lo, exec_lo
	s_delay_alu instid0(SALU_CYCLE_1)
	s_or_b32 s44, s3, s44
.LBB28_9:                               ;   in Loop: Header=BB28_10 Depth=3
	s_or_b32 exec_lo, exec_lo, s45
	s_delay_alu instid0(SALU_CYCLE_1) | instskip(NEXT) | instid1(SALU_CYCLE_1)
	s_and_b32 s3, exec_lo, s44
	s_or_b32 s43, s3, s43
	s_delay_alu instid0(SALU_CYCLE_1)
	s_and_not1_b32 exec_lo, exec_lo, s43
	s_cbranch_execz .LBB28_13
.LBB28_10:                              ;   Parent Loop BB28_3 Depth=1
                                        ;     Parent Loop BB28_6 Depth=2
                                        ; =>    This Inner Loop Header: Depth=3
	s_or_b32 s44, s44, exec_lo
	s_mov_b32 s45, exec_lo
	v_cmpx_lt_i32_e64 v12, v22
	s_cbranch_execz .LBB28_9
; %bb.11:                               ;   in Loop: Header=BB28_10 Depth=3
	v_mov_b32_e32 v13, v3
	v_lshlrev_b64 v[25:26], 2, v[2:3]
	s_mov_b32 s3, exec_lo
	s_delay_alu instid0(VALU_DEP_2) | instskip(NEXT) | instid1(VALU_DEP_2)
	v_lshlrev_b64 v[27:28], 2, v[12:13]
	v_add_co_u32 v25, vcc_lo, v18, v25
	s_delay_alu instid0(VALU_DEP_3) | instskip(NEXT) | instid1(VALU_DEP_3)
	v_add_co_ci_u32_e32 v26, vcc_lo, v19, v26, vcc_lo
	v_add_co_u32 v27, vcc_lo, v11, v27
	s_delay_alu instid0(VALU_DEP_4)
	v_add_co_ci_u32_e32 v28, vcc_lo, v14, v28, vcc_lo
	global_load_b32 v25, v[25:26], off
	global_load_b32 v26, v[27:28], off
	s_waitcnt vmcnt(1)
	v_subrev_nc_u32_e32 v25, s33, v25
	s_waitcnt vmcnt(0)
	v_subrev_nc_u32_e32 v26, s40, v26
	s_delay_alu instid0(VALU_DEP_1)
	v_cmpx_eq_u32_e64 v25, v26
	s_cbranch_execz .LBB28_8
; %bb.12:                               ;   in Loop: Header=BB28_10 Depth=3
	v_lshlrev_b64 v[27:28], 3, v[2:3]
	v_lshlrev_b64 v[29:30], 3, v[12:13]
	s_delay_alu instid0(VALU_DEP_2) | instskip(NEXT) | instid1(VALU_DEP_3)
	v_add_co_u32 v27, vcc_lo, v20, v27
	v_add_co_ci_u32_e32 v28, vcc_lo, v21, v28, vcc_lo
	s_delay_alu instid0(VALU_DEP_3) | instskip(NEXT) | instid1(VALU_DEP_4)
	v_add_co_u32 v29, vcc_lo, v23, v29
	v_add_co_ci_u32_e32 v30, vcc_lo, v24, v30, vcc_lo
	global_load_b64 v[27:28], v[27:28], off
	global_load_b64 v[29:30], v[29:30], off
	s_waitcnt vmcnt(0)
	v_fmac_f32_e32 v8, v27, v29
	v_fmac_f32_e32 v9, v28, v29
	s_delay_alu instid0(VALU_DEP_2) | instskip(NEXT) | instid1(VALU_DEP_2)
	v_fma_f32 v8, -v28, v30, v8
	v_fmac_f32_e32 v9, v27, v30
	s_branch .LBB28_8
.LBB28_13:                              ;   in Loop: Header=BB28_6 Depth=2
	s_or_b32 exec_lo, exec_lo, s43
.LBB28_14:                              ;   in Loop: Header=BB28_6 Depth=2
	s_delay_alu instid0(SALU_CYCLE_1) | instskip(SKIP_3) | instid1(VALU_DEP_2)
	s_or_b32 exec_lo, exec_lo, s4
	v_lshlrev_b64 v[13:14], 3, v[4:5]
	v_cmp_le_i32_e64 s3, v0, v6
	s_mov_b32 s43, exec_lo
	v_add_co_u32 v13, vcc_lo, s22, v13
	s_delay_alu instid0(VALU_DEP_3)
	v_add_co_ci_u32_e32 v14, vcc_lo, s23, v14, vcc_lo
	global_load_b64 v[13:14], v[13:14], off
	s_waitcnt vmcnt(0)
	v_dual_sub_f32 v8, v13, v8 :: v_dual_sub_f32 v9, v14, v9
	v_cmpx_gt_i32_e64 v0, v6
	s_cbranch_execz .LBB28_24
; %bb.15:                               ;   in Loop: Header=BB28_6 Depth=2
	v_lshlrev_b64 v[13:14], 3, v[6:7]
                                        ; implicit-def: $vgpr23
	s_mov_b32 s4, exec_lo
	s_delay_alu instid0(VALU_DEP_1) | instskip(NEXT) | instid1(VALU_DEP_2)
	v_add_co_u32 v13, vcc_lo, s16, v13
	v_add_co_ci_u32_e32 v14, vcc_lo, s17, v14, vcc_lo
	global_load_b64 v[13:14], v[13:14], off
	s_waitcnt vmcnt(0)
	v_cmp_gt_f32_e32 vcc_lo, 0, v13
	v_cndmask_b32_e64 v5, v13, -v13, vcc_lo
	v_cmp_gt_f32_e32 vcc_lo, 0, v14
	v_cndmask_b32_e64 v11, v14, -v14, vcc_lo
	s_delay_alu instid0(VALU_DEP_1)
	v_cmpx_ngt_f32_e32 v5, v11
	s_xor_b32 s44, exec_lo, s4
	s_cbranch_execz .LBB28_19
; %bb.16:                               ;   in Loop: Header=BB28_6 Depth=2
	v_mov_b32_e32 v23, 0
	s_mov_b32 s45, exec_lo
	v_cmpx_neq_f32_e32 0, v14
	s_cbranch_execz .LBB28_18
; %bb.17:                               ;   in Loop: Header=BB28_6 Depth=2
	v_div_scale_f32 v23, null, v11, v11, v5
	v_div_scale_f32 v26, vcc_lo, v5, v11, v5
	s_delay_alu instid0(VALU_DEP_2) | instskip(SKIP_2) | instid1(VALU_DEP_1)
	v_rcp_f32_e32 v24, v23
	s_waitcnt_depctr 0xfff
	v_fma_f32 v25, -v23, v24, 1.0
	v_fmac_f32_e32 v24, v25, v24
	s_delay_alu instid0(VALU_DEP_1) | instskip(NEXT) | instid1(VALU_DEP_1)
	v_mul_f32_e32 v25, v26, v24
	v_fma_f32 v27, -v23, v25, v26
	s_delay_alu instid0(VALU_DEP_1) | instskip(NEXT) | instid1(VALU_DEP_1)
	v_fmac_f32_e32 v25, v27, v24
	v_fma_f32 v23, -v23, v25, v26
	s_delay_alu instid0(VALU_DEP_1) | instskip(NEXT) | instid1(VALU_DEP_1)
	v_div_fmas_f32 v23, v23, v24, v25
	v_div_fixup_f32 v5, v23, v11, v5
	s_delay_alu instid0(VALU_DEP_1) | instskip(NEXT) | instid1(VALU_DEP_1)
	v_fma_f32 v5, v5, v5, 1.0
	v_mul_f32_e32 v23, 0x4f800000, v5
	v_cmp_gt_f32_e32 vcc_lo, 0xf800000, v5
	s_delay_alu instid0(VALU_DEP_2) | instskip(NEXT) | instid1(VALU_DEP_1)
	v_cndmask_b32_e32 v5, v5, v23, vcc_lo
	v_sqrt_f32_e32 v23, v5
	s_waitcnt_depctr 0xfff
	v_add_nc_u32_e32 v24, -1, v23
	v_add_nc_u32_e32 v25, 1, v23
	s_delay_alu instid0(VALU_DEP_2) | instskip(NEXT) | instid1(VALU_DEP_2)
	v_fma_f32 v26, -v24, v23, v5
	v_fma_f32 v27, -v25, v23, v5
	s_delay_alu instid0(VALU_DEP_2) | instskip(NEXT) | instid1(VALU_DEP_1)
	v_cmp_ge_f32_e64 s4, 0, v26
	v_cndmask_b32_e64 v23, v23, v24, s4
	s_delay_alu instid0(VALU_DEP_3) | instskip(NEXT) | instid1(VALU_DEP_1)
	v_cmp_lt_f32_e64 s4, 0, v27
	v_cndmask_b32_e64 v23, v23, v25, s4
	s_delay_alu instid0(VALU_DEP_1) | instskip(NEXT) | instid1(VALU_DEP_1)
	v_mul_f32_e32 v24, 0x37800000, v23
	v_cndmask_b32_e32 v23, v23, v24, vcc_lo
	v_cmp_class_f32_e64 vcc_lo, v5, 0x260
	s_delay_alu instid0(VALU_DEP_2) | instskip(NEXT) | instid1(VALU_DEP_1)
	v_cndmask_b32_e32 v5, v23, v5, vcc_lo
	v_mul_f32_e32 v23, v11, v5
.LBB28_18:                              ;   in Loop: Header=BB28_6 Depth=2
	s_or_b32 exec_lo, exec_lo, s45
                                        ; implicit-def: $vgpr5
                                        ; implicit-def: $vgpr11
.LBB28_19:                              ;   in Loop: Header=BB28_6 Depth=2
	s_and_not1_saveexec_b32 s44, s44
	s_cbranch_execz .LBB28_21
; %bb.20:                               ;   in Loop: Header=BB28_6 Depth=2
	v_div_scale_f32 v23, null, v5, v5, v11
	v_div_scale_f32 v26, vcc_lo, v11, v5, v11
	s_delay_alu instid0(VALU_DEP_2) | instskip(SKIP_2) | instid1(VALU_DEP_1)
	v_rcp_f32_e32 v24, v23
	s_waitcnt_depctr 0xfff
	v_fma_f32 v25, -v23, v24, 1.0
	v_fmac_f32_e32 v24, v25, v24
	s_delay_alu instid0(VALU_DEP_1) | instskip(NEXT) | instid1(VALU_DEP_1)
	v_mul_f32_e32 v25, v26, v24
	v_fma_f32 v27, -v23, v25, v26
	s_delay_alu instid0(VALU_DEP_1) | instskip(NEXT) | instid1(VALU_DEP_1)
	v_fmac_f32_e32 v25, v27, v24
	v_fma_f32 v23, -v23, v25, v26
	s_delay_alu instid0(VALU_DEP_1) | instskip(NEXT) | instid1(VALU_DEP_1)
	v_div_fmas_f32 v23, v23, v24, v25
	v_div_fixup_f32 v11, v23, v5, v11
	s_delay_alu instid0(VALU_DEP_1) | instskip(NEXT) | instid1(VALU_DEP_1)
	v_fma_f32 v11, v11, v11, 1.0
	v_mul_f32_e32 v23, 0x4f800000, v11
	v_cmp_gt_f32_e32 vcc_lo, 0xf800000, v11
	s_delay_alu instid0(VALU_DEP_2) | instskip(NEXT) | instid1(VALU_DEP_1)
	v_cndmask_b32_e32 v11, v11, v23, vcc_lo
	v_sqrt_f32_e32 v23, v11
	s_waitcnt_depctr 0xfff
	v_add_nc_u32_e32 v24, -1, v23
	v_add_nc_u32_e32 v25, 1, v23
	s_delay_alu instid0(VALU_DEP_2) | instskip(NEXT) | instid1(VALU_DEP_2)
	v_fma_f32 v26, -v24, v23, v11
	v_fma_f32 v27, -v25, v23, v11
	s_delay_alu instid0(VALU_DEP_2) | instskip(NEXT) | instid1(VALU_DEP_1)
	v_cmp_ge_f32_e64 s4, 0, v26
	v_cndmask_b32_e64 v23, v23, v24, s4
	s_delay_alu instid0(VALU_DEP_3) | instskip(NEXT) | instid1(VALU_DEP_1)
	v_cmp_lt_f32_e64 s4, 0, v27
	v_cndmask_b32_e64 v23, v23, v25, s4
	s_delay_alu instid0(VALU_DEP_1) | instskip(NEXT) | instid1(VALU_DEP_1)
	v_mul_f32_e32 v24, 0x37800000, v23
	v_cndmask_b32_e32 v23, v23, v24, vcc_lo
	v_cmp_class_f32_e64 vcc_lo, v11, 0x260
	s_delay_alu instid0(VALU_DEP_2) | instskip(NEXT) | instid1(VALU_DEP_1)
	v_cndmask_b32_e32 v11, v23, v11, vcc_lo
	v_mul_f32_e32 v23, v5, v11
.LBB28_21:                              ;   in Loop: Header=BB28_6 Depth=2
	s_or_b32 exec_lo, exec_lo, s44
	v_mov_b32_e32 v5, 0
	v_mov_b32_e32 v11, 0
	s_mov_b32 s4, exec_lo
	v_cmpx_lt_f32_e32 0, v23
	s_cbranch_execz .LBB28_23
; %bb.22:                               ;   in Loop: Header=BB28_6 Depth=2
	v_mul_f32_e32 v5, v14, v14
	s_delay_alu instid0(VALU_DEP_1) | instskip(NEXT) | instid1(VALU_DEP_1)
	v_fmac_f32_e32 v5, v13, v13
	v_div_scale_f32 v11, null, v5, v5, 1.0
	v_div_scale_f32 v25, vcc_lo, 1.0, v5, 1.0
	s_delay_alu instid0(VALU_DEP_2) | instskip(SKIP_2) | instid1(VALU_DEP_1)
	v_rcp_f32_e32 v23, v11
	s_waitcnt_depctr 0xfff
	v_fma_f32 v24, -v11, v23, 1.0
	v_fmac_f32_e32 v23, v24, v23
	s_delay_alu instid0(VALU_DEP_1) | instskip(NEXT) | instid1(VALU_DEP_1)
	v_mul_f32_e32 v24, v25, v23
	v_fma_f32 v26, -v11, v24, v25
	s_delay_alu instid0(VALU_DEP_1) | instskip(NEXT) | instid1(VALU_DEP_1)
	v_fmac_f32_e32 v24, v26, v23
	v_fma_f32 v11, -v11, v24, v25
	v_mul_f32_e32 v25, v9, v14
	v_mul_f32_e64 v14, v14, -v8
	s_delay_alu instid0(VALU_DEP_2) | instskip(NEXT) | instid1(VALU_DEP_2)
	v_fmac_f32_e32 v25, v8, v13
	v_fmac_f32_e32 v14, v9, v13
	v_div_fmas_f32 v11, v11, v23, v24
	s_delay_alu instid0(VALU_DEP_1) | instskip(NEXT) | instid1(VALU_DEP_1)
	v_div_fixup_f32 v8, v11, v5, 1.0
	v_mul_f32_e32 v5, v25, v8
	s_delay_alu instid0(VALU_DEP_4)
	v_mul_f32_e32 v11, v14, v8
.LBB28_23:                              ;   in Loop: Header=BB28_6 Depth=2
	s_or_b32 exec_lo, exec_lo, s4
	s_delay_alu instid0(VALU_DEP_1)
	v_dual_mov_b32 v8, v5 :: v_dual_mov_b32 v9, v11
.LBB28_24:                              ;   in Loop: Header=BB28_6 Depth=2
	s_or_b32 exec_lo, exec_lo, s43
	s_delay_alu instid0(VALU_DEP_1) | instskip(SKIP_4) | instid1(VALU_DEP_1)
	v_cmp_gt_f32_e32 vcc_lo, 0, v8
                                        ; implicit-def: $vgpr13
	s_mov_b32 s4, exec_lo
	v_cndmask_b32_e64 v5, v8, -v8, vcc_lo
	v_cmp_gt_f32_e32 vcc_lo, 0, v9
	v_cndmask_b32_e64 v11, v9, -v9, vcc_lo
	v_cmpx_ngt_f32_e32 v5, v11
	s_xor_b32 s43, exec_lo, s4
	s_cbranch_execnz .LBB28_27
; %bb.25:                               ;   in Loop: Header=BB28_6 Depth=2
	s_and_not1_saveexec_b32 s43, s43
	s_cbranch_execnz .LBB28_30
.LBB28_26:                              ;   in Loop: Header=BB28_6 Depth=2
	s_or_b32 exec_lo, exec_lo, s43
	v_cmp_class_f32_e64 s43, v13, 0x1f8
	s_delay_alu instid0(VALU_DEP_1)
	s_and_saveexec_b32 s4, s43
	s_cbranch_execz .LBB28_5
	s_branch .LBB28_31
.LBB28_27:                              ;   in Loop: Header=BB28_6 Depth=2
	v_mov_b32_e32 v13, 0
	s_mov_b32 s44, exec_lo
	v_cmpx_neq_f32_e32 0, v9
	s_cbranch_execz .LBB28_29
; %bb.28:                               ;   in Loop: Header=BB28_6 Depth=2
	v_div_scale_f32 v13, null, v11, v11, v5
	v_div_scale_f32 v24, vcc_lo, v5, v11, v5
	s_delay_alu instid0(VALU_DEP_2) | instskip(SKIP_2) | instid1(VALU_DEP_1)
	v_rcp_f32_e32 v14, v13
	s_waitcnt_depctr 0xfff
	v_fma_f32 v23, -v13, v14, 1.0
	v_fmac_f32_e32 v14, v23, v14
	s_delay_alu instid0(VALU_DEP_1) | instskip(NEXT) | instid1(VALU_DEP_1)
	v_mul_f32_e32 v23, v24, v14
	v_fma_f32 v25, -v13, v23, v24
	s_delay_alu instid0(VALU_DEP_1) | instskip(NEXT) | instid1(VALU_DEP_1)
	v_fmac_f32_e32 v23, v25, v14
	v_fma_f32 v13, -v13, v23, v24
	s_delay_alu instid0(VALU_DEP_1) | instskip(NEXT) | instid1(VALU_DEP_1)
	v_div_fmas_f32 v13, v13, v14, v23
	v_div_fixup_f32 v5, v13, v11, v5
	s_delay_alu instid0(VALU_DEP_1) | instskip(NEXT) | instid1(VALU_DEP_1)
	v_fma_f32 v5, v5, v5, 1.0
	v_mul_f32_e32 v13, 0x4f800000, v5
	v_cmp_gt_f32_e32 vcc_lo, 0xf800000, v5
	s_delay_alu instid0(VALU_DEP_2) | instskip(NEXT) | instid1(VALU_DEP_1)
	v_cndmask_b32_e32 v5, v5, v13, vcc_lo
	v_sqrt_f32_e32 v13, v5
	s_waitcnt_depctr 0xfff
	v_add_nc_u32_e32 v14, -1, v13
	v_add_nc_u32_e32 v23, 1, v13
	s_delay_alu instid0(VALU_DEP_2) | instskip(NEXT) | instid1(VALU_DEP_2)
	v_fma_f32 v24, -v14, v13, v5
	v_fma_f32 v25, -v23, v13, v5
	s_delay_alu instid0(VALU_DEP_2) | instskip(NEXT) | instid1(VALU_DEP_1)
	v_cmp_ge_f32_e64 s4, 0, v24
	v_cndmask_b32_e64 v13, v13, v14, s4
	s_delay_alu instid0(VALU_DEP_3) | instskip(NEXT) | instid1(VALU_DEP_1)
	v_cmp_lt_f32_e64 s4, 0, v25
	v_cndmask_b32_e64 v13, v13, v23, s4
	s_delay_alu instid0(VALU_DEP_1) | instskip(NEXT) | instid1(VALU_DEP_1)
	v_mul_f32_e32 v14, 0x37800000, v13
	v_cndmask_b32_e32 v13, v13, v14, vcc_lo
	v_cmp_class_f32_e64 vcc_lo, v5, 0x260
	s_delay_alu instid0(VALU_DEP_2) | instskip(NEXT) | instid1(VALU_DEP_1)
	v_cndmask_b32_e32 v5, v13, v5, vcc_lo
	v_mul_f32_e32 v13, v11, v5
.LBB28_29:                              ;   in Loop: Header=BB28_6 Depth=2
	s_or_b32 exec_lo, exec_lo, s44
                                        ; implicit-def: $vgpr5
                                        ; implicit-def: $vgpr11
	s_and_not1_saveexec_b32 s43, s43
	s_cbranch_execz .LBB28_26
.LBB28_30:                              ;   in Loop: Header=BB28_6 Depth=2
	v_div_scale_f32 v13, null, v5, v5, v11
	v_div_scale_f32 v24, vcc_lo, v11, v5, v11
	s_delay_alu instid0(VALU_DEP_2) | instskip(SKIP_2) | instid1(VALU_DEP_1)
	v_rcp_f32_e32 v14, v13
	s_waitcnt_depctr 0xfff
	v_fma_f32 v23, -v13, v14, 1.0
	v_fmac_f32_e32 v14, v23, v14
	s_delay_alu instid0(VALU_DEP_1) | instskip(NEXT) | instid1(VALU_DEP_1)
	v_mul_f32_e32 v23, v24, v14
	v_fma_f32 v25, -v13, v23, v24
	s_delay_alu instid0(VALU_DEP_1) | instskip(NEXT) | instid1(VALU_DEP_1)
	v_fmac_f32_e32 v23, v25, v14
	v_fma_f32 v13, -v13, v23, v24
	s_delay_alu instid0(VALU_DEP_1) | instskip(NEXT) | instid1(VALU_DEP_1)
	v_div_fmas_f32 v13, v13, v14, v23
	v_div_fixup_f32 v11, v13, v5, v11
	s_delay_alu instid0(VALU_DEP_1) | instskip(NEXT) | instid1(VALU_DEP_1)
	v_fma_f32 v11, v11, v11, 1.0
	v_mul_f32_e32 v13, 0x4f800000, v11
	v_cmp_gt_f32_e32 vcc_lo, 0xf800000, v11
	s_delay_alu instid0(VALU_DEP_2) | instskip(NEXT) | instid1(VALU_DEP_1)
	v_cndmask_b32_e32 v11, v11, v13, vcc_lo
	v_sqrt_f32_e32 v13, v11
	s_waitcnt_depctr 0xfff
	v_add_nc_u32_e32 v14, -1, v13
	v_add_nc_u32_e32 v23, 1, v13
	s_delay_alu instid0(VALU_DEP_2) | instskip(NEXT) | instid1(VALU_DEP_2)
	v_fma_f32 v24, -v14, v13, v11
	v_fma_f32 v25, -v23, v13, v11
	s_delay_alu instid0(VALU_DEP_2) | instskip(NEXT) | instid1(VALU_DEP_1)
	v_cmp_ge_f32_e64 s4, 0, v24
	v_cndmask_b32_e64 v13, v13, v14, s4
	s_delay_alu instid0(VALU_DEP_3) | instskip(NEXT) | instid1(VALU_DEP_1)
	v_cmp_lt_f32_e64 s4, 0, v25
	v_cndmask_b32_e64 v13, v13, v23, s4
	s_delay_alu instid0(VALU_DEP_1) | instskip(NEXT) | instid1(VALU_DEP_1)
	v_mul_f32_e32 v14, 0x37800000, v13
	v_cndmask_b32_e32 v13, v13, v14, vcc_lo
	v_cmp_class_f32_e64 vcc_lo, v11, 0x260
	s_delay_alu instid0(VALU_DEP_2) | instskip(NEXT) | instid1(VALU_DEP_1)
	v_cndmask_b32_e32 v11, v13, v11, vcc_lo
	v_mul_f32_e32 v13, v5, v11
	s_or_b32 exec_lo, exec_lo, s43
	s_delay_alu instid0(VALU_DEP_1) | instskip(NEXT) | instid1(VALU_DEP_1)
	v_cmp_class_f32_e64 s43, v13, 0x1f8
	s_and_saveexec_b32 s4, s43
	s_cbranch_execz .LBB28_5
.LBB28_31:                              ;   in Loop: Header=BB28_6 Depth=2
	s_mov_b32 s43, 0
                                        ; implicit-def: $vgpr13_vgpr14
	s_and_saveexec_b32 s44, s3
	s_delay_alu instid0(SALU_CYCLE_1)
	s_xor_b32 s3, exec_lo, s44
	s_cbranch_execnz .LBB28_34
; %bb.32:                               ;   in Loop: Header=BB28_6 Depth=2
	s_and_not1_saveexec_b32 s3, s3
	s_cbranch_execnz .LBB28_47
.LBB28_33:                              ;   in Loop: Header=BB28_6 Depth=2
	s_or_b32 exec_lo, exec_lo, s3
	s_delay_alu instid0(SALU_CYCLE_1)
	s_and_b32 exec_lo, exec_lo, s43
	s_cbranch_execz .LBB28_5
	s_branch .LBB28_56
.LBB28_34:                              ;   in Loop: Header=BB28_6 Depth=2
	s_mov_b32 s44, exec_lo
                                        ; implicit-def: $vgpr13_vgpr14
	v_cmpx_ge_i32_e64 v0, v6
	s_xor_b32 s44, exec_lo, s44
; %bb.35:                               ;   in Loop: Header=BB28_6 Depth=2
	v_lshlrev_b64 v[5:6], 3, v[6:7]
	s_mov_b32 s43, exec_lo
                                        ; implicit-def: $vgpr12
                                        ; implicit-def: $vgpr22
                                        ; implicit-def: $vgpr10
	s_delay_alu instid0(VALU_DEP_1) | instskip(NEXT) | instid1(VALU_DEP_2)
	v_add_co_u32 v13, vcc_lo, s18, v5
	v_add_co_ci_u32_e32 v14, vcc_lo, s19, v6, vcc_lo
; %bb.36:                               ;   in Loop: Header=BB28_6 Depth=2
	s_and_not1_saveexec_b32 s44, s44
	s_cbranch_execz .LBB28_46
; %bb.37:                               ;   in Loop: Header=BB28_6 Depth=2
	s_mov_b32 s46, s43
	s_mov_b32 s45, exec_lo
                                        ; implicit-def: $vgpr13_vgpr14
	v_cmpx_lt_i32_e64 v12, v22
	s_cbranch_execz .LBB28_45
; %bb.38:                               ;   in Loop: Header=BB28_6 Depth=2
	s_mov_b32 s47, 0
                                        ; implicit-def: $sgpr46
                                        ; implicit-def: $sgpr49
                                        ; implicit-def: $sgpr48
	s_set_inst_prefetch_distance 0x1
	s_branch .LBB28_40
	.p2align	6
.LBB28_39:                              ;   in Loop: Header=BB28_40 Depth=3
	s_or_b32 exec_lo, exec_lo, s50
	s_delay_alu instid0(SALU_CYCLE_1) | instskip(NEXT) | instid1(SALU_CYCLE_1)
	s_and_b32 s50, exec_lo, s49
	s_or_b32 s47, s50, s47
	s_and_not1_b32 s46, s46, exec_lo
	s_and_b32 s50, s48, exec_lo
	s_delay_alu instid0(SALU_CYCLE_1)
	s_or_b32 s46, s46, s50
	s_and_not1_b32 exec_lo, exec_lo, s47
	s_cbranch_execz .LBB28_42
.LBB28_40:                              ;   Parent Loop BB28_3 Depth=1
                                        ;     Parent Loop BB28_6 Depth=2
                                        ; =>    This Inner Loop Header: Depth=3
	v_add_nc_u32_e32 v5, v10, v12
	s_or_b32 s48, s48, exec_lo
	s_or_b32 s49, s49, exec_lo
	s_mov_b32 s50, exec_lo
	s_delay_alu instid0(VALU_DEP_1) | instskip(NEXT) | instid1(VALU_DEP_1)
	v_ashrrev_i32_e32 v6, 31, v5
	v_lshlrev_b64 v[13:14], 2, v[5:6]
	s_delay_alu instid0(VALU_DEP_1) | instskip(NEXT) | instid1(VALU_DEP_2)
	v_add_co_u32 v13, vcc_lo, s28, v13
	v_add_co_ci_u32_e32 v14, vcc_lo, s29, v14, vcc_lo
	global_load_b32 v2, v[13:14], off
	s_waitcnt vmcnt(0)
	v_subrev_nc_u32_e32 v2, s40, v2
	s_delay_alu instid0(VALU_DEP_1)
	v_cmpx_ne_u32_e64 v2, v0
	s_cbranch_execz .LBB28_39
; %bb.41:                               ;   in Loop: Header=BB28_40 Depth=3
	v_add_nc_u32_e32 v12, 1, v12
	s_and_not1_b32 s49, s49, exec_lo
	s_and_not1_b32 s48, s48, exec_lo
	s_delay_alu instid0(VALU_DEP_1) | instskip(SKIP_1) | instid1(SALU_CYCLE_1)
	v_cmp_ge_i32_e32 vcc_lo, v12, v22
	s_and_b32 s51, vcc_lo, exec_lo
	s_or_b32 s49, s49, s51
	s_branch .LBB28_39
.LBB28_42:                              ;   in Loop: Header=BB28_6 Depth=2
	s_set_inst_prefetch_distance 0x2
	s_or_b32 exec_lo, exec_lo, s47
	s_mov_b32 s47, s43
                                        ; implicit-def: $vgpr13_vgpr14
	s_and_saveexec_b32 s48, s46
	s_delay_alu instid0(SALU_CYCLE_1)
	s_xor_b32 s46, exec_lo, s48
; %bb.43:                               ;   in Loop: Header=BB28_6 Depth=2
	v_lshlrev_b64 v[5:6], 3, v[5:6]
	s_or_b32 s47, s43, exec_lo
	s_delay_alu instid0(VALU_DEP_1) | instskip(NEXT) | instid1(VALU_DEP_2)
	v_add_co_u32 v13, vcc_lo, s36, v5
	v_add_co_ci_u32_e32 v14, vcc_lo, s37, v6, vcc_lo
; %bb.44:                               ;   in Loop: Header=BB28_6 Depth=2
	s_or_b32 exec_lo, exec_lo, s46
	s_delay_alu instid0(SALU_CYCLE_1) | instskip(SKIP_1) | instid1(SALU_CYCLE_1)
	s_and_not1_b32 s46, s43, exec_lo
	s_and_b32 s47, s47, exec_lo
	s_or_b32 s46, s46, s47
.LBB28_45:                              ;   in Loop: Header=BB28_6 Depth=2
	s_or_b32 exec_lo, exec_lo, s45
	s_delay_alu instid0(SALU_CYCLE_1) | instskip(SKIP_1) | instid1(SALU_CYCLE_1)
	s_and_not1_b32 s43, s43, exec_lo
	s_and_b32 s45, s46, exec_lo
	s_or_b32 s43, s43, s45
.LBB28_46:                              ;   in Loop: Header=BB28_6 Depth=2
	s_or_b32 exec_lo, exec_lo, s44
	s_delay_alu instid0(SALU_CYCLE_1)
	s_and_b32 s43, s43, exec_lo
                                        ; implicit-def: $vgpr6_vgpr7
	s_and_not1_saveexec_b32 s3, s3
	s_cbranch_execz .LBB28_33
.LBB28_47:                              ;   in Loop: Header=BB28_6 Depth=2
	s_mov_b32 s45, s43
	s_mov_b32 s44, exec_lo
                                        ; implicit-def: $vgpr13_vgpr14
	v_cmpx_lt_i32_e64 v2, v15
	s_cbranch_execz .LBB28_55
; %bb.48:                               ;   in Loop: Header=BB28_6 Depth=2
	s_mov_b32 s46, 0
                                        ; implicit-def: $sgpr45
                                        ; implicit-def: $sgpr48
                                        ; implicit-def: $sgpr47
	s_set_inst_prefetch_distance 0x1
	s_branch .LBB28_50
	.p2align	6
.LBB28_49:                              ;   in Loop: Header=BB28_50 Depth=3
	s_or_b32 exec_lo, exec_lo, s49
	s_delay_alu instid0(SALU_CYCLE_1) | instskip(NEXT) | instid1(SALU_CYCLE_1)
	s_and_b32 s49, exec_lo, s48
	s_or_b32 s46, s49, s46
	s_and_not1_b32 s45, s45, exec_lo
	s_and_b32 s49, s47, exec_lo
	s_delay_alu instid0(SALU_CYCLE_1)
	s_or_b32 s45, s45, s49
	s_and_not1_b32 exec_lo, exec_lo, s46
	s_cbranch_execz .LBB28_52
.LBB28_50:                              ;   Parent Loop BB28_3 Depth=1
                                        ;     Parent Loop BB28_6 Depth=2
                                        ; =>    This Inner Loop Header: Depth=3
	v_add_nc_u32_e32 v10, v1, v2
	s_or_b32 s47, s47, exec_lo
	s_or_b32 s48, s48, exec_lo
	s_mov_b32 s49, exec_lo
	s_delay_alu instid0(VALU_DEP_1) | instskip(NEXT) | instid1(VALU_DEP_1)
	v_ashrrev_i32_e32 v11, 31, v10
	v_lshlrev_b64 v[12:13], 2, v[10:11]
	s_delay_alu instid0(VALU_DEP_1) | instskip(NEXT) | instid1(VALU_DEP_2)
	v_add_co_u32 v12, vcc_lo, s12, v12
	v_add_co_ci_u32_e32 v13, vcc_lo, s13, v13, vcc_lo
	global_load_b32 v5, v[12:13], off
	s_waitcnt vmcnt(0)
	v_subrev_nc_u32_e32 v5, s33, v5
	s_delay_alu instid0(VALU_DEP_1)
	v_cmpx_ne_u32_e64 v5, v6
	s_cbranch_execz .LBB28_49
; %bb.51:                               ;   in Loop: Header=BB28_50 Depth=3
	v_add_nc_u32_e32 v2, 1, v2
	s_and_not1_b32 s48, s48, exec_lo
	s_and_not1_b32 s47, s47, exec_lo
	s_delay_alu instid0(VALU_DEP_1) | instskip(SKIP_1) | instid1(SALU_CYCLE_1)
	v_cmp_ge_i32_e32 vcc_lo, v2, v15
	s_and_b32 s50, vcc_lo, exec_lo
	s_or_b32 s48, s48, s50
	s_branch .LBB28_49
.LBB28_52:                              ;   in Loop: Header=BB28_6 Depth=2
	s_set_inst_prefetch_distance 0x2
	s_or_b32 exec_lo, exec_lo, s46
	s_mov_b32 s46, s43
                                        ; implicit-def: $vgpr13_vgpr14
	s_and_saveexec_b32 s47, s45
	s_delay_alu instid0(SALU_CYCLE_1)
	s_xor_b32 s45, exec_lo, s47
; %bb.53:                               ;   in Loop: Header=BB28_6 Depth=2
	v_lshlrev_b64 v[5:6], 3, v[10:11]
	s_or_b32 s46, s43, exec_lo
	s_delay_alu instid0(VALU_DEP_1) | instskip(NEXT) | instid1(VALU_DEP_2)
	v_add_co_u32 v13, vcc_lo, s34, v5
	v_add_co_ci_u32_e32 v14, vcc_lo, s35, v6, vcc_lo
; %bb.54:                               ;   in Loop: Header=BB28_6 Depth=2
	s_or_b32 exec_lo, exec_lo, s45
	s_delay_alu instid0(SALU_CYCLE_1) | instskip(SKIP_1) | instid1(SALU_CYCLE_1)
	s_and_not1_b32 s45, s43, exec_lo
	s_and_b32 s46, s46, exec_lo
	s_or_b32 s45, s45, s46
.LBB28_55:                              ;   in Loop: Header=BB28_6 Depth=2
	s_or_b32 exec_lo, exec_lo, s44
	s_delay_alu instid0(SALU_CYCLE_1) | instskip(SKIP_1) | instid1(SALU_CYCLE_1)
	s_and_not1_b32 s43, s43, exec_lo
	s_and_b32 s44, s45, exec_lo
	s_or_b32 s43, s43, s44
	s_or_b32 exec_lo, exec_lo, s3
	s_delay_alu instid0(SALU_CYCLE_1)
	s_and_b32 exec_lo, exec_lo, s43
	s_cbranch_execz .LBB28_5
.LBB28_56:                              ;   in Loop: Header=BB28_6 Depth=2
	global_store_b64 v[13:14], v[8:9], off
	s_branch .LBB28_5
.LBB28_57:                              ;   in Loop: Header=BB28_3 Depth=1
	s_or_b32 exec_lo, exec_lo, s41
	s_and_saveexec_b32 s4, s0
	s_cbranch_execz .LBB28_2
; %bb.58:                               ;   in Loop: Header=BB28_3 Depth=1
	v_mov_b32_e32 v4, v0
	s_mov_b32 s41, 0
	s_branch .LBB28_61
.LBB28_59:                              ;   in Loop: Header=BB28_61 Depth=2
	s_or_b32 exec_lo, exec_lo, s43
	v_lshlrev_b64 v[5:6], 3, v[4:5]
	s_delay_alu instid0(VALU_DEP_1) | instskip(NEXT) | instid1(VALU_DEP_2)
	v_add_co_u32 v7, vcc_lo, s18, v5
	v_add_co_ci_u32_e32 v8, vcc_lo, s19, v6, vcc_lo
	v_add_co_u32 v5, vcc_lo, s16, v5
	v_add_co_ci_u32_e32 v6, vcc_lo, s17, v6, vcc_lo
	global_load_b64 v[7:8], v[7:8], off
	s_waitcnt vmcnt(0)
	global_store_b64 v[5:6], v[7:8], off
.LBB28_60:                              ;   in Loop: Header=BB28_61 Depth=2
	s_or_b32 exec_lo, exec_lo, s42
	v_add_nc_u32_e32 v4, 0x400, v4
	s_delay_alu instid0(VALU_DEP_1) | instskip(SKIP_1) | instid1(SALU_CYCLE_1)
	v_cmp_le_u32_e32 vcc_lo, s39, v4
	s_or_b32 s41, vcc_lo, s41
	s_and_not1_b32 exec_lo, exec_lo, s41
	s_cbranch_execz .LBB28_2
.LBB28_61:                              ;   Parent Loop BB28_3 Depth=1
                                        ; =>  This Loop Header: Depth=2
                                        ;       Child Loop BB28_64 Depth 3
                                        ;       Child Loop BB28_67 Depth 3
	s_mov_b32 s42, exec_lo
	s_delay_alu instid0(VALU_DEP_1)
	v_cmpx_gt_i32_e64 s7, v4
	s_cbranch_execz .LBB28_60
; %bb.62:                               ;   in Loop: Header=BB28_61 Depth=2
	v_ashrrev_i32_e32 v5, 31, v4
	s_mov_b32 s43, exec_lo
	s_delay_alu instid0(VALU_DEP_1) | instskip(NEXT) | instid1(VALU_DEP_1)
	v_lshlrev_b64 v[6:7], 2, v[4:5]
	v_add_co_u32 v8, vcc_lo, s8, v6
	s_delay_alu instid0(VALU_DEP_2)
	v_add_co_ci_u32_e32 v9, vcc_lo, s9, v7, vcc_lo
	v_add_co_u32 v10, vcc_lo, s10, v6
	v_add_co_ci_u32_e32 v11, vcc_lo, s11, v7, vcc_lo
	global_load_b32 v8, v[8:9], off
	global_load_b32 v2, v[10:11], off
	s_waitcnt vmcnt(0)
	v_cmpx_lt_i32_e64 v8, v2
	s_cbranch_execz .LBB28_65
; %bb.63:                               ;   in Loop: Header=BB28_61 Depth=2
	v_subrev_nc_u32_e32 v8, s33, v8
	v_subrev_nc_u32_e32 v2, s33, v2
	s_mov_b32 s44, 0
	s_delay_alu instid0(VALU_DEP_2) | instskip(NEXT) | instid1(VALU_DEP_1)
	v_ashrrev_i32_e32 v9, 31, v8
	v_lshlrev_b64 v[11:12], 3, v[8:9]
	s_delay_alu instid0(VALU_DEP_1) | instskip(NEXT) | instid1(VALU_DEP_2)
	v_add_co_u32 v9, vcc_lo, s34, v11
	v_add_co_ci_u32_e32 v10, vcc_lo, s35, v12, vcc_lo
	v_add_co_u32 v11, vcc_lo, s14, v11
	v_add_co_ci_u32_e32 v12, vcc_lo, s15, v12, vcc_lo
.LBB28_64:                              ;   Parent Loop BB28_3 Depth=1
                                        ;     Parent Loop BB28_61 Depth=2
                                        ; =>    This Inner Loop Header: Depth=3
	global_load_b64 v[13:14], v[9:10], off
	v_add_nc_u32_e32 v8, 1, v8
	v_add_co_u32 v9, vcc_lo, v9, 8
	v_add_co_ci_u32_e32 v10, vcc_lo, 0, v10, vcc_lo
	s_delay_alu instid0(VALU_DEP_3) | instskip(SKIP_4) | instid1(VALU_DEP_1)
	v_cmp_ge_i32_e32 vcc_lo, v8, v2
	s_or_b32 s44, vcc_lo, s44
	s_waitcnt vmcnt(0)
	global_store_b64 v[11:12], v[13:14], off
	v_add_co_u32 v11, s3, v11, 8
	v_add_co_ci_u32_e64 v12, s3, 0, v12, s3
	s_and_not1_b32 exec_lo, exec_lo, s44
	s_cbranch_execnz .LBB28_64
.LBB28_65:                              ;   in Loop: Header=BB28_61 Depth=2
	s_or_b32 exec_lo, exec_lo, s43
	v_add_co_u32 v8, vcc_lo, s24, v6
	v_add_co_ci_u32_e32 v9, vcc_lo, s25, v7, vcc_lo
	v_add_co_u32 v10, vcc_lo, s26, v6
	v_add_co_ci_u32_e32 v11, vcc_lo, s27, v7, vcc_lo
	s_mov_b32 s43, exec_lo
	global_load_b32 v6, v[8:9], off
	global_load_b32 v2, v[10:11], off
	s_waitcnt vmcnt(0)
	v_cmpx_lt_i32_e64 v6, v2
	s_cbranch_execz .LBB28_59
; %bb.66:                               ;   in Loop: Header=BB28_61 Depth=2
	v_subrev_nc_u32_e32 v6, s40, v6
	v_subrev_nc_u32_e32 v2, s40, v2
	s_mov_b32 s44, 0
	s_delay_alu instid0(VALU_DEP_2) | instskip(NEXT) | instid1(VALU_DEP_1)
	v_ashrrev_i32_e32 v7, 31, v6
	v_lshlrev_b64 v[9:10], 3, v[6:7]
	s_delay_alu instid0(VALU_DEP_1) | instskip(NEXT) | instid1(VALU_DEP_2)
	v_add_co_u32 v7, vcc_lo, s36, v9
	v_add_co_ci_u32_e32 v8, vcc_lo, s37, v10, vcc_lo
	v_add_co_u32 v9, vcc_lo, s30, v9
	v_add_co_ci_u32_e32 v10, vcc_lo, s31, v10, vcc_lo
	.p2align	6
.LBB28_67:                              ;   Parent Loop BB28_3 Depth=1
                                        ;     Parent Loop BB28_61 Depth=2
                                        ; =>    This Inner Loop Header: Depth=3
	global_load_b64 v[11:12], v[7:8], off
	v_add_nc_u32_e32 v6, 1, v6
	v_add_co_u32 v7, vcc_lo, v7, 8
	v_add_co_ci_u32_e32 v8, vcc_lo, 0, v8, vcc_lo
	s_delay_alu instid0(VALU_DEP_3) | instskip(SKIP_4) | instid1(VALU_DEP_1)
	v_cmp_ge_i32_e32 vcc_lo, v6, v2
	s_or_b32 s44, vcc_lo, s44
	s_waitcnt vmcnt(0)
	global_store_b64 v[9:10], v[11:12], off
	v_add_co_u32 v9, s3, v9, 8
	v_add_co_ci_u32_e64 v10, s3, 0, v10, s3
	s_and_not1_b32 exec_lo, exec_lo, s44
	s_cbranch_execnz .LBB28_67
	s_branch .LBB28_59
.LBB28_68:
	s_nop 0
	s_sendmsg sendmsg(MSG_DEALLOC_VGPRS)
	s_endpgm
	.section	.rodata,"a",@progbits
	.p2align	6, 0x0
	.amdhsa_kernel _ZN9rocsparseL14kernel_freerunILi1024ELi1E21rocsparse_complex_numIfEiiEEvT3_S3_T2_PKS4_S6_PKS3_PKT1_21rocsparse_index_base_S6_S6_S8_PS9_SD_SC_S6_S6_S8_SD_SD_SC_SD_SD_
		.amdhsa_group_segment_fixed_size 0
		.amdhsa_private_segment_fixed_size 0
		.amdhsa_kernarg_size 168
		.amdhsa_user_sgpr_count 15
		.amdhsa_user_sgpr_dispatch_ptr 0
		.amdhsa_user_sgpr_queue_ptr 0
		.amdhsa_user_sgpr_kernarg_segment_ptr 1
		.amdhsa_user_sgpr_dispatch_id 0
		.amdhsa_user_sgpr_private_segment_size 0
		.amdhsa_wavefront_size32 1
		.amdhsa_uses_dynamic_stack 0
		.amdhsa_enable_private_segment 0
		.amdhsa_system_sgpr_workgroup_id_x 1
		.amdhsa_system_sgpr_workgroup_id_y 0
		.amdhsa_system_sgpr_workgroup_id_z 0
		.amdhsa_system_sgpr_workgroup_info 0
		.amdhsa_system_vgpr_workitem_id 0
		.amdhsa_next_free_vgpr 31
		.amdhsa_next_free_sgpr 52
		.amdhsa_reserve_vcc 1
		.amdhsa_float_round_mode_32 0
		.amdhsa_float_round_mode_16_64 0
		.amdhsa_float_denorm_mode_32 3
		.amdhsa_float_denorm_mode_16_64 3
		.amdhsa_dx10_clamp 1
		.amdhsa_ieee_mode 1
		.amdhsa_fp16_overflow 0
		.amdhsa_workgroup_processor_mode 1
		.amdhsa_memory_ordered 1
		.amdhsa_forward_progress 0
		.amdhsa_shared_vgpr_count 0
		.amdhsa_exception_fp_ieee_invalid_op 0
		.amdhsa_exception_fp_denorm_src 0
		.amdhsa_exception_fp_ieee_div_zero 0
		.amdhsa_exception_fp_ieee_overflow 0
		.amdhsa_exception_fp_ieee_underflow 0
		.amdhsa_exception_fp_ieee_inexact 0
		.amdhsa_exception_int_div_zero 0
	.end_amdhsa_kernel
	.section	.text._ZN9rocsparseL14kernel_freerunILi1024ELi1E21rocsparse_complex_numIfEiiEEvT3_S3_T2_PKS4_S6_PKS3_PKT1_21rocsparse_index_base_S6_S6_S8_PS9_SD_SC_S6_S6_S8_SD_SD_SC_SD_SD_,"axG",@progbits,_ZN9rocsparseL14kernel_freerunILi1024ELi1E21rocsparse_complex_numIfEiiEEvT3_S3_T2_PKS4_S6_PKS3_PKT1_21rocsparse_index_base_S6_S6_S8_PS9_SD_SC_S6_S6_S8_SD_SD_SC_SD_SD_,comdat
.Lfunc_end28:
	.size	_ZN9rocsparseL14kernel_freerunILi1024ELi1E21rocsparse_complex_numIfEiiEEvT3_S3_T2_PKS4_S6_PKS3_PKT1_21rocsparse_index_base_S6_S6_S8_PS9_SD_SC_S6_S6_S8_SD_SD_SC_SD_SD_, .Lfunc_end28-_ZN9rocsparseL14kernel_freerunILi1024ELi1E21rocsparse_complex_numIfEiiEEvT3_S3_T2_PKS4_S6_PKS3_PKT1_21rocsparse_index_base_S6_S6_S8_PS9_SD_SC_S6_S6_S8_SD_SD_SC_SD_SD_
                                        ; -- End function
	.section	.AMDGPU.csdata,"",@progbits
; Kernel info:
; codeLenInByte = 3692
; NumSgprs: 54
; NumVgprs: 31
; ScratchSize: 0
; MemoryBound: 0
; FloatMode: 240
; IeeeMode: 1
; LDSByteSize: 0 bytes/workgroup (compile time only)
; SGPRBlocks: 6
; VGPRBlocks: 3
; NumSGPRsForWavesPerEU: 54
; NumVGPRsForWavesPerEU: 31
; Occupancy: 16
; WaveLimiterHint : 1
; COMPUTE_PGM_RSRC2:SCRATCH_EN: 0
; COMPUTE_PGM_RSRC2:USER_SGPR: 15
; COMPUTE_PGM_RSRC2:TRAP_HANDLER: 0
; COMPUTE_PGM_RSRC2:TGID_X_EN: 1
; COMPUTE_PGM_RSRC2:TGID_Y_EN: 0
; COMPUTE_PGM_RSRC2:TGID_Z_EN: 0
; COMPUTE_PGM_RSRC2:TIDIG_COMP_CNT: 0
	.section	.text._ZN9rocsparseL14kernel_freerunILi1024ELi2E21rocsparse_complex_numIfEiiEEvT3_S3_T2_PKS4_S6_PKS3_PKT1_21rocsparse_index_base_S6_S6_S8_PS9_SD_SC_S6_S6_S8_SD_SD_SC_SD_SD_,"axG",@progbits,_ZN9rocsparseL14kernel_freerunILi1024ELi2E21rocsparse_complex_numIfEiiEEvT3_S3_T2_PKS4_S6_PKS3_PKT1_21rocsparse_index_base_S6_S6_S8_PS9_SD_SC_S6_S6_S8_SD_SD_SC_SD_SD_,comdat
	.globl	_ZN9rocsparseL14kernel_freerunILi1024ELi2E21rocsparse_complex_numIfEiiEEvT3_S3_T2_PKS4_S6_PKS3_PKT1_21rocsparse_index_base_S6_S6_S8_PS9_SD_SC_S6_S6_S8_SD_SD_SC_SD_SD_ ; -- Begin function _ZN9rocsparseL14kernel_freerunILi1024ELi2E21rocsparse_complex_numIfEiiEEvT3_S3_T2_PKS4_S6_PKS3_PKT1_21rocsparse_index_base_S6_S6_S8_PS9_SD_SC_S6_S6_S8_SD_SD_SC_SD_SD_
	.p2align	8
	.type	_ZN9rocsparseL14kernel_freerunILi1024ELi2E21rocsparse_complex_numIfEiiEEvT3_S3_T2_PKS4_S6_PKS3_PKT1_21rocsparse_index_base_S6_S6_S8_PS9_SD_SC_S6_S6_S8_SD_SD_SC_SD_SD_,@function
_ZN9rocsparseL14kernel_freerunILi1024ELi2E21rocsparse_complex_numIfEiiEEvT3_S3_T2_PKS4_S6_PKS3_PKT1_21rocsparse_index_base_S6_S6_S8_PS9_SD_SC_S6_S6_S8_SD_SD_SC_SD_SD_: ; @_ZN9rocsparseL14kernel_freerunILi1024ELi2E21rocsparse_complex_numIfEiiEEvT3_S3_T2_PKS4_S6_PKS3_PKT1_21rocsparse_index_base_S6_S6_S8_PS9_SD_SC_S6_S6_S8_SD_SD_SC_SD_SD_
; %bb.0:
	s_load_b64 s[6:7], s[0:1], 0x0
	v_lshrrev_b32_e32 v1, 1, v0
	s_lshl_b32 s44, s15, 10
	s_mov_b32 s5, 0
	s_delay_alu instid0(VALU_DEP_1) | instskip(SKIP_1) | instid1(VALU_DEP_1)
	v_or_b32_e32 v15, s44, v1
	s_waitcnt lgkmcnt(0)
	v_cmp_gt_i32_e32 vcc_lo, s7, v15
	s_cmp_gt_i32 s6, 0
	s_cselect_b32 s2, -1, 0
	s_delay_alu instid0(SALU_CYCLE_1) | instskip(NEXT) | instid1(SALU_CYCLE_1)
	s_and_b32 s2, vcc_lo, s2
	s_and_saveexec_b32 s3, s2
	s_cbranch_execz .LBB29_72
; %bb.1:
	s_clause 0x8
	s_load_b32 s33, s[0:1], 0x30
	s_load_b32 s42, s[0:1], 0x60
	s_load_b32 s43, s[0:1], 0x90
	s_load_b64 s[34:35], s[0:1], 0x88
	s_load_b64 s[40:41], s[0:1], 0x58
	s_load_b128 s[36:39], s[0:1], 0x98
	s_load_b256 s[8:15], s[0:1], 0x68
	s_load_b256 s[16:23], s[0:1], 0x38
	;; [unrolled: 1-line block ×3, first 2 shown]
	v_dual_mov_b32 v1, 0 :: v_dual_and_b32 v0, 1, v0
	s_addk_i32 s44, 0x400
	s_delay_alu instid0(SALU_CYCLE_1) | instskip(NEXT) | instid1(VALU_DEP_2)
	v_cmp_gt_u32_e64 s0, s44, v15
	v_cmp_eq_u32_e64 s1, 0, v0
	s_waitcnt lgkmcnt(0)
	v_subrev_nc_u32_e32 v16, s33, v0
	v_subrev_nc_u32_e32 v17, s42, v0
	;; [unrolled: 1-line block ×3, first 2 shown]
	s_branch .LBB29_3
.LBB29_2:                               ;   in Loop: Header=BB29_3 Depth=1
	s_or_b32 exec_lo, exec_lo, s3
	s_add_i32 s5, s5, 1
	s_delay_alu instid0(SALU_CYCLE_1)
	s_cmp_eq_u32 s5, s6
	s_cbranch_scc1 .LBB29_72
.LBB29_3:                               ; =>This Loop Header: Depth=1
                                        ;     Child Loop BB29_5 Depth 2
                                        ;       Child Loop BB29_9 Depth 3
                                        ;         Child Loop BB29_13 Depth 4
                                        ;         Child Loop BB29_43 Depth 4
	;; [unrolled: 1-line block ×3, first 2 shown]
                                        ;     Child Loop BB29_63 Depth 2
                                        ;       Child Loop BB29_66 Depth 3
                                        ;       Child Loop BB29_69 Depth 3
	s_mov_b32 s2, 0
	s_mov_b32 s45, -1
	s_branch .LBB29_5
.LBB29_4:                               ;   in Loop: Header=BB29_5 Depth=2
	s_or_b32 exec_lo, exec_lo, s46
	s_xor_b32 s3, s45, -1
	s_movk_i32 s2, 0x200
	s_and_b32 vcc_lo, exec_lo, s3
	s_mov_b32 s45, 0
	s_cbranch_vccnz .LBB29_60
.LBB29_5:                               ;   Parent Loop BB29_3 Depth=1
                                        ; =>  This Loop Header: Depth=2
                                        ;       Child Loop BB29_9 Depth 3
                                        ;         Child Loop BB29_13 Depth 4
                                        ;         Child Loop BB29_43 Depth 4
	;; [unrolled: 1-line block ×3, first 2 shown]
	v_or_b32_e32 v2, s2, v15
	s_mov_b32 s46, exec_lo
	s_delay_alu instid0(VALU_DEP_1)
	v_cmpx_gt_i32_e64 s7, v2
	s_cbranch_execz .LBB29_4
; %bb.6:                                ;   in Loop: Header=BB29_5 Depth=2
	v_ashrrev_i32_e32 v3, 31, v2
	s_delay_alu instid0(VALU_DEP_1) | instskip(NEXT) | instid1(VALU_DEP_1)
	v_lshlrev_b64 v[4:5], 2, v[2:3]
	v_add_co_u32 v6, vcc_lo, s24, v4
	s_delay_alu instid0(VALU_DEP_2)
	v_add_co_ci_u32_e32 v7, vcc_lo, s25, v5, vcc_lo
	v_add_co_u32 v8, vcc_lo, s26, v4
	v_add_co_ci_u32_e32 v9, vcc_lo, s27, v5, vcc_lo
	global_load_b32 v0, v[6:7], off
	global_load_b32 v6, v[8:9], off
	s_waitcnt vmcnt(1)
	v_add_nc_u32_e32 v3, v16, v0
	s_waitcnt vmcnt(0)
	v_subrev_nc_u32_e32 v19, s33, v6
	s_delay_alu instid0(VALU_DEP_1)
	v_cmp_lt_i32_e32 vcc_lo, v3, v19
	s_and_b32 exec_lo, exec_lo, vcc_lo
	s_cbranch_execz .LBB29_4
; %bb.7:                                ;   in Loop: Header=BB29_5 Depth=2
	v_add_co_u32 v6, vcc_lo, s16, v4
	v_add_co_ci_u32_e32 v7, vcc_lo, s17, v5, vcc_lo
	v_add_co_u32 v4, vcc_lo, s18, v4
	v_add_co_ci_u32_e32 v5, vcc_lo, s19, v5, vcc_lo
	global_load_b32 v0, v[6:7], off
	s_mov_b32 s47, 0
	global_load_b32 v4, v[4:5], off
	s_waitcnt vmcnt(1)
	v_subrev_nc_u32_e32 v5, s42, v0
	s_waitcnt vmcnt(0)
	v_sub_nc_u32_e32 v20, v4, v0
	s_delay_alu instid0(VALU_DEP_2) | instskip(NEXT) | instid1(VALU_DEP_2)
	v_ashrrev_i32_e32 v6, 31, v5
	v_cmp_lt_i32_e64 s2, 0, v20
	s_delay_alu instid0(VALU_DEP_2) | instskip(SKIP_1) | instid1(VALU_DEP_2)
	v_lshlrev_b64 v[7:8], 2, v[5:6]
	v_lshlrev_b64 v[9:10], 3, v[5:6]
	v_add_co_u32 v21, vcc_lo, s20, v7
	s_delay_alu instid0(VALU_DEP_3) | instskip(NEXT) | instid1(VALU_DEP_3)
	v_add_co_ci_u32_e32 v22, vcc_lo, s21, v8, vcc_lo
	v_add_co_u32 v23, vcc_lo, s22, v9
	s_delay_alu instid0(VALU_DEP_4)
	v_add_co_ci_u32_e32 v24, vcc_lo, s23, v10, vcc_lo
	s_branch .LBB29_9
.LBB29_8:                               ;   in Loop: Header=BB29_9 Depth=3
	s_or_b32 exec_lo, exec_lo, s4
	v_add_nc_u32_e32 v3, 2, v3
	s_delay_alu instid0(VALU_DEP_1) | instskip(SKIP_1) | instid1(SALU_CYCLE_1)
	v_cmp_ge_i32_e32 vcc_lo, v3, v19
	s_or_b32 s47, vcc_lo, s47
	s_and_not1_b32 exec_lo, exec_lo, s47
	s_cbranch_execz .LBB29_4
.LBB29_9:                               ;   Parent Loop BB29_3 Depth=1
                                        ;     Parent Loop BB29_5 Depth=2
                                        ; =>    This Loop Header: Depth=3
                                        ;         Child Loop BB29_13 Depth 4
                                        ;         Child Loop BB29_43 Depth 4
	;; [unrolled: 1-line block ×3, first 2 shown]
	v_ashrrev_i32_e32 v4, 31, v3
	s_delay_alu instid0(VALU_DEP_1) | instskip(NEXT) | instid1(VALU_DEP_1)
	v_lshlrev_b64 v[6:7], 2, v[3:4]
	v_add_co_u32 v6, vcc_lo, s28, v6
	s_delay_alu instid0(VALU_DEP_2) | instskip(SKIP_4) | instid1(VALU_DEP_2)
	v_add_co_ci_u32_e32 v7, vcc_lo, s29, v7, vcc_lo
	global_load_b32 v0, v[6:7], off
	s_waitcnt vmcnt(0)
	v_subrev_nc_u32_e32 v6, s33, v0
	v_mov_b32_e32 v0, 0
	v_ashrrev_i32_e32 v7, 31, v6
	s_delay_alu instid0(VALU_DEP_1) | instskip(NEXT) | instid1(VALU_DEP_1)
	v_lshlrev_b64 v[8:9], 2, v[6:7]
	v_add_co_u32 v10, vcc_lo, s8, v8
	s_delay_alu instid0(VALU_DEP_2)
	v_add_co_ci_u32_e32 v11, vcc_lo, s9, v9, vcc_lo
	v_add_co_u32 v8, vcc_lo, s10, v8
	v_add_co_ci_u32_e32 v9, vcc_lo, s11, v9, vcc_lo
	global_load_b32 v11, v[10:11], off
	global_load_b32 v12, v[8:9], off
	v_dual_mov_b32 v8, 0 :: v_dual_mov_b32 v9, 0
	s_waitcnt vmcnt(1)
	v_subrev_nc_u32_e32 v10, s43, v11
	s_waitcnt vmcnt(0)
	v_sub_nc_u32_e32 v25, v12, v11
	v_mov_b32_e32 v12, 0
	s_and_saveexec_b32 s4, s2
	s_cbranch_execz .LBB29_17
; %bb.10:                               ;   in Loop: Header=BB29_9 Depth=3
	v_ashrrev_i32_e32 v11, 31, v10
	v_mov_b32_e32 v12, 0
	s_mov_b32 s48, 0
                                        ; implicit-def: $sgpr49
	s_delay_alu instid0(VALU_DEP_2) | instskip(SKIP_1) | instid1(VALU_DEP_2)
	v_lshlrev_b64 v[8:9], 2, v[10:11]
	v_lshlrev_b64 v[26:27], 3, v[10:11]
	v_add_co_u32 v11, vcc_lo, s12, v8
	s_delay_alu instid0(VALU_DEP_3) | instskip(SKIP_1) | instid1(VALU_DEP_4)
	v_add_co_ci_u32_e32 v14, vcc_lo, s13, v9, vcc_lo
	v_mov_b32_e32 v9, 0
	v_add_co_u32 v26, vcc_lo, s14, v26
	v_add_co_ci_u32_e32 v27, vcc_lo, s15, v27, vcc_lo
	v_mov_b32_e32 v0, v12
	v_mov_b32_e32 v8, 0
	s_branch .LBB29_13
.LBB29_11:                              ;   in Loop: Header=BB29_13 Depth=4
	s_or_b32 exec_lo, exec_lo, s3
	v_cmp_le_i32_e32 vcc_lo, v28, v29
	v_cmp_ge_i32_e64 s3, v28, v29
	v_add_co_ci_u32_e32 v0, vcc_lo, 0, v0, vcc_lo
	s_delay_alu instid0(VALU_DEP_2) | instskip(SKIP_1) | instid1(VALU_DEP_2)
	v_add_co_ci_u32_e64 v12, s3, 0, v12, s3
	s_and_not1_b32 s3, s49, exec_lo
	v_cmp_ge_i32_e32 vcc_lo, v0, v20
	s_and_b32 s49, vcc_lo, exec_lo
	s_delay_alu instid0(SALU_CYCLE_1)
	s_or_b32 s49, s3, s49
.LBB29_12:                              ;   in Loop: Header=BB29_13 Depth=4
	s_or_b32 exec_lo, exec_lo, s50
	s_delay_alu instid0(SALU_CYCLE_1) | instskip(NEXT) | instid1(SALU_CYCLE_1)
	s_and_b32 s3, exec_lo, s49
	s_or_b32 s48, s3, s48
	s_delay_alu instid0(SALU_CYCLE_1)
	s_and_not1_b32 exec_lo, exec_lo, s48
	s_cbranch_execz .LBB29_16
.LBB29_13:                              ;   Parent Loop BB29_3 Depth=1
                                        ;     Parent Loop BB29_5 Depth=2
                                        ;       Parent Loop BB29_9 Depth=3
                                        ; =>      This Inner Loop Header: Depth=4
	s_or_b32 s49, s49, exec_lo
	s_mov_b32 s50, exec_lo
	v_cmpx_lt_i32_e64 v12, v25
	s_cbranch_execz .LBB29_12
; %bb.14:                               ;   in Loop: Header=BB29_13 Depth=4
	v_mov_b32_e32 v13, v1
	v_lshlrev_b64 v[28:29], 2, v[0:1]
	s_mov_b32 s3, exec_lo
	s_delay_alu instid0(VALU_DEP_2) | instskip(NEXT) | instid1(VALU_DEP_2)
	v_lshlrev_b64 v[30:31], 2, v[12:13]
	v_add_co_u32 v28, vcc_lo, v21, v28
	s_delay_alu instid0(VALU_DEP_3) | instskip(NEXT) | instid1(VALU_DEP_3)
	v_add_co_ci_u32_e32 v29, vcc_lo, v22, v29, vcc_lo
	v_add_co_u32 v30, vcc_lo, v11, v30
	s_delay_alu instid0(VALU_DEP_4)
	v_add_co_ci_u32_e32 v31, vcc_lo, v14, v31, vcc_lo
	global_load_b32 v28, v[28:29], off
	global_load_b32 v29, v[30:31], off
	s_waitcnt vmcnt(1)
	v_subrev_nc_u32_e32 v28, s42, v28
	s_waitcnt vmcnt(0)
	v_subrev_nc_u32_e32 v29, s43, v29
	s_delay_alu instid0(VALU_DEP_1)
	v_cmpx_eq_u32_e64 v28, v29
	s_cbranch_execz .LBB29_11
; %bb.15:                               ;   in Loop: Header=BB29_13 Depth=4
	v_lshlrev_b64 v[30:31], 3, v[0:1]
	v_lshlrev_b64 v[32:33], 3, v[12:13]
	s_delay_alu instid0(VALU_DEP_2) | instskip(NEXT) | instid1(VALU_DEP_3)
	v_add_co_u32 v30, vcc_lo, v23, v30
	v_add_co_ci_u32_e32 v31, vcc_lo, v24, v31, vcc_lo
	s_delay_alu instid0(VALU_DEP_3) | instskip(NEXT) | instid1(VALU_DEP_4)
	v_add_co_u32 v32, vcc_lo, v26, v32
	v_add_co_ci_u32_e32 v33, vcc_lo, v27, v33, vcc_lo
	global_load_b64 v[30:31], v[30:31], off
	global_load_b64 v[32:33], v[32:33], off
	s_waitcnt vmcnt(0)
	v_fmac_f32_e32 v8, v30, v32
	v_fmac_f32_e32 v9, v31, v32
	s_delay_alu instid0(VALU_DEP_2) | instskip(NEXT) | instid1(VALU_DEP_2)
	v_fma_f32 v8, -v31, v33, v8
	v_fmac_f32_e32 v9, v30, v33
	s_branch .LBB29_11
.LBB29_16:                              ;   in Loop: Header=BB29_9 Depth=3
	s_or_b32 exec_lo, exec_lo, s48
.LBB29_17:                              ;   in Loop: Header=BB29_9 Depth=3
	s_delay_alu instid0(SALU_CYCLE_1) | instskip(SKIP_3) | instid1(VALU_DEP_2)
	s_or_b32 exec_lo, exec_lo, s4
	v_lshlrev_b64 v[13:14], 3, v[3:4]
	v_cmp_le_i32_e64 s3, v2, v6
	s_mov_b32 s48, exec_lo
	v_add_co_u32 v13, vcc_lo, s30, v13
	s_delay_alu instid0(VALU_DEP_3)
	v_add_co_ci_u32_e32 v14, vcc_lo, s31, v14, vcc_lo
	global_load_b64 v[13:14], v[13:14], off
	s_waitcnt vmcnt(0)
	v_dual_sub_f32 v8, v13, v8 :: v_dual_sub_f32 v9, v14, v9
	v_cmpx_gt_i32_e64 v2, v6
	s_cbranch_execz .LBB29_27
; %bb.18:                               ;   in Loop: Header=BB29_9 Depth=3
	v_lshlrev_b64 v[13:14], 3, v[6:7]
                                        ; implicit-def: $vgpr26
	s_mov_b32 s4, exec_lo
	s_delay_alu instid0(VALU_DEP_1) | instskip(NEXT) | instid1(VALU_DEP_2)
	v_add_co_u32 v13, vcc_lo, s36, v13
	v_add_co_ci_u32_e32 v14, vcc_lo, s37, v14, vcc_lo
	global_load_b64 v[13:14], v[13:14], off
	s_waitcnt vmcnt(0)
	v_cmp_gt_f32_e32 vcc_lo, 0, v13
	v_cndmask_b32_e64 v4, v13, -v13, vcc_lo
	v_cmp_gt_f32_e32 vcc_lo, 0, v14
	v_cndmask_b32_e64 v11, v14, -v14, vcc_lo
	s_delay_alu instid0(VALU_DEP_1)
	v_cmpx_ngt_f32_e32 v4, v11
	s_xor_b32 s49, exec_lo, s4
	s_cbranch_execz .LBB29_22
; %bb.19:                               ;   in Loop: Header=BB29_9 Depth=3
	v_mov_b32_e32 v26, 0
	s_mov_b32 s50, exec_lo
	v_cmpx_neq_f32_e32 0, v14
	s_cbranch_execz .LBB29_21
; %bb.20:                               ;   in Loop: Header=BB29_9 Depth=3
	v_div_scale_f32 v26, null, v11, v11, v4
	v_div_scale_f32 v29, vcc_lo, v4, v11, v4
	s_delay_alu instid0(VALU_DEP_2) | instskip(SKIP_2) | instid1(VALU_DEP_1)
	v_rcp_f32_e32 v27, v26
	s_waitcnt_depctr 0xfff
	v_fma_f32 v28, -v26, v27, 1.0
	v_fmac_f32_e32 v27, v28, v27
	s_delay_alu instid0(VALU_DEP_1) | instskip(NEXT) | instid1(VALU_DEP_1)
	v_mul_f32_e32 v28, v29, v27
	v_fma_f32 v30, -v26, v28, v29
	s_delay_alu instid0(VALU_DEP_1) | instskip(NEXT) | instid1(VALU_DEP_1)
	v_fmac_f32_e32 v28, v30, v27
	v_fma_f32 v26, -v26, v28, v29
	s_delay_alu instid0(VALU_DEP_1) | instskip(NEXT) | instid1(VALU_DEP_1)
	v_div_fmas_f32 v26, v26, v27, v28
	v_div_fixup_f32 v4, v26, v11, v4
	s_delay_alu instid0(VALU_DEP_1) | instskip(NEXT) | instid1(VALU_DEP_1)
	v_fma_f32 v4, v4, v4, 1.0
	v_mul_f32_e32 v26, 0x4f800000, v4
	v_cmp_gt_f32_e32 vcc_lo, 0xf800000, v4
	s_delay_alu instid0(VALU_DEP_2) | instskip(NEXT) | instid1(VALU_DEP_1)
	v_cndmask_b32_e32 v4, v4, v26, vcc_lo
	v_sqrt_f32_e32 v26, v4
	s_waitcnt_depctr 0xfff
	v_add_nc_u32_e32 v27, -1, v26
	v_add_nc_u32_e32 v28, 1, v26
	s_delay_alu instid0(VALU_DEP_2) | instskip(NEXT) | instid1(VALU_DEP_2)
	v_fma_f32 v29, -v27, v26, v4
	v_fma_f32 v30, -v28, v26, v4
	s_delay_alu instid0(VALU_DEP_2) | instskip(NEXT) | instid1(VALU_DEP_1)
	v_cmp_ge_f32_e64 s4, 0, v29
	v_cndmask_b32_e64 v26, v26, v27, s4
	s_delay_alu instid0(VALU_DEP_3) | instskip(NEXT) | instid1(VALU_DEP_1)
	v_cmp_lt_f32_e64 s4, 0, v30
	v_cndmask_b32_e64 v26, v26, v28, s4
	s_delay_alu instid0(VALU_DEP_1) | instskip(NEXT) | instid1(VALU_DEP_1)
	v_mul_f32_e32 v27, 0x37800000, v26
	v_cndmask_b32_e32 v26, v26, v27, vcc_lo
	v_cmp_class_f32_e64 vcc_lo, v4, 0x260
	s_delay_alu instid0(VALU_DEP_2) | instskip(NEXT) | instid1(VALU_DEP_1)
	v_cndmask_b32_e32 v4, v26, v4, vcc_lo
	v_mul_f32_e32 v26, v11, v4
.LBB29_21:                              ;   in Loop: Header=BB29_9 Depth=3
	s_or_b32 exec_lo, exec_lo, s50
                                        ; implicit-def: $vgpr4
                                        ; implicit-def: $vgpr11
.LBB29_22:                              ;   in Loop: Header=BB29_9 Depth=3
	s_and_not1_saveexec_b32 s49, s49
	s_cbranch_execz .LBB29_24
; %bb.23:                               ;   in Loop: Header=BB29_9 Depth=3
	v_div_scale_f32 v26, null, v4, v4, v11
	v_div_scale_f32 v29, vcc_lo, v11, v4, v11
	s_delay_alu instid0(VALU_DEP_2) | instskip(SKIP_2) | instid1(VALU_DEP_1)
	v_rcp_f32_e32 v27, v26
	s_waitcnt_depctr 0xfff
	v_fma_f32 v28, -v26, v27, 1.0
	v_fmac_f32_e32 v27, v28, v27
	s_delay_alu instid0(VALU_DEP_1) | instskip(NEXT) | instid1(VALU_DEP_1)
	v_mul_f32_e32 v28, v29, v27
	v_fma_f32 v30, -v26, v28, v29
	s_delay_alu instid0(VALU_DEP_1) | instskip(NEXT) | instid1(VALU_DEP_1)
	v_fmac_f32_e32 v28, v30, v27
	v_fma_f32 v26, -v26, v28, v29
	s_delay_alu instid0(VALU_DEP_1) | instskip(NEXT) | instid1(VALU_DEP_1)
	v_div_fmas_f32 v26, v26, v27, v28
	v_div_fixup_f32 v11, v26, v4, v11
	s_delay_alu instid0(VALU_DEP_1) | instskip(NEXT) | instid1(VALU_DEP_1)
	v_fma_f32 v11, v11, v11, 1.0
	v_mul_f32_e32 v26, 0x4f800000, v11
	v_cmp_gt_f32_e32 vcc_lo, 0xf800000, v11
	s_delay_alu instid0(VALU_DEP_2) | instskip(NEXT) | instid1(VALU_DEP_1)
	v_cndmask_b32_e32 v11, v11, v26, vcc_lo
	v_sqrt_f32_e32 v26, v11
	s_waitcnt_depctr 0xfff
	v_add_nc_u32_e32 v27, -1, v26
	v_add_nc_u32_e32 v28, 1, v26
	s_delay_alu instid0(VALU_DEP_2) | instskip(NEXT) | instid1(VALU_DEP_2)
	v_fma_f32 v29, -v27, v26, v11
	v_fma_f32 v30, -v28, v26, v11
	s_delay_alu instid0(VALU_DEP_2) | instskip(NEXT) | instid1(VALU_DEP_1)
	v_cmp_ge_f32_e64 s4, 0, v29
	v_cndmask_b32_e64 v26, v26, v27, s4
	s_delay_alu instid0(VALU_DEP_3) | instskip(NEXT) | instid1(VALU_DEP_1)
	v_cmp_lt_f32_e64 s4, 0, v30
	v_cndmask_b32_e64 v26, v26, v28, s4
	s_delay_alu instid0(VALU_DEP_1) | instskip(NEXT) | instid1(VALU_DEP_1)
	v_mul_f32_e32 v27, 0x37800000, v26
	v_cndmask_b32_e32 v26, v26, v27, vcc_lo
	v_cmp_class_f32_e64 vcc_lo, v11, 0x260
	s_delay_alu instid0(VALU_DEP_2) | instskip(NEXT) | instid1(VALU_DEP_1)
	v_cndmask_b32_e32 v11, v26, v11, vcc_lo
	v_mul_f32_e32 v26, v4, v11
.LBB29_24:                              ;   in Loop: Header=BB29_9 Depth=3
	s_or_b32 exec_lo, exec_lo, s49
	v_dual_mov_b32 v4, 0 :: v_dual_mov_b32 v11, 0
	s_mov_b32 s4, exec_lo
	s_delay_alu instid0(VALU_DEP_2)
	v_cmpx_lt_f32_e32 0, v26
	s_cbranch_execz .LBB29_26
; %bb.25:                               ;   in Loop: Header=BB29_9 Depth=3
	v_mul_f32_e32 v4, v14, v14
	s_delay_alu instid0(VALU_DEP_1) | instskip(NEXT) | instid1(VALU_DEP_1)
	v_fmac_f32_e32 v4, v13, v13
	v_div_scale_f32 v11, null, v4, v4, 1.0
	v_div_scale_f32 v28, vcc_lo, 1.0, v4, 1.0
	s_delay_alu instid0(VALU_DEP_2) | instskip(SKIP_2) | instid1(VALU_DEP_1)
	v_rcp_f32_e32 v26, v11
	s_waitcnt_depctr 0xfff
	v_fma_f32 v27, -v11, v26, 1.0
	v_fmac_f32_e32 v26, v27, v26
	s_delay_alu instid0(VALU_DEP_1) | instskip(NEXT) | instid1(VALU_DEP_1)
	v_mul_f32_e32 v27, v28, v26
	v_fma_f32 v29, -v11, v27, v28
	s_delay_alu instid0(VALU_DEP_1) | instskip(NEXT) | instid1(VALU_DEP_1)
	v_fmac_f32_e32 v27, v29, v26
	v_fma_f32 v11, -v11, v27, v28
	v_mul_f32_e32 v28, v9, v14
	v_mul_f32_e64 v14, v14, -v8
	s_delay_alu instid0(VALU_DEP_2) | instskip(NEXT) | instid1(VALU_DEP_4)
	v_fmac_f32_e32 v28, v8, v13
	v_div_fmas_f32 v11, v11, v26, v27
	s_delay_alu instid0(VALU_DEP_3) | instskip(NEXT) | instid1(VALU_DEP_2)
	v_fmac_f32_e32 v14, v9, v13
	v_div_fixup_f32 v8, v11, v4, 1.0
	s_delay_alu instid0(VALU_DEP_1) | instskip(NEXT) | instid1(VALU_DEP_3)
	v_mul_f32_e32 v4, v28, v8
	v_mul_f32_e32 v11, v14, v8
.LBB29_26:                              ;   in Loop: Header=BB29_9 Depth=3
	s_or_b32 exec_lo, exec_lo, s4
	s_delay_alu instid0(VALU_DEP_1)
	v_dual_mov_b32 v8, v4 :: v_dual_mov_b32 v9, v11
.LBB29_27:                              ;   in Loop: Header=BB29_9 Depth=3
	s_or_b32 exec_lo, exec_lo, s48
	s_delay_alu instid0(VALU_DEP_1) | instskip(SKIP_4) | instid1(VALU_DEP_1)
	v_cmp_gt_f32_e32 vcc_lo, 0, v8
                                        ; implicit-def: $vgpr13
	s_mov_b32 s4, exec_lo
	v_cndmask_b32_e64 v4, v8, -v8, vcc_lo
	v_cmp_gt_f32_e32 vcc_lo, 0, v9
	v_cndmask_b32_e64 v11, v9, -v9, vcc_lo
	v_cmpx_ngt_f32_e32 v4, v11
	s_xor_b32 s48, exec_lo, s4
	s_cbranch_execnz .LBB29_30
; %bb.28:                               ;   in Loop: Header=BB29_9 Depth=3
	s_and_not1_saveexec_b32 s48, s48
	s_cbranch_execnz .LBB29_33
.LBB29_29:                              ;   in Loop: Header=BB29_9 Depth=3
	s_or_b32 exec_lo, exec_lo, s48
	v_cmp_class_f32_e64 s48, v13, 0x1f8
	s_delay_alu instid0(VALU_DEP_1)
	s_and_saveexec_b32 s4, s48
	s_cbranch_execz .LBB29_8
	s_branch .LBB29_34
.LBB29_30:                              ;   in Loop: Header=BB29_9 Depth=3
	v_mov_b32_e32 v13, 0
	s_mov_b32 s49, exec_lo
	v_cmpx_neq_f32_e32 0, v9
	s_cbranch_execz .LBB29_32
; %bb.31:                               ;   in Loop: Header=BB29_9 Depth=3
	v_div_scale_f32 v13, null, v11, v11, v4
	v_div_scale_f32 v27, vcc_lo, v4, v11, v4
	s_delay_alu instid0(VALU_DEP_2) | instskip(SKIP_2) | instid1(VALU_DEP_1)
	v_rcp_f32_e32 v14, v13
	s_waitcnt_depctr 0xfff
	v_fma_f32 v26, -v13, v14, 1.0
	v_fmac_f32_e32 v14, v26, v14
	s_delay_alu instid0(VALU_DEP_1) | instskip(NEXT) | instid1(VALU_DEP_1)
	v_mul_f32_e32 v26, v27, v14
	v_fma_f32 v28, -v13, v26, v27
	s_delay_alu instid0(VALU_DEP_1) | instskip(NEXT) | instid1(VALU_DEP_1)
	v_fmac_f32_e32 v26, v28, v14
	v_fma_f32 v13, -v13, v26, v27
	s_delay_alu instid0(VALU_DEP_1) | instskip(NEXT) | instid1(VALU_DEP_1)
	v_div_fmas_f32 v13, v13, v14, v26
	v_div_fixup_f32 v4, v13, v11, v4
	s_delay_alu instid0(VALU_DEP_1) | instskip(NEXT) | instid1(VALU_DEP_1)
	v_fma_f32 v4, v4, v4, 1.0
	v_mul_f32_e32 v13, 0x4f800000, v4
	v_cmp_gt_f32_e32 vcc_lo, 0xf800000, v4
	s_delay_alu instid0(VALU_DEP_2) | instskip(NEXT) | instid1(VALU_DEP_1)
	v_cndmask_b32_e32 v4, v4, v13, vcc_lo
	v_sqrt_f32_e32 v13, v4
	s_waitcnt_depctr 0xfff
	v_add_nc_u32_e32 v14, -1, v13
	v_add_nc_u32_e32 v26, 1, v13
	s_delay_alu instid0(VALU_DEP_2) | instskip(NEXT) | instid1(VALU_DEP_2)
	v_fma_f32 v27, -v14, v13, v4
	v_fma_f32 v28, -v26, v13, v4
	s_delay_alu instid0(VALU_DEP_2) | instskip(NEXT) | instid1(VALU_DEP_1)
	v_cmp_ge_f32_e64 s4, 0, v27
	v_cndmask_b32_e64 v13, v13, v14, s4
	s_delay_alu instid0(VALU_DEP_3) | instskip(NEXT) | instid1(VALU_DEP_1)
	v_cmp_lt_f32_e64 s4, 0, v28
	v_cndmask_b32_e64 v13, v13, v26, s4
	s_delay_alu instid0(VALU_DEP_1) | instskip(NEXT) | instid1(VALU_DEP_1)
	v_mul_f32_e32 v14, 0x37800000, v13
	v_cndmask_b32_e32 v13, v13, v14, vcc_lo
	v_cmp_class_f32_e64 vcc_lo, v4, 0x260
	s_delay_alu instid0(VALU_DEP_2) | instskip(NEXT) | instid1(VALU_DEP_1)
	v_cndmask_b32_e32 v4, v13, v4, vcc_lo
	v_mul_f32_e32 v13, v11, v4
.LBB29_32:                              ;   in Loop: Header=BB29_9 Depth=3
	s_or_b32 exec_lo, exec_lo, s49
                                        ; implicit-def: $vgpr4
                                        ; implicit-def: $vgpr11
	s_and_not1_saveexec_b32 s48, s48
	s_cbranch_execz .LBB29_29
.LBB29_33:                              ;   in Loop: Header=BB29_9 Depth=3
	v_div_scale_f32 v13, null, v4, v4, v11
	v_div_scale_f32 v27, vcc_lo, v11, v4, v11
	s_delay_alu instid0(VALU_DEP_2) | instskip(SKIP_2) | instid1(VALU_DEP_1)
	v_rcp_f32_e32 v14, v13
	s_waitcnt_depctr 0xfff
	v_fma_f32 v26, -v13, v14, 1.0
	v_fmac_f32_e32 v14, v26, v14
	s_delay_alu instid0(VALU_DEP_1) | instskip(NEXT) | instid1(VALU_DEP_1)
	v_mul_f32_e32 v26, v27, v14
	v_fma_f32 v28, -v13, v26, v27
	s_delay_alu instid0(VALU_DEP_1) | instskip(NEXT) | instid1(VALU_DEP_1)
	v_fmac_f32_e32 v26, v28, v14
	v_fma_f32 v13, -v13, v26, v27
	s_delay_alu instid0(VALU_DEP_1) | instskip(NEXT) | instid1(VALU_DEP_1)
	v_div_fmas_f32 v13, v13, v14, v26
	v_div_fixup_f32 v11, v13, v4, v11
	s_delay_alu instid0(VALU_DEP_1) | instskip(NEXT) | instid1(VALU_DEP_1)
	v_fma_f32 v11, v11, v11, 1.0
	v_mul_f32_e32 v13, 0x4f800000, v11
	v_cmp_gt_f32_e32 vcc_lo, 0xf800000, v11
	s_delay_alu instid0(VALU_DEP_2) | instskip(NEXT) | instid1(VALU_DEP_1)
	v_cndmask_b32_e32 v11, v11, v13, vcc_lo
	v_sqrt_f32_e32 v13, v11
	s_waitcnt_depctr 0xfff
	v_add_nc_u32_e32 v14, -1, v13
	v_add_nc_u32_e32 v26, 1, v13
	s_delay_alu instid0(VALU_DEP_2) | instskip(NEXT) | instid1(VALU_DEP_2)
	v_fma_f32 v27, -v14, v13, v11
	v_fma_f32 v28, -v26, v13, v11
	s_delay_alu instid0(VALU_DEP_2) | instskip(NEXT) | instid1(VALU_DEP_1)
	v_cmp_ge_f32_e64 s4, 0, v27
	v_cndmask_b32_e64 v13, v13, v14, s4
	s_delay_alu instid0(VALU_DEP_3) | instskip(NEXT) | instid1(VALU_DEP_1)
	v_cmp_lt_f32_e64 s4, 0, v28
	v_cndmask_b32_e64 v13, v13, v26, s4
	s_delay_alu instid0(VALU_DEP_1) | instskip(NEXT) | instid1(VALU_DEP_1)
	v_mul_f32_e32 v14, 0x37800000, v13
	v_cndmask_b32_e32 v13, v13, v14, vcc_lo
	v_cmp_class_f32_e64 vcc_lo, v11, 0x260
	s_delay_alu instid0(VALU_DEP_2) | instskip(NEXT) | instid1(VALU_DEP_1)
	v_cndmask_b32_e32 v11, v13, v11, vcc_lo
	v_mul_f32_e32 v13, v4, v11
	s_or_b32 exec_lo, exec_lo, s48
	s_delay_alu instid0(VALU_DEP_1) | instskip(NEXT) | instid1(VALU_DEP_1)
	v_cmp_class_f32_e64 s48, v13, 0x1f8
	s_and_saveexec_b32 s4, s48
	s_cbranch_execz .LBB29_8
.LBB29_34:                              ;   in Loop: Header=BB29_9 Depth=3
	s_mov_b32 s48, 0
                                        ; implicit-def: $vgpr13_vgpr14
	s_and_saveexec_b32 s49, s3
	s_delay_alu instid0(SALU_CYCLE_1)
	s_xor_b32 s3, exec_lo, s49
	s_cbranch_execnz .LBB29_37
; %bb.35:                               ;   in Loop: Header=BB29_9 Depth=3
	s_and_not1_saveexec_b32 s3, s3
	s_cbranch_execnz .LBB29_50
.LBB29_36:                              ;   in Loop: Header=BB29_9 Depth=3
	s_or_b32 exec_lo, exec_lo, s3
	s_delay_alu instid0(SALU_CYCLE_1)
	s_and_b32 exec_lo, exec_lo, s48
	s_cbranch_execz .LBB29_8
	s_branch .LBB29_59
.LBB29_37:                              ;   in Loop: Header=BB29_9 Depth=3
	s_mov_b32 s49, exec_lo
                                        ; implicit-def: $vgpr13_vgpr14
	v_cmpx_ge_i32_e64 v2, v6
	s_xor_b32 s49, exec_lo, s49
; %bb.38:                               ;   in Loop: Header=BB29_9 Depth=3
	v_lshlrev_b64 v[6:7], 3, v[6:7]
	s_mov_b32 s48, exec_lo
                                        ; implicit-def: $vgpr12
                                        ; implicit-def: $vgpr25
                                        ; implicit-def: $vgpr10
	s_delay_alu instid0(VALU_DEP_1) | instskip(NEXT) | instid1(VALU_DEP_2)
	v_add_co_u32 v13, vcc_lo, s38, v6
	v_add_co_ci_u32_e32 v14, vcc_lo, s39, v7, vcc_lo
; %bb.39:                               ;   in Loop: Header=BB29_9 Depth=3
	s_and_not1_saveexec_b32 s49, s49
	s_cbranch_execz .LBB29_49
; %bb.40:                               ;   in Loop: Header=BB29_9 Depth=3
	s_mov_b32 s51, s48
	s_mov_b32 s50, exec_lo
                                        ; implicit-def: $vgpr13_vgpr14
	v_cmpx_lt_i32_e64 v12, v25
	s_cbranch_execz .LBB29_48
; %bb.41:                               ;   in Loop: Header=BB29_9 Depth=3
	s_mov_b32 s52, 0
                                        ; implicit-def: $sgpr51
                                        ; implicit-def: $sgpr54
                                        ; implicit-def: $sgpr53
	s_set_inst_prefetch_distance 0x1
	s_branch .LBB29_43
	.p2align	6
.LBB29_42:                              ;   in Loop: Header=BB29_43 Depth=4
	s_or_b32 exec_lo, exec_lo, s55
	s_delay_alu instid0(SALU_CYCLE_1) | instskip(NEXT) | instid1(SALU_CYCLE_1)
	s_and_b32 s55, exec_lo, s54
	s_or_b32 s52, s55, s52
	s_and_not1_b32 s51, s51, exec_lo
	s_and_b32 s55, s53, exec_lo
	s_delay_alu instid0(SALU_CYCLE_1)
	s_or_b32 s51, s51, s55
	s_and_not1_b32 exec_lo, exec_lo, s52
	s_cbranch_execz .LBB29_45
.LBB29_43:                              ;   Parent Loop BB29_3 Depth=1
                                        ;     Parent Loop BB29_5 Depth=2
                                        ;       Parent Loop BB29_9 Depth=3
                                        ; =>      This Inner Loop Header: Depth=4
	v_add_nc_u32_e32 v6, v10, v12
	s_or_b32 s53, s53, exec_lo
	s_or_b32 s54, s54, exec_lo
	s_mov_b32 s55, exec_lo
	s_delay_alu instid0(VALU_DEP_1) | instskip(NEXT) | instid1(VALU_DEP_1)
	v_ashrrev_i32_e32 v7, 31, v6
	v_lshlrev_b64 v[13:14], 2, v[6:7]
	s_delay_alu instid0(VALU_DEP_1) | instskip(NEXT) | instid1(VALU_DEP_2)
	v_add_co_u32 v13, vcc_lo, s12, v13
	v_add_co_ci_u32_e32 v14, vcc_lo, s13, v14, vcc_lo
	global_load_b32 v0, v[13:14], off
	s_waitcnt vmcnt(0)
	v_subrev_nc_u32_e32 v0, s43, v0
	s_delay_alu instid0(VALU_DEP_1)
	v_cmpx_ne_u32_e64 v0, v2
	s_cbranch_execz .LBB29_42
; %bb.44:                               ;   in Loop: Header=BB29_43 Depth=4
	v_add_nc_u32_e32 v12, 1, v12
	s_and_not1_b32 s54, s54, exec_lo
	s_and_not1_b32 s53, s53, exec_lo
	s_delay_alu instid0(VALU_DEP_1) | instskip(SKIP_1) | instid1(SALU_CYCLE_1)
	v_cmp_ge_i32_e32 vcc_lo, v12, v25
	s_and_b32 s56, vcc_lo, exec_lo
	s_or_b32 s54, s54, s56
	s_branch .LBB29_42
.LBB29_45:                              ;   in Loop: Header=BB29_9 Depth=3
	s_set_inst_prefetch_distance 0x2
	s_or_b32 exec_lo, exec_lo, s52
	s_mov_b32 s52, s48
                                        ; implicit-def: $vgpr13_vgpr14
	s_and_saveexec_b32 s53, s51
	s_delay_alu instid0(SALU_CYCLE_1)
	s_xor_b32 s51, exec_lo, s53
; %bb.46:                               ;   in Loop: Header=BB29_9 Depth=3
	v_lshlrev_b64 v[6:7], 3, v[6:7]
	s_or_b32 s52, s48, exec_lo
	s_delay_alu instid0(VALU_DEP_1) | instskip(NEXT) | instid1(VALU_DEP_2)
	v_add_co_u32 v13, vcc_lo, s34, v6
	v_add_co_ci_u32_e32 v14, vcc_lo, s35, v7, vcc_lo
; %bb.47:                               ;   in Loop: Header=BB29_9 Depth=3
	s_or_b32 exec_lo, exec_lo, s51
	s_delay_alu instid0(SALU_CYCLE_1) | instskip(SKIP_1) | instid1(SALU_CYCLE_1)
	s_and_not1_b32 s51, s48, exec_lo
	s_and_b32 s52, s52, exec_lo
	s_or_b32 s51, s51, s52
.LBB29_48:                              ;   in Loop: Header=BB29_9 Depth=3
	s_or_b32 exec_lo, exec_lo, s50
	s_delay_alu instid0(SALU_CYCLE_1) | instskip(SKIP_1) | instid1(SALU_CYCLE_1)
	s_and_not1_b32 s48, s48, exec_lo
	s_and_b32 s50, s51, exec_lo
	s_or_b32 s48, s48, s50
.LBB29_49:                              ;   in Loop: Header=BB29_9 Depth=3
	s_or_b32 exec_lo, exec_lo, s49
	s_delay_alu instid0(SALU_CYCLE_1)
	s_and_b32 s48, s48, exec_lo
                                        ; implicit-def: $vgpr6_vgpr7
	s_and_not1_saveexec_b32 s3, s3
	s_cbranch_execz .LBB29_36
.LBB29_50:                              ;   in Loop: Header=BB29_9 Depth=3
	s_mov_b32 s50, s48
	s_mov_b32 s49, exec_lo
                                        ; implicit-def: $vgpr13_vgpr14
	v_cmpx_lt_i32_e64 v0, v20
	s_cbranch_execz .LBB29_58
; %bb.51:                               ;   in Loop: Header=BB29_9 Depth=3
	s_mov_b32 s51, 0
                                        ; implicit-def: $sgpr50
                                        ; implicit-def: $sgpr53
                                        ; implicit-def: $sgpr52
	s_set_inst_prefetch_distance 0x1
	s_branch .LBB29_53
	.p2align	6
.LBB29_52:                              ;   in Loop: Header=BB29_53 Depth=4
	s_or_b32 exec_lo, exec_lo, s54
	s_delay_alu instid0(SALU_CYCLE_1) | instskip(NEXT) | instid1(SALU_CYCLE_1)
	s_and_b32 s54, exec_lo, s53
	s_or_b32 s51, s54, s51
	s_and_not1_b32 s50, s50, exec_lo
	s_and_b32 s54, s52, exec_lo
	s_delay_alu instid0(SALU_CYCLE_1)
	s_or_b32 s50, s50, s54
	s_and_not1_b32 exec_lo, exec_lo, s51
	s_cbranch_execz .LBB29_55
.LBB29_53:                              ;   Parent Loop BB29_3 Depth=1
                                        ;     Parent Loop BB29_5 Depth=2
                                        ;       Parent Loop BB29_9 Depth=3
                                        ; =>      This Inner Loop Header: Depth=4
	v_add_nc_u32_e32 v10, v5, v0
	s_or_b32 s52, s52, exec_lo
	s_or_b32 s53, s53, exec_lo
	s_mov_b32 s54, exec_lo
	s_delay_alu instid0(VALU_DEP_1) | instskip(NEXT) | instid1(VALU_DEP_1)
	v_ashrrev_i32_e32 v11, 31, v10
	v_lshlrev_b64 v[12:13], 2, v[10:11]
	s_delay_alu instid0(VALU_DEP_1) | instskip(NEXT) | instid1(VALU_DEP_2)
	v_add_co_u32 v12, vcc_lo, s20, v12
	v_add_co_ci_u32_e32 v13, vcc_lo, s21, v13, vcc_lo
	global_load_b32 v4, v[12:13], off
	s_waitcnt vmcnt(0)
	v_subrev_nc_u32_e32 v4, s42, v4
	s_delay_alu instid0(VALU_DEP_1)
	v_cmpx_ne_u32_e64 v4, v6
	s_cbranch_execz .LBB29_52
; %bb.54:                               ;   in Loop: Header=BB29_53 Depth=4
	v_add_nc_u32_e32 v0, 1, v0
	s_and_not1_b32 s53, s53, exec_lo
	s_and_not1_b32 s52, s52, exec_lo
	s_delay_alu instid0(VALU_DEP_1) | instskip(SKIP_1) | instid1(SALU_CYCLE_1)
	v_cmp_ge_i32_e32 vcc_lo, v0, v20
	s_and_b32 s55, vcc_lo, exec_lo
	s_or_b32 s53, s53, s55
	s_branch .LBB29_52
.LBB29_55:                              ;   in Loop: Header=BB29_9 Depth=3
	s_set_inst_prefetch_distance 0x2
	s_or_b32 exec_lo, exec_lo, s51
	s_mov_b32 s51, s48
                                        ; implicit-def: $vgpr13_vgpr14
	s_and_saveexec_b32 s52, s50
	s_delay_alu instid0(SALU_CYCLE_1)
	s_xor_b32 s50, exec_lo, s52
; %bb.56:                               ;   in Loop: Header=BB29_9 Depth=3
	v_lshlrev_b64 v[6:7], 3, v[10:11]
	s_or_b32 s51, s48, exec_lo
	s_delay_alu instid0(VALU_DEP_1) | instskip(NEXT) | instid1(VALU_DEP_2)
	v_add_co_u32 v13, vcc_lo, s40, v6
	v_add_co_ci_u32_e32 v14, vcc_lo, s41, v7, vcc_lo
; %bb.57:                               ;   in Loop: Header=BB29_9 Depth=3
	s_or_b32 exec_lo, exec_lo, s50
	s_delay_alu instid0(SALU_CYCLE_1) | instskip(SKIP_1) | instid1(SALU_CYCLE_1)
	s_and_not1_b32 s50, s48, exec_lo
	s_and_b32 s51, s51, exec_lo
	s_or_b32 s50, s50, s51
.LBB29_58:                              ;   in Loop: Header=BB29_9 Depth=3
	s_or_b32 exec_lo, exec_lo, s49
	s_delay_alu instid0(SALU_CYCLE_1) | instskip(SKIP_1) | instid1(SALU_CYCLE_1)
	s_and_not1_b32 s48, s48, exec_lo
	s_and_b32 s49, s50, exec_lo
	s_or_b32 s48, s48, s49
	s_or_b32 exec_lo, exec_lo, s3
	s_delay_alu instid0(SALU_CYCLE_1)
	s_and_b32 exec_lo, exec_lo, s48
	s_cbranch_execz .LBB29_8
.LBB29_59:                              ;   in Loop: Header=BB29_9 Depth=3
	global_store_b64 v[13:14], v[8:9], off
	s_branch .LBB29_8
.LBB29_60:                              ;   in Loop: Header=BB29_3 Depth=1
	s_and_saveexec_b32 s3, s0
	s_cbranch_execz .LBB29_2
; %bb.61:                               ;   in Loop: Header=BB29_3 Depth=1
	v_mov_b32_e32 v2, v15
	s_mov_b32 s4, 0
	s_branch .LBB29_63
.LBB29_62:                              ;   in Loop: Header=BB29_63 Depth=2
	s_or_b32 exec_lo, exec_lo, s45
	v_add_nc_u32_e32 v2, 0x200, v2
	s_delay_alu instid0(VALU_DEP_1) | instskip(SKIP_1) | instid1(SALU_CYCLE_1)
	v_cmp_le_u32_e32 vcc_lo, s44, v2
	s_or_b32 s4, vcc_lo, s4
	s_and_not1_b32 exec_lo, exec_lo, s4
	s_cbranch_execz .LBB29_2
.LBB29_63:                              ;   Parent Loop BB29_3 Depth=1
                                        ; =>  This Loop Header: Depth=2
                                        ;       Child Loop BB29_66 Depth 3
                                        ;       Child Loop BB29_69 Depth 3
	s_mov_b32 s45, exec_lo
	s_delay_alu instid0(VALU_DEP_1)
	v_cmpx_gt_i32_e64 s7, v2
	s_cbranch_execz .LBB29_62
; %bb.64:                               ;   in Loop: Header=BB29_63 Depth=2
	v_ashrrev_i32_e32 v3, 31, v2
	s_mov_b32 s46, exec_lo
	s_delay_alu instid0(VALU_DEP_1) | instskip(NEXT) | instid1(VALU_DEP_1)
	v_lshlrev_b64 v[4:5], 2, v[2:3]
	v_add_co_u32 v6, vcc_lo, s16, v4
	s_delay_alu instid0(VALU_DEP_2)
	v_add_co_ci_u32_e32 v7, vcc_lo, s17, v5, vcc_lo
	v_add_co_u32 v8, vcc_lo, s18, v4
	v_add_co_ci_u32_e32 v9, vcc_lo, s19, v5, vcc_lo
	global_load_b32 v0, v[6:7], off
	global_load_b32 v7, v[8:9], off
	s_waitcnt vmcnt(1)
	v_add_nc_u32_e32 v6, v17, v0
	s_waitcnt vmcnt(0)
	v_subrev_nc_u32_e32 v0, s42, v7
	s_delay_alu instid0(VALU_DEP_1)
	v_cmpx_lt_i32_e64 v6, v0
	s_cbranch_execz .LBB29_67
; %bb.65:                               ;   in Loop: Header=BB29_63 Depth=2
	v_ashrrev_i32_e32 v7, 31, v6
	s_mov_b32 s47, 0
	s_delay_alu instid0(VALU_DEP_1) | instskip(NEXT) | instid1(VALU_DEP_1)
	v_lshlrev_b64 v[9:10], 3, v[6:7]
	v_add_co_u32 v7, vcc_lo, s40, v9
	s_delay_alu instid0(VALU_DEP_2)
	v_add_co_ci_u32_e32 v8, vcc_lo, s41, v10, vcc_lo
	v_add_co_u32 v9, vcc_lo, s22, v9
	v_add_co_ci_u32_e32 v10, vcc_lo, s23, v10, vcc_lo
.LBB29_66:                              ;   Parent Loop BB29_3 Depth=1
                                        ;     Parent Loop BB29_63 Depth=2
                                        ; =>    This Inner Loop Header: Depth=3
	global_load_b64 v[11:12], v[7:8], off
	v_add_nc_u32_e32 v6, 2, v6
	v_add_co_u32 v7, vcc_lo, v7, 16
	v_add_co_ci_u32_e32 v8, vcc_lo, 0, v8, vcc_lo
	s_delay_alu instid0(VALU_DEP_3) | instskip(SKIP_4) | instid1(VALU_DEP_1)
	v_cmp_ge_i32_e32 vcc_lo, v6, v0
	s_or_b32 s47, vcc_lo, s47
	s_waitcnt vmcnt(0)
	global_store_b64 v[9:10], v[11:12], off
	v_add_co_u32 v9, s2, v9, 16
	v_add_co_ci_u32_e64 v10, s2, 0, v10, s2
	s_and_not1_b32 exec_lo, exec_lo, s47
	s_cbranch_execnz .LBB29_66
.LBB29_67:                              ;   in Loop: Header=BB29_63 Depth=2
	s_or_b32 exec_lo, exec_lo, s46
	v_add_co_u32 v6, vcc_lo, s8, v4
	v_add_co_ci_u32_e32 v7, vcc_lo, s9, v5, vcc_lo
	v_add_co_u32 v4, vcc_lo, s10, v4
	v_add_co_ci_u32_e32 v5, vcc_lo, s11, v5, vcc_lo
	s_mov_b32 s46, exec_lo
	global_load_b32 v0, v[6:7], off
	global_load_b32 v5, v[4:5], off
	s_waitcnt vmcnt(1)
	v_add_nc_u32_e32 v4, v18, v0
	s_waitcnt vmcnt(0)
	v_subrev_nc_u32_e32 v0, s43, v5
	s_delay_alu instid0(VALU_DEP_1)
	v_cmpx_lt_i32_e64 v4, v0
	s_cbranch_execz .LBB29_70
; %bb.68:                               ;   in Loop: Header=BB29_63 Depth=2
	v_ashrrev_i32_e32 v5, 31, v4
	s_mov_b32 s47, 0
	s_delay_alu instid0(VALU_DEP_1) | instskip(NEXT) | instid1(VALU_DEP_1)
	v_lshlrev_b64 v[7:8], 3, v[4:5]
	v_add_co_u32 v5, vcc_lo, s34, v7
	s_delay_alu instid0(VALU_DEP_2)
	v_add_co_ci_u32_e32 v6, vcc_lo, s35, v8, vcc_lo
	v_add_co_u32 v7, vcc_lo, s14, v7
	v_add_co_ci_u32_e32 v8, vcc_lo, s15, v8, vcc_lo
.LBB29_69:                              ;   Parent Loop BB29_3 Depth=1
                                        ;     Parent Loop BB29_63 Depth=2
                                        ; =>    This Inner Loop Header: Depth=3
	global_load_b64 v[9:10], v[5:6], off
	v_add_nc_u32_e32 v4, 2, v4
	v_add_co_u32 v5, vcc_lo, v5, 16
	v_add_co_ci_u32_e32 v6, vcc_lo, 0, v6, vcc_lo
	s_delay_alu instid0(VALU_DEP_3) | instskip(SKIP_4) | instid1(VALU_DEP_1)
	v_cmp_ge_i32_e32 vcc_lo, v4, v0
	s_or_b32 s47, vcc_lo, s47
	s_waitcnt vmcnt(0)
	global_store_b64 v[7:8], v[9:10], off
	v_add_co_u32 v7, s2, v7, 16
	v_add_co_ci_u32_e64 v8, s2, 0, v8, s2
	s_and_not1_b32 exec_lo, exec_lo, s47
	s_cbranch_execnz .LBB29_69
.LBB29_70:                              ;   in Loop: Header=BB29_63 Depth=2
	s_or_b32 exec_lo, exec_lo, s46
	s_delay_alu instid0(SALU_CYCLE_1)
	s_and_b32 exec_lo, exec_lo, s1
	s_cbranch_execz .LBB29_62
; %bb.71:                               ;   in Loop: Header=BB29_63 Depth=2
	v_lshlrev_b64 v[3:4], 3, v[2:3]
	s_delay_alu instid0(VALU_DEP_1) | instskip(NEXT) | instid1(VALU_DEP_2)
	v_add_co_u32 v5, vcc_lo, s38, v3
	v_add_co_ci_u32_e32 v6, vcc_lo, s39, v4, vcc_lo
	v_add_co_u32 v3, vcc_lo, s36, v3
	v_add_co_ci_u32_e32 v4, vcc_lo, s37, v4, vcc_lo
	global_load_b64 v[5:6], v[5:6], off
	s_waitcnt vmcnt(0)
	global_store_b64 v[3:4], v[5:6], off
	s_branch .LBB29_62
.LBB29_72:
	s_nop 0
	s_sendmsg sendmsg(MSG_DEALLOC_VGPRS)
	s_endpgm
	.section	.rodata,"a",@progbits
	.p2align	6, 0x0
	.amdhsa_kernel _ZN9rocsparseL14kernel_freerunILi1024ELi2E21rocsparse_complex_numIfEiiEEvT3_S3_T2_PKS4_S6_PKS3_PKT1_21rocsparse_index_base_S6_S6_S8_PS9_SD_SC_S6_S6_S8_SD_SD_SC_SD_SD_
		.amdhsa_group_segment_fixed_size 0
		.amdhsa_private_segment_fixed_size 0
		.amdhsa_kernarg_size 168
		.amdhsa_user_sgpr_count 15
		.amdhsa_user_sgpr_dispatch_ptr 0
		.amdhsa_user_sgpr_queue_ptr 0
		.amdhsa_user_sgpr_kernarg_segment_ptr 1
		.amdhsa_user_sgpr_dispatch_id 0
		.amdhsa_user_sgpr_private_segment_size 0
		.amdhsa_wavefront_size32 1
		.amdhsa_uses_dynamic_stack 0
		.amdhsa_enable_private_segment 0
		.amdhsa_system_sgpr_workgroup_id_x 1
		.amdhsa_system_sgpr_workgroup_id_y 0
		.amdhsa_system_sgpr_workgroup_id_z 0
		.amdhsa_system_sgpr_workgroup_info 0
		.amdhsa_system_vgpr_workitem_id 0
		.amdhsa_next_free_vgpr 34
		.amdhsa_next_free_sgpr 57
		.amdhsa_reserve_vcc 1
		.amdhsa_float_round_mode_32 0
		.amdhsa_float_round_mode_16_64 0
		.amdhsa_float_denorm_mode_32 3
		.amdhsa_float_denorm_mode_16_64 3
		.amdhsa_dx10_clamp 1
		.amdhsa_ieee_mode 1
		.amdhsa_fp16_overflow 0
		.amdhsa_workgroup_processor_mode 1
		.amdhsa_memory_ordered 1
		.amdhsa_forward_progress 0
		.amdhsa_shared_vgpr_count 0
		.amdhsa_exception_fp_ieee_invalid_op 0
		.amdhsa_exception_fp_denorm_src 0
		.amdhsa_exception_fp_ieee_div_zero 0
		.amdhsa_exception_fp_ieee_overflow 0
		.amdhsa_exception_fp_ieee_underflow 0
		.amdhsa_exception_fp_ieee_inexact 0
		.amdhsa_exception_int_div_zero 0
	.end_amdhsa_kernel
	.section	.text._ZN9rocsparseL14kernel_freerunILi1024ELi2E21rocsparse_complex_numIfEiiEEvT3_S3_T2_PKS4_S6_PKS3_PKT1_21rocsparse_index_base_S6_S6_S8_PS9_SD_SC_S6_S6_S8_SD_SD_SC_SD_SD_,"axG",@progbits,_ZN9rocsparseL14kernel_freerunILi1024ELi2E21rocsparse_complex_numIfEiiEEvT3_S3_T2_PKS4_S6_PKS3_PKT1_21rocsparse_index_base_S6_S6_S8_PS9_SD_SC_S6_S6_S8_SD_SD_SC_SD_SD_,comdat
.Lfunc_end29:
	.size	_ZN9rocsparseL14kernel_freerunILi1024ELi2E21rocsparse_complex_numIfEiiEEvT3_S3_T2_PKS4_S6_PKS3_PKT1_21rocsparse_index_base_S6_S6_S8_PS9_SD_SC_S6_S6_S8_SD_SD_SC_SD_SD_, .Lfunc_end29-_ZN9rocsparseL14kernel_freerunILi1024ELi2E21rocsparse_complex_numIfEiiEEvT3_S3_T2_PKS4_S6_PKS3_PKT1_21rocsparse_index_base_S6_S6_S8_PS9_SD_SC_S6_S6_S8_SD_SD_SC_SD_SD_
                                        ; -- End function
	.section	.AMDGPU.csdata,"",@progbits
; Kernel info:
; codeLenInByte = 3816
; NumSgprs: 59
; NumVgprs: 34
; ScratchSize: 0
; MemoryBound: 0
; FloatMode: 240
; IeeeMode: 1
; LDSByteSize: 0 bytes/workgroup (compile time only)
; SGPRBlocks: 7
; VGPRBlocks: 4
; NumSGPRsForWavesPerEU: 59
; NumVGPRsForWavesPerEU: 34
; Occupancy: 16
; WaveLimiterHint : 1
; COMPUTE_PGM_RSRC2:SCRATCH_EN: 0
; COMPUTE_PGM_RSRC2:USER_SGPR: 15
; COMPUTE_PGM_RSRC2:TRAP_HANDLER: 0
; COMPUTE_PGM_RSRC2:TGID_X_EN: 1
; COMPUTE_PGM_RSRC2:TGID_Y_EN: 0
; COMPUTE_PGM_RSRC2:TGID_Z_EN: 0
; COMPUTE_PGM_RSRC2:TIDIG_COMP_CNT: 0
	.section	.text._ZN9rocsparseL14kernel_freerunILi1024ELi4E21rocsparse_complex_numIfEiiEEvT3_S3_T2_PKS4_S6_PKS3_PKT1_21rocsparse_index_base_S6_S6_S8_PS9_SD_SC_S6_S6_S8_SD_SD_SC_SD_SD_,"axG",@progbits,_ZN9rocsparseL14kernel_freerunILi1024ELi4E21rocsparse_complex_numIfEiiEEvT3_S3_T2_PKS4_S6_PKS3_PKT1_21rocsparse_index_base_S6_S6_S8_PS9_SD_SC_S6_S6_S8_SD_SD_SC_SD_SD_,comdat
	.globl	_ZN9rocsparseL14kernel_freerunILi1024ELi4E21rocsparse_complex_numIfEiiEEvT3_S3_T2_PKS4_S6_PKS3_PKT1_21rocsparse_index_base_S6_S6_S8_PS9_SD_SC_S6_S6_S8_SD_SD_SC_SD_SD_ ; -- Begin function _ZN9rocsparseL14kernel_freerunILi1024ELi4E21rocsparse_complex_numIfEiiEEvT3_S3_T2_PKS4_S6_PKS3_PKT1_21rocsparse_index_base_S6_S6_S8_PS9_SD_SC_S6_S6_S8_SD_SD_SC_SD_SD_
	.p2align	8
	.type	_ZN9rocsparseL14kernel_freerunILi1024ELi4E21rocsparse_complex_numIfEiiEEvT3_S3_T2_PKS4_S6_PKS3_PKT1_21rocsparse_index_base_S6_S6_S8_PS9_SD_SC_S6_S6_S8_SD_SD_SC_SD_SD_,@function
_ZN9rocsparseL14kernel_freerunILi1024ELi4E21rocsparse_complex_numIfEiiEEvT3_S3_T2_PKS4_S6_PKS3_PKT1_21rocsparse_index_base_S6_S6_S8_PS9_SD_SC_S6_S6_S8_SD_SD_SC_SD_SD_: ; @_ZN9rocsparseL14kernel_freerunILi1024ELi4E21rocsparse_complex_numIfEiiEEvT3_S3_T2_PKS4_S6_PKS3_PKT1_21rocsparse_index_base_S6_S6_S8_PS9_SD_SC_S6_S6_S8_SD_SD_SC_SD_SD_
; %bb.0:
	s_load_b64 s[6:7], s[0:1], 0x0
	v_lshrrev_b32_e32 v1, 2, v0
	s_lshl_b32 s44, s15, 10
	s_mov_b32 s5, 0
	s_delay_alu instid0(VALU_DEP_1) | instskip(SKIP_1) | instid1(VALU_DEP_1)
	v_or_b32_e32 v15, s44, v1
	s_waitcnt lgkmcnt(0)
	v_cmp_gt_i32_e32 vcc_lo, s7, v15
	s_cmp_gt_i32 s6, 0
	s_cselect_b32 s2, -1, 0
	s_delay_alu instid0(SALU_CYCLE_1) | instskip(NEXT) | instid1(SALU_CYCLE_1)
	s_and_b32 s2, vcc_lo, s2
	s_and_saveexec_b32 s3, s2
	s_cbranch_execz .LBB30_72
; %bb.1:
	s_clause 0x8
	s_load_b32 s33, s[0:1], 0x30
	s_load_b32 s42, s[0:1], 0x60
	;; [unrolled: 1-line block ×3, first 2 shown]
	s_load_b64 s[34:35], s[0:1], 0x88
	s_load_b64 s[40:41], s[0:1], 0x58
	s_load_b128 s[36:39], s[0:1], 0x98
	s_load_b256 s[8:15], s[0:1], 0x68
	s_load_b256 s[16:23], s[0:1], 0x38
	;; [unrolled: 1-line block ×3, first 2 shown]
	v_dual_mov_b32 v1, 0 :: v_dual_and_b32 v0, 3, v0
	s_addk_i32 s44, 0x400
	s_delay_alu instid0(SALU_CYCLE_1) | instskip(NEXT) | instid1(VALU_DEP_2)
	v_cmp_gt_u32_e64 s0, s44, v15
	v_cmp_eq_u32_e64 s1, 0, v0
	s_waitcnt lgkmcnt(0)
	v_subrev_nc_u32_e32 v16, s33, v0
	v_subrev_nc_u32_e32 v17, s42, v0
	;; [unrolled: 1-line block ×3, first 2 shown]
	s_branch .LBB30_3
.LBB30_2:                               ;   in Loop: Header=BB30_3 Depth=1
	s_or_b32 exec_lo, exec_lo, s3
	s_add_i32 s5, s5, 1
	s_delay_alu instid0(SALU_CYCLE_1)
	s_cmp_eq_u32 s5, s6
	s_cbranch_scc1 .LBB30_72
.LBB30_3:                               ; =>This Loop Header: Depth=1
                                        ;     Child Loop BB30_5 Depth 2
                                        ;       Child Loop BB30_9 Depth 3
                                        ;         Child Loop BB30_13 Depth 4
                                        ;         Child Loop BB30_43 Depth 4
	;; [unrolled: 1-line block ×3, first 2 shown]
                                        ;     Child Loop BB30_63 Depth 2
                                        ;       Child Loop BB30_66 Depth 3
                                        ;       Child Loop BB30_69 Depth 3
	s_mov_b32 s45, 0
	s_branch .LBB30_5
.LBB30_4:                               ;   in Loop: Header=BB30_5 Depth=2
	s_or_b32 exec_lo, exec_lo, s46
	s_add_i32 s45, s45, 1
	s_delay_alu instid0(SALU_CYCLE_1)
	s_cmp_eq_u32 s45, 4
	s_cbranch_scc1 .LBB30_60
.LBB30_5:                               ;   Parent Loop BB30_3 Depth=1
                                        ; =>  This Loop Header: Depth=2
                                        ;       Child Loop BB30_9 Depth 3
                                        ;         Child Loop BB30_13 Depth 4
                                        ;         Child Loop BB30_43 Depth 4
	;; [unrolled: 1-line block ×3, first 2 shown]
	v_lshl_add_u32 v2, s45, 8, v15
	s_mov_b32 s46, exec_lo
	s_delay_alu instid0(VALU_DEP_1)
	v_cmpx_gt_i32_e64 s7, v2
	s_cbranch_execz .LBB30_4
; %bb.6:                                ;   in Loop: Header=BB30_5 Depth=2
	v_ashrrev_i32_e32 v3, 31, v2
	s_delay_alu instid0(VALU_DEP_1) | instskip(NEXT) | instid1(VALU_DEP_1)
	v_lshlrev_b64 v[4:5], 2, v[2:3]
	v_add_co_u32 v6, vcc_lo, s24, v4
	s_delay_alu instid0(VALU_DEP_2)
	v_add_co_ci_u32_e32 v7, vcc_lo, s25, v5, vcc_lo
	v_add_co_u32 v8, vcc_lo, s26, v4
	v_add_co_ci_u32_e32 v9, vcc_lo, s27, v5, vcc_lo
	global_load_b32 v0, v[6:7], off
	global_load_b32 v6, v[8:9], off
	s_waitcnt vmcnt(1)
	v_add_nc_u32_e32 v3, v16, v0
	s_waitcnt vmcnt(0)
	v_subrev_nc_u32_e32 v19, s33, v6
	s_delay_alu instid0(VALU_DEP_1)
	v_cmp_lt_i32_e32 vcc_lo, v3, v19
	s_and_b32 exec_lo, exec_lo, vcc_lo
	s_cbranch_execz .LBB30_4
; %bb.7:                                ;   in Loop: Header=BB30_5 Depth=2
	v_add_co_u32 v6, vcc_lo, s16, v4
	v_add_co_ci_u32_e32 v7, vcc_lo, s17, v5, vcc_lo
	v_add_co_u32 v4, vcc_lo, s18, v4
	v_add_co_ci_u32_e32 v5, vcc_lo, s19, v5, vcc_lo
	global_load_b32 v0, v[6:7], off
	s_mov_b32 s47, 0
	global_load_b32 v4, v[4:5], off
	s_waitcnt vmcnt(1)
	v_subrev_nc_u32_e32 v5, s42, v0
	s_waitcnt vmcnt(0)
	v_sub_nc_u32_e32 v20, v4, v0
	s_delay_alu instid0(VALU_DEP_2) | instskip(NEXT) | instid1(VALU_DEP_2)
	v_ashrrev_i32_e32 v6, 31, v5
	v_cmp_lt_i32_e64 s2, 0, v20
	s_delay_alu instid0(VALU_DEP_2) | instskip(SKIP_1) | instid1(VALU_DEP_2)
	v_lshlrev_b64 v[7:8], 2, v[5:6]
	v_lshlrev_b64 v[9:10], 3, v[5:6]
	v_add_co_u32 v21, vcc_lo, s20, v7
	s_delay_alu instid0(VALU_DEP_3) | instskip(NEXT) | instid1(VALU_DEP_3)
	v_add_co_ci_u32_e32 v22, vcc_lo, s21, v8, vcc_lo
	v_add_co_u32 v23, vcc_lo, s22, v9
	s_delay_alu instid0(VALU_DEP_4)
	v_add_co_ci_u32_e32 v24, vcc_lo, s23, v10, vcc_lo
	s_branch .LBB30_9
.LBB30_8:                               ;   in Loop: Header=BB30_9 Depth=3
	s_or_b32 exec_lo, exec_lo, s4
	v_add_nc_u32_e32 v3, 4, v3
	s_delay_alu instid0(VALU_DEP_1) | instskip(SKIP_1) | instid1(SALU_CYCLE_1)
	v_cmp_ge_i32_e32 vcc_lo, v3, v19
	s_or_b32 s47, vcc_lo, s47
	s_and_not1_b32 exec_lo, exec_lo, s47
	s_cbranch_execz .LBB30_4
.LBB30_9:                               ;   Parent Loop BB30_3 Depth=1
                                        ;     Parent Loop BB30_5 Depth=2
                                        ; =>    This Loop Header: Depth=3
                                        ;         Child Loop BB30_13 Depth 4
                                        ;         Child Loop BB30_43 Depth 4
	;; [unrolled: 1-line block ×3, first 2 shown]
	v_ashrrev_i32_e32 v4, 31, v3
	s_delay_alu instid0(VALU_DEP_1) | instskip(NEXT) | instid1(VALU_DEP_1)
	v_lshlrev_b64 v[6:7], 2, v[3:4]
	v_add_co_u32 v6, vcc_lo, s28, v6
	s_delay_alu instid0(VALU_DEP_2) | instskip(SKIP_4) | instid1(VALU_DEP_2)
	v_add_co_ci_u32_e32 v7, vcc_lo, s29, v7, vcc_lo
	global_load_b32 v0, v[6:7], off
	s_waitcnt vmcnt(0)
	v_subrev_nc_u32_e32 v6, s33, v0
	v_mov_b32_e32 v0, 0
	v_ashrrev_i32_e32 v7, 31, v6
	s_delay_alu instid0(VALU_DEP_1) | instskip(NEXT) | instid1(VALU_DEP_1)
	v_lshlrev_b64 v[8:9], 2, v[6:7]
	v_add_co_u32 v10, vcc_lo, s8, v8
	s_delay_alu instid0(VALU_DEP_2)
	v_add_co_ci_u32_e32 v11, vcc_lo, s9, v9, vcc_lo
	v_add_co_u32 v8, vcc_lo, s10, v8
	v_add_co_ci_u32_e32 v9, vcc_lo, s11, v9, vcc_lo
	global_load_b32 v11, v[10:11], off
	global_load_b32 v12, v[8:9], off
	v_dual_mov_b32 v8, 0 :: v_dual_mov_b32 v9, 0
	s_waitcnt vmcnt(1)
	v_subrev_nc_u32_e32 v10, s43, v11
	s_waitcnt vmcnt(0)
	v_sub_nc_u32_e32 v25, v12, v11
	v_mov_b32_e32 v12, 0
	s_and_saveexec_b32 s4, s2
	s_cbranch_execz .LBB30_17
; %bb.10:                               ;   in Loop: Header=BB30_9 Depth=3
	v_ashrrev_i32_e32 v11, 31, v10
	v_mov_b32_e32 v12, 0
	s_mov_b32 s48, 0
                                        ; implicit-def: $sgpr49
	s_delay_alu instid0(VALU_DEP_2) | instskip(SKIP_1) | instid1(VALU_DEP_2)
	v_lshlrev_b64 v[8:9], 2, v[10:11]
	v_lshlrev_b64 v[26:27], 3, v[10:11]
	v_add_co_u32 v11, vcc_lo, s12, v8
	s_delay_alu instid0(VALU_DEP_3) | instskip(SKIP_1) | instid1(VALU_DEP_4)
	v_add_co_ci_u32_e32 v14, vcc_lo, s13, v9, vcc_lo
	v_mov_b32_e32 v9, 0
	v_add_co_u32 v26, vcc_lo, s14, v26
	v_add_co_ci_u32_e32 v27, vcc_lo, s15, v27, vcc_lo
	v_mov_b32_e32 v0, v12
	v_mov_b32_e32 v8, 0
	s_branch .LBB30_13
.LBB30_11:                              ;   in Loop: Header=BB30_13 Depth=4
	s_or_b32 exec_lo, exec_lo, s3
	v_cmp_le_i32_e32 vcc_lo, v28, v29
	v_cmp_ge_i32_e64 s3, v28, v29
	v_add_co_ci_u32_e32 v0, vcc_lo, 0, v0, vcc_lo
	s_delay_alu instid0(VALU_DEP_2) | instskip(SKIP_1) | instid1(VALU_DEP_2)
	v_add_co_ci_u32_e64 v12, s3, 0, v12, s3
	s_and_not1_b32 s3, s49, exec_lo
	v_cmp_ge_i32_e32 vcc_lo, v0, v20
	s_and_b32 s49, vcc_lo, exec_lo
	s_delay_alu instid0(SALU_CYCLE_1)
	s_or_b32 s49, s3, s49
.LBB30_12:                              ;   in Loop: Header=BB30_13 Depth=4
	s_or_b32 exec_lo, exec_lo, s50
	s_delay_alu instid0(SALU_CYCLE_1) | instskip(NEXT) | instid1(SALU_CYCLE_1)
	s_and_b32 s3, exec_lo, s49
	s_or_b32 s48, s3, s48
	s_delay_alu instid0(SALU_CYCLE_1)
	s_and_not1_b32 exec_lo, exec_lo, s48
	s_cbranch_execz .LBB30_16
.LBB30_13:                              ;   Parent Loop BB30_3 Depth=1
                                        ;     Parent Loop BB30_5 Depth=2
                                        ;       Parent Loop BB30_9 Depth=3
                                        ; =>      This Inner Loop Header: Depth=4
	s_or_b32 s49, s49, exec_lo
	s_mov_b32 s50, exec_lo
	v_cmpx_lt_i32_e64 v12, v25
	s_cbranch_execz .LBB30_12
; %bb.14:                               ;   in Loop: Header=BB30_13 Depth=4
	v_mov_b32_e32 v13, v1
	v_lshlrev_b64 v[28:29], 2, v[0:1]
	s_mov_b32 s3, exec_lo
	s_delay_alu instid0(VALU_DEP_2) | instskip(NEXT) | instid1(VALU_DEP_2)
	v_lshlrev_b64 v[30:31], 2, v[12:13]
	v_add_co_u32 v28, vcc_lo, v21, v28
	s_delay_alu instid0(VALU_DEP_3) | instskip(NEXT) | instid1(VALU_DEP_3)
	v_add_co_ci_u32_e32 v29, vcc_lo, v22, v29, vcc_lo
	v_add_co_u32 v30, vcc_lo, v11, v30
	s_delay_alu instid0(VALU_DEP_4)
	v_add_co_ci_u32_e32 v31, vcc_lo, v14, v31, vcc_lo
	global_load_b32 v28, v[28:29], off
	global_load_b32 v29, v[30:31], off
	s_waitcnt vmcnt(1)
	v_subrev_nc_u32_e32 v28, s42, v28
	s_waitcnt vmcnt(0)
	v_subrev_nc_u32_e32 v29, s43, v29
	s_delay_alu instid0(VALU_DEP_1)
	v_cmpx_eq_u32_e64 v28, v29
	s_cbranch_execz .LBB30_11
; %bb.15:                               ;   in Loop: Header=BB30_13 Depth=4
	v_lshlrev_b64 v[30:31], 3, v[0:1]
	v_lshlrev_b64 v[32:33], 3, v[12:13]
	s_delay_alu instid0(VALU_DEP_2) | instskip(NEXT) | instid1(VALU_DEP_3)
	v_add_co_u32 v30, vcc_lo, v23, v30
	v_add_co_ci_u32_e32 v31, vcc_lo, v24, v31, vcc_lo
	s_delay_alu instid0(VALU_DEP_3) | instskip(NEXT) | instid1(VALU_DEP_4)
	v_add_co_u32 v32, vcc_lo, v26, v32
	v_add_co_ci_u32_e32 v33, vcc_lo, v27, v33, vcc_lo
	global_load_b64 v[30:31], v[30:31], off
	global_load_b64 v[32:33], v[32:33], off
	s_waitcnt vmcnt(0)
	v_fmac_f32_e32 v8, v30, v32
	v_fmac_f32_e32 v9, v31, v32
	s_delay_alu instid0(VALU_DEP_2) | instskip(NEXT) | instid1(VALU_DEP_2)
	v_fma_f32 v8, -v31, v33, v8
	v_fmac_f32_e32 v9, v30, v33
	s_branch .LBB30_11
.LBB30_16:                              ;   in Loop: Header=BB30_9 Depth=3
	s_or_b32 exec_lo, exec_lo, s48
.LBB30_17:                              ;   in Loop: Header=BB30_9 Depth=3
	s_delay_alu instid0(SALU_CYCLE_1) | instskip(SKIP_3) | instid1(VALU_DEP_2)
	s_or_b32 exec_lo, exec_lo, s4
	v_lshlrev_b64 v[13:14], 3, v[3:4]
	v_cmp_le_i32_e64 s3, v2, v6
	s_mov_b32 s48, exec_lo
	v_add_co_u32 v13, vcc_lo, s30, v13
	s_delay_alu instid0(VALU_DEP_3)
	v_add_co_ci_u32_e32 v14, vcc_lo, s31, v14, vcc_lo
	global_load_b64 v[13:14], v[13:14], off
	s_waitcnt vmcnt(0)
	v_dual_sub_f32 v8, v13, v8 :: v_dual_sub_f32 v9, v14, v9
	v_cmpx_gt_i32_e64 v2, v6
	s_cbranch_execz .LBB30_27
; %bb.18:                               ;   in Loop: Header=BB30_9 Depth=3
	v_lshlrev_b64 v[13:14], 3, v[6:7]
                                        ; implicit-def: $vgpr26
	s_mov_b32 s4, exec_lo
	s_delay_alu instid0(VALU_DEP_1) | instskip(NEXT) | instid1(VALU_DEP_2)
	v_add_co_u32 v13, vcc_lo, s36, v13
	v_add_co_ci_u32_e32 v14, vcc_lo, s37, v14, vcc_lo
	global_load_b64 v[13:14], v[13:14], off
	s_waitcnt vmcnt(0)
	v_cmp_gt_f32_e32 vcc_lo, 0, v13
	v_cndmask_b32_e64 v4, v13, -v13, vcc_lo
	v_cmp_gt_f32_e32 vcc_lo, 0, v14
	v_cndmask_b32_e64 v11, v14, -v14, vcc_lo
	s_delay_alu instid0(VALU_DEP_1)
	v_cmpx_ngt_f32_e32 v4, v11
	s_xor_b32 s49, exec_lo, s4
	s_cbranch_execz .LBB30_22
; %bb.19:                               ;   in Loop: Header=BB30_9 Depth=3
	v_mov_b32_e32 v26, 0
	s_mov_b32 s50, exec_lo
	v_cmpx_neq_f32_e32 0, v14
	s_cbranch_execz .LBB30_21
; %bb.20:                               ;   in Loop: Header=BB30_9 Depth=3
	v_div_scale_f32 v26, null, v11, v11, v4
	v_div_scale_f32 v29, vcc_lo, v4, v11, v4
	s_delay_alu instid0(VALU_DEP_2) | instskip(SKIP_2) | instid1(VALU_DEP_1)
	v_rcp_f32_e32 v27, v26
	s_waitcnt_depctr 0xfff
	v_fma_f32 v28, -v26, v27, 1.0
	v_fmac_f32_e32 v27, v28, v27
	s_delay_alu instid0(VALU_DEP_1) | instskip(NEXT) | instid1(VALU_DEP_1)
	v_mul_f32_e32 v28, v29, v27
	v_fma_f32 v30, -v26, v28, v29
	s_delay_alu instid0(VALU_DEP_1) | instskip(NEXT) | instid1(VALU_DEP_1)
	v_fmac_f32_e32 v28, v30, v27
	v_fma_f32 v26, -v26, v28, v29
	s_delay_alu instid0(VALU_DEP_1) | instskip(NEXT) | instid1(VALU_DEP_1)
	v_div_fmas_f32 v26, v26, v27, v28
	v_div_fixup_f32 v4, v26, v11, v4
	s_delay_alu instid0(VALU_DEP_1) | instskip(NEXT) | instid1(VALU_DEP_1)
	v_fma_f32 v4, v4, v4, 1.0
	v_mul_f32_e32 v26, 0x4f800000, v4
	v_cmp_gt_f32_e32 vcc_lo, 0xf800000, v4
	s_delay_alu instid0(VALU_DEP_2) | instskip(NEXT) | instid1(VALU_DEP_1)
	v_cndmask_b32_e32 v4, v4, v26, vcc_lo
	v_sqrt_f32_e32 v26, v4
	s_waitcnt_depctr 0xfff
	v_add_nc_u32_e32 v27, -1, v26
	v_add_nc_u32_e32 v28, 1, v26
	s_delay_alu instid0(VALU_DEP_2) | instskip(NEXT) | instid1(VALU_DEP_2)
	v_fma_f32 v29, -v27, v26, v4
	v_fma_f32 v30, -v28, v26, v4
	s_delay_alu instid0(VALU_DEP_2) | instskip(NEXT) | instid1(VALU_DEP_1)
	v_cmp_ge_f32_e64 s4, 0, v29
	v_cndmask_b32_e64 v26, v26, v27, s4
	s_delay_alu instid0(VALU_DEP_3) | instskip(NEXT) | instid1(VALU_DEP_1)
	v_cmp_lt_f32_e64 s4, 0, v30
	v_cndmask_b32_e64 v26, v26, v28, s4
	s_delay_alu instid0(VALU_DEP_1) | instskip(NEXT) | instid1(VALU_DEP_1)
	v_mul_f32_e32 v27, 0x37800000, v26
	v_cndmask_b32_e32 v26, v26, v27, vcc_lo
	v_cmp_class_f32_e64 vcc_lo, v4, 0x260
	s_delay_alu instid0(VALU_DEP_2) | instskip(NEXT) | instid1(VALU_DEP_1)
	v_cndmask_b32_e32 v4, v26, v4, vcc_lo
	v_mul_f32_e32 v26, v11, v4
.LBB30_21:                              ;   in Loop: Header=BB30_9 Depth=3
	s_or_b32 exec_lo, exec_lo, s50
                                        ; implicit-def: $vgpr4
                                        ; implicit-def: $vgpr11
.LBB30_22:                              ;   in Loop: Header=BB30_9 Depth=3
	s_and_not1_saveexec_b32 s49, s49
	s_cbranch_execz .LBB30_24
; %bb.23:                               ;   in Loop: Header=BB30_9 Depth=3
	v_div_scale_f32 v26, null, v4, v4, v11
	v_div_scale_f32 v29, vcc_lo, v11, v4, v11
	s_delay_alu instid0(VALU_DEP_2) | instskip(SKIP_2) | instid1(VALU_DEP_1)
	v_rcp_f32_e32 v27, v26
	s_waitcnt_depctr 0xfff
	v_fma_f32 v28, -v26, v27, 1.0
	v_fmac_f32_e32 v27, v28, v27
	s_delay_alu instid0(VALU_DEP_1) | instskip(NEXT) | instid1(VALU_DEP_1)
	v_mul_f32_e32 v28, v29, v27
	v_fma_f32 v30, -v26, v28, v29
	s_delay_alu instid0(VALU_DEP_1) | instskip(NEXT) | instid1(VALU_DEP_1)
	v_fmac_f32_e32 v28, v30, v27
	v_fma_f32 v26, -v26, v28, v29
	s_delay_alu instid0(VALU_DEP_1) | instskip(NEXT) | instid1(VALU_DEP_1)
	v_div_fmas_f32 v26, v26, v27, v28
	v_div_fixup_f32 v11, v26, v4, v11
	s_delay_alu instid0(VALU_DEP_1) | instskip(NEXT) | instid1(VALU_DEP_1)
	v_fma_f32 v11, v11, v11, 1.0
	v_mul_f32_e32 v26, 0x4f800000, v11
	v_cmp_gt_f32_e32 vcc_lo, 0xf800000, v11
	s_delay_alu instid0(VALU_DEP_2) | instskip(NEXT) | instid1(VALU_DEP_1)
	v_cndmask_b32_e32 v11, v11, v26, vcc_lo
	v_sqrt_f32_e32 v26, v11
	s_waitcnt_depctr 0xfff
	v_add_nc_u32_e32 v27, -1, v26
	v_add_nc_u32_e32 v28, 1, v26
	s_delay_alu instid0(VALU_DEP_2) | instskip(NEXT) | instid1(VALU_DEP_2)
	v_fma_f32 v29, -v27, v26, v11
	v_fma_f32 v30, -v28, v26, v11
	s_delay_alu instid0(VALU_DEP_2) | instskip(NEXT) | instid1(VALU_DEP_1)
	v_cmp_ge_f32_e64 s4, 0, v29
	v_cndmask_b32_e64 v26, v26, v27, s4
	s_delay_alu instid0(VALU_DEP_3) | instskip(NEXT) | instid1(VALU_DEP_1)
	v_cmp_lt_f32_e64 s4, 0, v30
	v_cndmask_b32_e64 v26, v26, v28, s4
	s_delay_alu instid0(VALU_DEP_1) | instskip(NEXT) | instid1(VALU_DEP_1)
	v_mul_f32_e32 v27, 0x37800000, v26
	v_cndmask_b32_e32 v26, v26, v27, vcc_lo
	v_cmp_class_f32_e64 vcc_lo, v11, 0x260
	s_delay_alu instid0(VALU_DEP_2) | instskip(NEXT) | instid1(VALU_DEP_1)
	v_cndmask_b32_e32 v11, v26, v11, vcc_lo
	v_mul_f32_e32 v26, v4, v11
.LBB30_24:                              ;   in Loop: Header=BB30_9 Depth=3
	s_or_b32 exec_lo, exec_lo, s49
	v_dual_mov_b32 v4, 0 :: v_dual_mov_b32 v11, 0
	s_mov_b32 s4, exec_lo
	s_delay_alu instid0(VALU_DEP_2)
	v_cmpx_lt_f32_e32 0, v26
	s_cbranch_execz .LBB30_26
; %bb.25:                               ;   in Loop: Header=BB30_9 Depth=3
	v_mul_f32_e32 v4, v14, v14
	s_delay_alu instid0(VALU_DEP_1) | instskip(NEXT) | instid1(VALU_DEP_1)
	v_fmac_f32_e32 v4, v13, v13
	v_div_scale_f32 v11, null, v4, v4, 1.0
	v_div_scale_f32 v28, vcc_lo, 1.0, v4, 1.0
	s_delay_alu instid0(VALU_DEP_2) | instskip(SKIP_2) | instid1(VALU_DEP_1)
	v_rcp_f32_e32 v26, v11
	s_waitcnt_depctr 0xfff
	v_fma_f32 v27, -v11, v26, 1.0
	v_fmac_f32_e32 v26, v27, v26
	s_delay_alu instid0(VALU_DEP_1) | instskip(NEXT) | instid1(VALU_DEP_1)
	v_mul_f32_e32 v27, v28, v26
	v_fma_f32 v29, -v11, v27, v28
	s_delay_alu instid0(VALU_DEP_1) | instskip(NEXT) | instid1(VALU_DEP_1)
	v_fmac_f32_e32 v27, v29, v26
	v_fma_f32 v11, -v11, v27, v28
	v_mul_f32_e32 v28, v9, v14
	v_mul_f32_e64 v14, v14, -v8
	s_delay_alu instid0(VALU_DEP_2) | instskip(NEXT) | instid1(VALU_DEP_4)
	v_fmac_f32_e32 v28, v8, v13
	v_div_fmas_f32 v11, v11, v26, v27
	s_delay_alu instid0(VALU_DEP_3) | instskip(NEXT) | instid1(VALU_DEP_2)
	v_fmac_f32_e32 v14, v9, v13
	v_div_fixup_f32 v8, v11, v4, 1.0
	s_delay_alu instid0(VALU_DEP_1) | instskip(NEXT) | instid1(VALU_DEP_3)
	v_mul_f32_e32 v4, v28, v8
	v_mul_f32_e32 v11, v14, v8
.LBB30_26:                              ;   in Loop: Header=BB30_9 Depth=3
	s_or_b32 exec_lo, exec_lo, s4
	s_delay_alu instid0(VALU_DEP_1)
	v_dual_mov_b32 v8, v4 :: v_dual_mov_b32 v9, v11
.LBB30_27:                              ;   in Loop: Header=BB30_9 Depth=3
	s_or_b32 exec_lo, exec_lo, s48
	s_delay_alu instid0(VALU_DEP_1) | instskip(SKIP_4) | instid1(VALU_DEP_1)
	v_cmp_gt_f32_e32 vcc_lo, 0, v8
                                        ; implicit-def: $vgpr13
	s_mov_b32 s4, exec_lo
	v_cndmask_b32_e64 v4, v8, -v8, vcc_lo
	v_cmp_gt_f32_e32 vcc_lo, 0, v9
	v_cndmask_b32_e64 v11, v9, -v9, vcc_lo
	v_cmpx_ngt_f32_e32 v4, v11
	s_xor_b32 s48, exec_lo, s4
	s_cbranch_execnz .LBB30_30
; %bb.28:                               ;   in Loop: Header=BB30_9 Depth=3
	s_and_not1_saveexec_b32 s48, s48
	s_cbranch_execnz .LBB30_33
.LBB30_29:                              ;   in Loop: Header=BB30_9 Depth=3
	s_or_b32 exec_lo, exec_lo, s48
	v_cmp_class_f32_e64 s48, v13, 0x1f8
	s_delay_alu instid0(VALU_DEP_1)
	s_and_saveexec_b32 s4, s48
	s_cbranch_execz .LBB30_8
	s_branch .LBB30_34
.LBB30_30:                              ;   in Loop: Header=BB30_9 Depth=3
	v_mov_b32_e32 v13, 0
	s_mov_b32 s49, exec_lo
	v_cmpx_neq_f32_e32 0, v9
	s_cbranch_execz .LBB30_32
; %bb.31:                               ;   in Loop: Header=BB30_9 Depth=3
	v_div_scale_f32 v13, null, v11, v11, v4
	v_div_scale_f32 v27, vcc_lo, v4, v11, v4
	s_delay_alu instid0(VALU_DEP_2) | instskip(SKIP_2) | instid1(VALU_DEP_1)
	v_rcp_f32_e32 v14, v13
	s_waitcnt_depctr 0xfff
	v_fma_f32 v26, -v13, v14, 1.0
	v_fmac_f32_e32 v14, v26, v14
	s_delay_alu instid0(VALU_DEP_1) | instskip(NEXT) | instid1(VALU_DEP_1)
	v_mul_f32_e32 v26, v27, v14
	v_fma_f32 v28, -v13, v26, v27
	s_delay_alu instid0(VALU_DEP_1) | instskip(NEXT) | instid1(VALU_DEP_1)
	v_fmac_f32_e32 v26, v28, v14
	v_fma_f32 v13, -v13, v26, v27
	s_delay_alu instid0(VALU_DEP_1) | instskip(NEXT) | instid1(VALU_DEP_1)
	v_div_fmas_f32 v13, v13, v14, v26
	v_div_fixup_f32 v4, v13, v11, v4
	s_delay_alu instid0(VALU_DEP_1) | instskip(NEXT) | instid1(VALU_DEP_1)
	v_fma_f32 v4, v4, v4, 1.0
	v_mul_f32_e32 v13, 0x4f800000, v4
	v_cmp_gt_f32_e32 vcc_lo, 0xf800000, v4
	s_delay_alu instid0(VALU_DEP_2) | instskip(NEXT) | instid1(VALU_DEP_1)
	v_cndmask_b32_e32 v4, v4, v13, vcc_lo
	v_sqrt_f32_e32 v13, v4
	s_waitcnt_depctr 0xfff
	v_add_nc_u32_e32 v14, -1, v13
	v_add_nc_u32_e32 v26, 1, v13
	s_delay_alu instid0(VALU_DEP_2) | instskip(NEXT) | instid1(VALU_DEP_2)
	v_fma_f32 v27, -v14, v13, v4
	v_fma_f32 v28, -v26, v13, v4
	s_delay_alu instid0(VALU_DEP_2) | instskip(NEXT) | instid1(VALU_DEP_1)
	v_cmp_ge_f32_e64 s4, 0, v27
	v_cndmask_b32_e64 v13, v13, v14, s4
	s_delay_alu instid0(VALU_DEP_3) | instskip(NEXT) | instid1(VALU_DEP_1)
	v_cmp_lt_f32_e64 s4, 0, v28
	v_cndmask_b32_e64 v13, v13, v26, s4
	s_delay_alu instid0(VALU_DEP_1) | instskip(NEXT) | instid1(VALU_DEP_1)
	v_mul_f32_e32 v14, 0x37800000, v13
	v_cndmask_b32_e32 v13, v13, v14, vcc_lo
	v_cmp_class_f32_e64 vcc_lo, v4, 0x260
	s_delay_alu instid0(VALU_DEP_2) | instskip(NEXT) | instid1(VALU_DEP_1)
	v_cndmask_b32_e32 v4, v13, v4, vcc_lo
	v_mul_f32_e32 v13, v11, v4
.LBB30_32:                              ;   in Loop: Header=BB30_9 Depth=3
	s_or_b32 exec_lo, exec_lo, s49
                                        ; implicit-def: $vgpr4
                                        ; implicit-def: $vgpr11
	s_and_not1_saveexec_b32 s48, s48
	s_cbranch_execz .LBB30_29
.LBB30_33:                              ;   in Loop: Header=BB30_9 Depth=3
	v_div_scale_f32 v13, null, v4, v4, v11
	v_div_scale_f32 v27, vcc_lo, v11, v4, v11
	s_delay_alu instid0(VALU_DEP_2) | instskip(SKIP_2) | instid1(VALU_DEP_1)
	v_rcp_f32_e32 v14, v13
	s_waitcnt_depctr 0xfff
	v_fma_f32 v26, -v13, v14, 1.0
	v_fmac_f32_e32 v14, v26, v14
	s_delay_alu instid0(VALU_DEP_1) | instskip(NEXT) | instid1(VALU_DEP_1)
	v_mul_f32_e32 v26, v27, v14
	v_fma_f32 v28, -v13, v26, v27
	s_delay_alu instid0(VALU_DEP_1) | instskip(NEXT) | instid1(VALU_DEP_1)
	v_fmac_f32_e32 v26, v28, v14
	v_fma_f32 v13, -v13, v26, v27
	s_delay_alu instid0(VALU_DEP_1) | instskip(NEXT) | instid1(VALU_DEP_1)
	v_div_fmas_f32 v13, v13, v14, v26
	v_div_fixup_f32 v11, v13, v4, v11
	s_delay_alu instid0(VALU_DEP_1) | instskip(NEXT) | instid1(VALU_DEP_1)
	v_fma_f32 v11, v11, v11, 1.0
	v_mul_f32_e32 v13, 0x4f800000, v11
	v_cmp_gt_f32_e32 vcc_lo, 0xf800000, v11
	s_delay_alu instid0(VALU_DEP_2) | instskip(NEXT) | instid1(VALU_DEP_1)
	v_cndmask_b32_e32 v11, v11, v13, vcc_lo
	v_sqrt_f32_e32 v13, v11
	s_waitcnt_depctr 0xfff
	v_add_nc_u32_e32 v14, -1, v13
	v_add_nc_u32_e32 v26, 1, v13
	s_delay_alu instid0(VALU_DEP_2) | instskip(NEXT) | instid1(VALU_DEP_2)
	v_fma_f32 v27, -v14, v13, v11
	v_fma_f32 v28, -v26, v13, v11
	s_delay_alu instid0(VALU_DEP_2) | instskip(NEXT) | instid1(VALU_DEP_1)
	v_cmp_ge_f32_e64 s4, 0, v27
	v_cndmask_b32_e64 v13, v13, v14, s4
	s_delay_alu instid0(VALU_DEP_3) | instskip(NEXT) | instid1(VALU_DEP_1)
	v_cmp_lt_f32_e64 s4, 0, v28
	v_cndmask_b32_e64 v13, v13, v26, s4
	s_delay_alu instid0(VALU_DEP_1) | instskip(NEXT) | instid1(VALU_DEP_1)
	v_mul_f32_e32 v14, 0x37800000, v13
	v_cndmask_b32_e32 v13, v13, v14, vcc_lo
	v_cmp_class_f32_e64 vcc_lo, v11, 0x260
	s_delay_alu instid0(VALU_DEP_2) | instskip(NEXT) | instid1(VALU_DEP_1)
	v_cndmask_b32_e32 v11, v13, v11, vcc_lo
	v_mul_f32_e32 v13, v4, v11
	s_or_b32 exec_lo, exec_lo, s48
	s_delay_alu instid0(VALU_DEP_1) | instskip(NEXT) | instid1(VALU_DEP_1)
	v_cmp_class_f32_e64 s48, v13, 0x1f8
	s_and_saveexec_b32 s4, s48
	s_cbranch_execz .LBB30_8
.LBB30_34:                              ;   in Loop: Header=BB30_9 Depth=3
	s_mov_b32 s48, 0
                                        ; implicit-def: $vgpr13_vgpr14
	s_and_saveexec_b32 s49, s3
	s_delay_alu instid0(SALU_CYCLE_1)
	s_xor_b32 s3, exec_lo, s49
	s_cbranch_execnz .LBB30_37
; %bb.35:                               ;   in Loop: Header=BB30_9 Depth=3
	s_and_not1_saveexec_b32 s3, s3
	s_cbranch_execnz .LBB30_50
.LBB30_36:                              ;   in Loop: Header=BB30_9 Depth=3
	s_or_b32 exec_lo, exec_lo, s3
	s_delay_alu instid0(SALU_CYCLE_1)
	s_and_b32 exec_lo, exec_lo, s48
	s_cbranch_execz .LBB30_8
	s_branch .LBB30_59
.LBB30_37:                              ;   in Loop: Header=BB30_9 Depth=3
	s_mov_b32 s49, exec_lo
                                        ; implicit-def: $vgpr13_vgpr14
	v_cmpx_ge_i32_e64 v2, v6
	s_xor_b32 s49, exec_lo, s49
; %bb.38:                               ;   in Loop: Header=BB30_9 Depth=3
	v_lshlrev_b64 v[6:7], 3, v[6:7]
	s_mov_b32 s48, exec_lo
                                        ; implicit-def: $vgpr12
                                        ; implicit-def: $vgpr25
                                        ; implicit-def: $vgpr10
	s_delay_alu instid0(VALU_DEP_1) | instskip(NEXT) | instid1(VALU_DEP_2)
	v_add_co_u32 v13, vcc_lo, s38, v6
	v_add_co_ci_u32_e32 v14, vcc_lo, s39, v7, vcc_lo
; %bb.39:                               ;   in Loop: Header=BB30_9 Depth=3
	s_and_not1_saveexec_b32 s49, s49
	s_cbranch_execz .LBB30_49
; %bb.40:                               ;   in Loop: Header=BB30_9 Depth=3
	s_mov_b32 s51, s48
	s_mov_b32 s50, exec_lo
                                        ; implicit-def: $vgpr13_vgpr14
	v_cmpx_lt_i32_e64 v12, v25
	s_cbranch_execz .LBB30_48
; %bb.41:                               ;   in Loop: Header=BB30_9 Depth=3
	s_mov_b32 s52, 0
                                        ; implicit-def: $sgpr51
                                        ; implicit-def: $sgpr54
                                        ; implicit-def: $sgpr53
	s_set_inst_prefetch_distance 0x1
	s_branch .LBB30_43
	.p2align	6
.LBB30_42:                              ;   in Loop: Header=BB30_43 Depth=4
	s_or_b32 exec_lo, exec_lo, s55
	s_delay_alu instid0(SALU_CYCLE_1) | instskip(NEXT) | instid1(SALU_CYCLE_1)
	s_and_b32 s55, exec_lo, s54
	s_or_b32 s52, s55, s52
	s_and_not1_b32 s51, s51, exec_lo
	s_and_b32 s55, s53, exec_lo
	s_delay_alu instid0(SALU_CYCLE_1)
	s_or_b32 s51, s51, s55
	s_and_not1_b32 exec_lo, exec_lo, s52
	s_cbranch_execz .LBB30_45
.LBB30_43:                              ;   Parent Loop BB30_3 Depth=1
                                        ;     Parent Loop BB30_5 Depth=2
                                        ;       Parent Loop BB30_9 Depth=3
                                        ; =>      This Inner Loop Header: Depth=4
	v_add_nc_u32_e32 v6, v10, v12
	s_or_b32 s53, s53, exec_lo
	s_or_b32 s54, s54, exec_lo
	s_mov_b32 s55, exec_lo
	s_delay_alu instid0(VALU_DEP_1) | instskip(NEXT) | instid1(VALU_DEP_1)
	v_ashrrev_i32_e32 v7, 31, v6
	v_lshlrev_b64 v[13:14], 2, v[6:7]
	s_delay_alu instid0(VALU_DEP_1) | instskip(NEXT) | instid1(VALU_DEP_2)
	v_add_co_u32 v13, vcc_lo, s12, v13
	v_add_co_ci_u32_e32 v14, vcc_lo, s13, v14, vcc_lo
	global_load_b32 v0, v[13:14], off
	s_waitcnt vmcnt(0)
	v_subrev_nc_u32_e32 v0, s43, v0
	s_delay_alu instid0(VALU_DEP_1)
	v_cmpx_ne_u32_e64 v0, v2
	s_cbranch_execz .LBB30_42
; %bb.44:                               ;   in Loop: Header=BB30_43 Depth=4
	v_add_nc_u32_e32 v12, 1, v12
	s_and_not1_b32 s54, s54, exec_lo
	s_and_not1_b32 s53, s53, exec_lo
	s_delay_alu instid0(VALU_DEP_1) | instskip(SKIP_1) | instid1(SALU_CYCLE_1)
	v_cmp_ge_i32_e32 vcc_lo, v12, v25
	s_and_b32 s56, vcc_lo, exec_lo
	s_or_b32 s54, s54, s56
	s_branch .LBB30_42
.LBB30_45:                              ;   in Loop: Header=BB30_9 Depth=3
	s_set_inst_prefetch_distance 0x2
	s_or_b32 exec_lo, exec_lo, s52
	s_mov_b32 s52, s48
                                        ; implicit-def: $vgpr13_vgpr14
	s_and_saveexec_b32 s53, s51
	s_delay_alu instid0(SALU_CYCLE_1)
	s_xor_b32 s51, exec_lo, s53
; %bb.46:                               ;   in Loop: Header=BB30_9 Depth=3
	v_lshlrev_b64 v[6:7], 3, v[6:7]
	s_or_b32 s52, s48, exec_lo
	s_delay_alu instid0(VALU_DEP_1) | instskip(NEXT) | instid1(VALU_DEP_2)
	v_add_co_u32 v13, vcc_lo, s34, v6
	v_add_co_ci_u32_e32 v14, vcc_lo, s35, v7, vcc_lo
; %bb.47:                               ;   in Loop: Header=BB30_9 Depth=3
	s_or_b32 exec_lo, exec_lo, s51
	s_delay_alu instid0(SALU_CYCLE_1) | instskip(SKIP_1) | instid1(SALU_CYCLE_1)
	s_and_not1_b32 s51, s48, exec_lo
	s_and_b32 s52, s52, exec_lo
	s_or_b32 s51, s51, s52
.LBB30_48:                              ;   in Loop: Header=BB30_9 Depth=3
	s_or_b32 exec_lo, exec_lo, s50
	s_delay_alu instid0(SALU_CYCLE_1) | instskip(SKIP_1) | instid1(SALU_CYCLE_1)
	s_and_not1_b32 s48, s48, exec_lo
	s_and_b32 s50, s51, exec_lo
	s_or_b32 s48, s48, s50
.LBB30_49:                              ;   in Loop: Header=BB30_9 Depth=3
	s_or_b32 exec_lo, exec_lo, s49
	s_delay_alu instid0(SALU_CYCLE_1)
	s_and_b32 s48, s48, exec_lo
                                        ; implicit-def: $vgpr6_vgpr7
	s_and_not1_saveexec_b32 s3, s3
	s_cbranch_execz .LBB30_36
.LBB30_50:                              ;   in Loop: Header=BB30_9 Depth=3
	s_mov_b32 s50, s48
	s_mov_b32 s49, exec_lo
                                        ; implicit-def: $vgpr13_vgpr14
	v_cmpx_lt_i32_e64 v0, v20
	s_cbranch_execz .LBB30_58
; %bb.51:                               ;   in Loop: Header=BB30_9 Depth=3
	s_mov_b32 s51, 0
                                        ; implicit-def: $sgpr50
                                        ; implicit-def: $sgpr53
                                        ; implicit-def: $sgpr52
	s_set_inst_prefetch_distance 0x1
	s_branch .LBB30_53
	.p2align	6
.LBB30_52:                              ;   in Loop: Header=BB30_53 Depth=4
	s_or_b32 exec_lo, exec_lo, s54
	s_delay_alu instid0(SALU_CYCLE_1) | instskip(NEXT) | instid1(SALU_CYCLE_1)
	s_and_b32 s54, exec_lo, s53
	s_or_b32 s51, s54, s51
	s_and_not1_b32 s50, s50, exec_lo
	s_and_b32 s54, s52, exec_lo
	s_delay_alu instid0(SALU_CYCLE_1)
	s_or_b32 s50, s50, s54
	s_and_not1_b32 exec_lo, exec_lo, s51
	s_cbranch_execz .LBB30_55
.LBB30_53:                              ;   Parent Loop BB30_3 Depth=1
                                        ;     Parent Loop BB30_5 Depth=2
                                        ;       Parent Loop BB30_9 Depth=3
                                        ; =>      This Inner Loop Header: Depth=4
	v_add_nc_u32_e32 v10, v5, v0
	s_or_b32 s52, s52, exec_lo
	s_or_b32 s53, s53, exec_lo
	s_mov_b32 s54, exec_lo
	s_delay_alu instid0(VALU_DEP_1) | instskip(NEXT) | instid1(VALU_DEP_1)
	v_ashrrev_i32_e32 v11, 31, v10
	v_lshlrev_b64 v[12:13], 2, v[10:11]
	s_delay_alu instid0(VALU_DEP_1) | instskip(NEXT) | instid1(VALU_DEP_2)
	v_add_co_u32 v12, vcc_lo, s20, v12
	v_add_co_ci_u32_e32 v13, vcc_lo, s21, v13, vcc_lo
	global_load_b32 v4, v[12:13], off
	s_waitcnt vmcnt(0)
	v_subrev_nc_u32_e32 v4, s42, v4
	s_delay_alu instid0(VALU_DEP_1)
	v_cmpx_ne_u32_e64 v4, v6
	s_cbranch_execz .LBB30_52
; %bb.54:                               ;   in Loop: Header=BB30_53 Depth=4
	v_add_nc_u32_e32 v0, 1, v0
	s_and_not1_b32 s53, s53, exec_lo
	s_and_not1_b32 s52, s52, exec_lo
	s_delay_alu instid0(VALU_DEP_1) | instskip(SKIP_1) | instid1(SALU_CYCLE_1)
	v_cmp_ge_i32_e32 vcc_lo, v0, v20
	s_and_b32 s55, vcc_lo, exec_lo
	s_or_b32 s53, s53, s55
	s_branch .LBB30_52
.LBB30_55:                              ;   in Loop: Header=BB30_9 Depth=3
	s_set_inst_prefetch_distance 0x2
	s_or_b32 exec_lo, exec_lo, s51
	s_mov_b32 s51, s48
                                        ; implicit-def: $vgpr13_vgpr14
	s_and_saveexec_b32 s52, s50
	s_delay_alu instid0(SALU_CYCLE_1)
	s_xor_b32 s50, exec_lo, s52
; %bb.56:                               ;   in Loop: Header=BB30_9 Depth=3
	v_lshlrev_b64 v[6:7], 3, v[10:11]
	s_or_b32 s51, s48, exec_lo
	s_delay_alu instid0(VALU_DEP_1) | instskip(NEXT) | instid1(VALU_DEP_2)
	v_add_co_u32 v13, vcc_lo, s40, v6
	v_add_co_ci_u32_e32 v14, vcc_lo, s41, v7, vcc_lo
; %bb.57:                               ;   in Loop: Header=BB30_9 Depth=3
	s_or_b32 exec_lo, exec_lo, s50
	s_delay_alu instid0(SALU_CYCLE_1) | instskip(SKIP_1) | instid1(SALU_CYCLE_1)
	s_and_not1_b32 s50, s48, exec_lo
	s_and_b32 s51, s51, exec_lo
	s_or_b32 s50, s50, s51
.LBB30_58:                              ;   in Loop: Header=BB30_9 Depth=3
	s_or_b32 exec_lo, exec_lo, s49
	s_delay_alu instid0(SALU_CYCLE_1) | instskip(SKIP_1) | instid1(SALU_CYCLE_1)
	s_and_not1_b32 s48, s48, exec_lo
	s_and_b32 s49, s50, exec_lo
	s_or_b32 s48, s48, s49
	s_or_b32 exec_lo, exec_lo, s3
	s_delay_alu instid0(SALU_CYCLE_1)
	s_and_b32 exec_lo, exec_lo, s48
	s_cbranch_execz .LBB30_8
.LBB30_59:                              ;   in Loop: Header=BB30_9 Depth=3
	global_store_b64 v[13:14], v[8:9], off
	s_branch .LBB30_8
.LBB30_60:                              ;   in Loop: Header=BB30_3 Depth=1
	s_and_saveexec_b32 s3, s0
	s_cbranch_execz .LBB30_2
; %bb.61:                               ;   in Loop: Header=BB30_3 Depth=1
	v_mov_b32_e32 v2, v15
	s_mov_b32 s4, 0
	s_branch .LBB30_63
.LBB30_62:                              ;   in Loop: Header=BB30_63 Depth=2
	s_or_b32 exec_lo, exec_lo, s45
	v_add_nc_u32_e32 v2, 0x100, v2
	s_delay_alu instid0(VALU_DEP_1) | instskip(SKIP_1) | instid1(SALU_CYCLE_1)
	v_cmp_le_u32_e32 vcc_lo, s44, v2
	s_or_b32 s4, vcc_lo, s4
	s_and_not1_b32 exec_lo, exec_lo, s4
	s_cbranch_execz .LBB30_2
.LBB30_63:                              ;   Parent Loop BB30_3 Depth=1
                                        ; =>  This Loop Header: Depth=2
                                        ;       Child Loop BB30_66 Depth 3
                                        ;       Child Loop BB30_69 Depth 3
	s_mov_b32 s45, exec_lo
	s_delay_alu instid0(VALU_DEP_1)
	v_cmpx_gt_i32_e64 s7, v2
	s_cbranch_execz .LBB30_62
; %bb.64:                               ;   in Loop: Header=BB30_63 Depth=2
	v_ashrrev_i32_e32 v3, 31, v2
	s_mov_b32 s46, exec_lo
	s_delay_alu instid0(VALU_DEP_1) | instskip(NEXT) | instid1(VALU_DEP_1)
	v_lshlrev_b64 v[4:5], 2, v[2:3]
	v_add_co_u32 v6, vcc_lo, s16, v4
	s_delay_alu instid0(VALU_DEP_2)
	v_add_co_ci_u32_e32 v7, vcc_lo, s17, v5, vcc_lo
	v_add_co_u32 v8, vcc_lo, s18, v4
	v_add_co_ci_u32_e32 v9, vcc_lo, s19, v5, vcc_lo
	global_load_b32 v0, v[6:7], off
	global_load_b32 v7, v[8:9], off
	s_waitcnt vmcnt(1)
	v_add_nc_u32_e32 v6, v17, v0
	s_waitcnt vmcnt(0)
	v_subrev_nc_u32_e32 v0, s42, v7
	s_delay_alu instid0(VALU_DEP_1)
	v_cmpx_lt_i32_e64 v6, v0
	s_cbranch_execz .LBB30_67
; %bb.65:                               ;   in Loop: Header=BB30_63 Depth=2
	v_ashrrev_i32_e32 v7, 31, v6
	s_mov_b32 s47, 0
	s_delay_alu instid0(VALU_DEP_1) | instskip(NEXT) | instid1(VALU_DEP_1)
	v_lshlrev_b64 v[9:10], 3, v[6:7]
	v_add_co_u32 v7, vcc_lo, s40, v9
	s_delay_alu instid0(VALU_DEP_2)
	v_add_co_ci_u32_e32 v8, vcc_lo, s41, v10, vcc_lo
	v_add_co_u32 v9, vcc_lo, s22, v9
	v_add_co_ci_u32_e32 v10, vcc_lo, s23, v10, vcc_lo
.LBB30_66:                              ;   Parent Loop BB30_3 Depth=1
                                        ;     Parent Loop BB30_63 Depth=2
                                        ; =>    This Inner Loop Header: Depth=3
	global_load_b64 v[11:12], v[7:8], off
	v_add_nc_u32_e32 v6, 4, v6
	v_add_co_u32 v7, vcc_lo, v7, 32
	v_add_co_ci_u32_e32 v8, vcc_lo, 0, v8, vcc_lo
	s_delay_alu instid0(VALU_DEP_3) | instskip(SKIP_4) | instid1(VALU_DEP_1)
	v_cmp_ge_i32_e32 vcc_lo, v6, v0
	s_or_b32 s47, vcc_lo, s47
	s_waitcnt vmcnt(0)
	global_store_b64 v[9:10], v[11:12], off
	v_add_co_u32 v9, s2, v9, 32
	v_add_co_ci_u32_e64 v10, s2, 0, v10, s2
	s_and_not1_b32 exec_lo, exec_lo, s47
	s_cbranch_execnz .LBB30_66
.LBB30_67:                              ;   in Loop: Header=BB30_63 Depth=2
	s_or_b32 exec_lo, exec_lo, s46
	v_add_co_u32 v6, vcc_lo, s8, v4
	v_add_co_ci_u32_e32 v7, vcc_lo, s9, v5, vcc_lo
	v_add_co_u32 v4, vcc_lo, s10, v4
	v_add_co_ci_u32_e32 v5, vcc_lo, s11, v5, vcc_lo
	s_mov_b32 s46, exec_lo
	global_load_b32 v0, v[6:7], off
	global_load_b32 v5, v[4:5], off
	s_waitcnt vmcnt(1)
	v_add_nc_u32_e32 v4, v18, v0
	s_waitcnt vmcnt(0)
	v_subrev_nc_u32_e32 v0, s43, v5
	s_delay_alu instid0(VALU_DEP_1)
	v_cmpx_lt_i32_e64 v4, v0
	s_cbranch_execz .LBB30_70
; %bb.68:                               ;   in Loop: Header=BB30_63 Depth=2
	v_ashrrev_i32_e32 v5, 31, v4
	s_mov_b32 s47, 0
	s_delay_alu instid0(VALU_DEP_1) | instskip(NEXT) | instid1(VALU_DEP_1)
	v_lshlrev_b64 v[7:8], 3, v[4:5]
	v_add_co_u32 v5, vcc_lo, s34, v7
	s_delay_alu instid0(VALU_DEP_2)
	v_add_co_ci_u32_e32 v6, vcc_lo, s35, v8, vcc_lo
	v_add_co_u32 v7, vcc_lo, s14, v7
	v_add_co_ci_u32_e32 v8, vcc_lo, s15, v8, vcc_lo
.LBB30_69:                              ;   Parent Loop BB30_3 Depth=1
                                        ;     Parent Loop BB30_63 Depth=2
                                        ; =>    This Inner Loop Header: Depth=3
	global_load_b64 v[9:10], v[5:6], off
	v_add_nc_u32_e32 v4, 4, v4
	v_add_co_u32 v5, vcc_lo, v5, 32
	v_add_co_ci_u32_e32 v6, vcc_lo, 0, v6, vcc_lo
	s_delay_alu instid0(VALU_DEP_3) | instskip(SKIP_4) | instid1(VALU_DEP_1)
	v_cmp_ge_i32_e32 vcc_lo, v4, v0
	s_or_b32 s47, vcc_lo, s47
	s_waitcnt vmcnt(0)
	global_store_b64 v[7:8], v[9:10], off
	v_add_co_u32 v7, s2, v7, 32
	v_add_co_ci_u32_e64 v8, s2, 0, v8, s2
	s_and_not1_b32 exec_lo, exec_lo, s47
	s_cbranch_execnz .LBB30_69
.LBB30_70:                              ;   in Loop: Header=BB30_63 Depth=2
	s_or_b32 exec_lo, exec_lo, s46
	s_delay_alu instid0(SALU_CYCLE_1)
	s_and_b32 exec_lo, exec_lo, s1
	s_cbranch_execz .LBB30_62
; %bb.71:                               ;   in Loop: Header=BB30_63 Depth=2
	v_lshlrev_b64 v[3:4], 3, v[2:3]
	s_delay_alu instid0(VALU_DEP_1) | instskip(NEXT) | instid1(VALU_DEP_2)
	v_add_co_u32 v5, vcc_lo, s38, v3
	v_add_co_ci_u32_e32 v6, vcc_lo, s39, v4, vcc_lo
	v_add_co_u32 v3, vcc_lo, s36, v3
	v_add_co_ci_u32_e32 v4, vcc_lo, s37, v4, vcc_lo
	global_load_b64 v[5:6], v[5:6], off
	s_waitcnt vmcnt(0)
	global_store_b64 v[3:4], v[5:6], off
	s_branch .LBB30_62
.LBB30_72:
	s_nop 0
	s_sendmsg sendmsg(MSG_DEALLOC_VGPRS)
	s_endpgm
	.section	.rodata,"a",@progbits
	.p2align	6, 0x0
	.amdhsa_kernel _ZN9rocsparseL14kernel_freerunILi1024ELi4E21rocsparse_complex_numIfEiiEEvT3_S3_T2_PKS4_S6_PKS3_PKT1_21rocsparse_index_base_S6_S6_S8_PS9_SD_SC_S6_S6_S8_SD_SD_SC_SD_SD_
		.amdhsa_group_segment_fixed_size 0
		.amdhsa_private_segment_fixed_size 0
		.amdhsa_kernarg_size 168
		.amdhsa_user_sgpr_count 15
		.amdhsa_user_sgpr_dispatch_ptr 0
		.amdhsa_user_sgpr_queue_ptr 0
		.amdhsa_user_sgpr_kernarg_segment_ptr 1
		.amdhsa_user_sgpr_dispatch_id 0
		.amdhsa_user_sgpr_private_segment_size 0
		.amdhsa_wavefront_size32 1
		.amdhsa_uses_dynamic_stack 0
		.amdhsa_enable_private_segment 0
		.amdhsa_system_sgpr_workgroup_id_x 1
		.amdhsa_system_sgpr_workgroup_id_y 0
		.amdhsa_system_sgpr_workgroup_id_z 0
		.amdhsa_system_sgpr_workgroup_info 0
		.amdhsa_system_vgpr_workitem_id 0
		.amdhsa_next_free_vgpr 34
		.amdhsa_next_free_sgpr 57
		.amdhsa_reserve_vcc 1
		.amdhsa_float_round_mode_32 0
		.amdhsa_float_round_mode_16_64 0
		.amdhsa_float_denorm_mode_32 3
		.amdhsa_float_denorm_mode_16_64 3
		.amdhsa_dx10_clamp 1
		.amdhsa_ieee_mode 1
		.amdhsa_fp16_overflow 0
		.amdhsa_workgroup_processor_mode 1
		.amdhsa_memory_ordered 1
		.amdhsa_forward_progress 0
		.amdhsa_shared_vgpr_count 0
		.amdhsa_exception_fp_ieee_invalid_op 0
		.amdhsa_exception_fp_denorm_src 0
		.amdhsa_exception_fp_ieee_div_zero 0
		.amdhsa_exception_fp_ieee_overflow 0
		.amdhsa_exception_fp_ieee_underflow 0
		.amdhsa_exception_fp_ieee_inexact 0
		.amdhsa_exception_int_div_zero 0
	.end_amdhsa_kernel
	.section	.text._ZN9rocsparseL14kernel_freerunILi1024ELi4E21rocsparse_complex_numIfEiiEEvT3_S3_T2_PKS4_S6_PKS3_PKT1_21rocsparse_index_base_S6_S6_S8_PS9_SD_SC_S6_S6_S8_SD_SD_SC_SD_SD_,"axG",@progbits,_ZN9rocsparseL14kernel_freerunILi1024ELi4E21rocsparse_complex_numIfEiiEEvT3_S3_T2_PKS4_S6_PKS3_PKT1_21rocsparse_index_base_S6_S6_S8_PS9_SD_SC_S6_S6_S8_SD_SD_SC_SD_SD_,comdat
.Lfunc_end30:
	.size	_ZN9rocsparseL14kernel_freerunILi1024ELi4E21rocsparse_complex_numIfEiiEEvT3_S3_T2_PKS4_S6_PKS3_PKT1_21rocsparse_index_base_S6_S6_S8_PS9_SD_SC_S6_S6_S8_SD_SD_SC_SD_SD_, .Lfunc_end30-_ZN9rocsparseL14kernel_freerunILi1024ELi4E21rocsparse_complex_numIfEiiEEvT3_S3_T2_PKS4_S6_PKS3_PKT1_21rocsparse_index_base_S6_S6_S8_PS9_SD_SC_S6_S6_S8_SD_SD_SC_SD_SD_
                                        ; -- End function
	.section	.AMDGPU.csdata,"",@progbits
; Kernel info:
; codeLenInByte = 3812
; NumSgprs: 59
; NumVgprs: 34
; ScratchSize: 0
; MemoryBound: 0
; FloatMode: 240
; IeeeMode: 1
; LDSByteSize: 0 bytes/workgroup (compile time only)
; SGPRBlocks: 7
; VGPRBlocks: 4
; NumSGPRsForWavesPerEU: 59
; NumVGPRsForWavesPerEU: 34
; Occupancy: 16
; WaveLimiterHint : 1
; COMPUTE_PGM_RSRC2:SCRATCH_EN: 0
; COMPUTE_PGM_RSRC2:USER_SGPR: 15
; COMPUTE_PGM_RSRC2:TRAP_HANDLER: 0
; COMPUTE_PGM_RSRC2:TGID_X_EN: 1
; COMPUTE_PGM_RSRC2:TGID_Y_EN: 0
; COMPUTE_PGM_RSRC2:TGID_Z_EN: 0
; COMPUTE_PGM_RSRC2:TIDIG_COMP_CNT: 0
	.section	.text._ZN9rocsparseL14kernel_freerunILi1024ELi8E21rocsparse_complex_numIfEiiEEvT3_S3_T2_PKS4_S6_PKS3_PKT1_21rocsparse_index_base_S6_S6_S8_PS9_SD_SC_S6_S6_S8_SD_SD_SC_SD_SD_,"axG",@progbits,_ZN9rocsparseL14kernel_freerunILi1024ELi8E21rocsparse_complex_numIfEiiEEvT3_S3_T2_PKS4_S6_PKS3_PKT1_21rocsparse_index_base_S6_S6_S8_PS9_SD_SC_S6_S6_S8_SD_SD_SC_SD_SD_,comdat
	.globl	_ZN9rocsparseL14kernel_freerunILi1024ELi8E21rocsparse_complex_numIfEiiEEvT3_S3_T2_PKS4_S6_PKS3_PKT1_21rocsparse_index_base_S6_S6_S8_PS9_SD_SC_S6_S6_S8_SD_SD_SC_SD_SD_ ; -- Begin function _ZN9rocsparseL14kernel_freerunILi1024ELi8E21rocsparse_complex_numIfEiiEEvT3_S3_T2_PKS4_S6_PKS3_PKT1_21rocsparse_index_base_S6_S6_S8_PS9_SD_SC_S6_S6_S8_SD_SD_SC_SD_SD_
	.p2align	8
	.type	_ZN9rocsparseL14kernel_freerunILi1024ELi8E21rocsparse_complex_numIfEiiEEvT3_S3_T2_PKS4_S6_PKS3_PKT1_21rocsparse_index_base_S6_S6_S8_PS9_SD_SC_S6_S6_S8_SD_SD_SC_SD_SD_,@function
_ZN9rocsparseL14kernel_freerunILi1024ELi8E21rocsparse_complex_numIfEiiEEvT3_S3_T2_PKS4_S6_PKS3_PKT1_21rocsparse_index_base_S6_S6_S8_PS9_SD_SC_S6_S6_S8_SD_SD_SC_SD_SD_: ; @_ZN9rocsparseL14kernel_freerunILi1024ELi8E21rocsparse_complex_numIfEiiEEvT3_S3_T2_PKS4_S6_PKS3_PKT1_21rocsparse_index_base_S6_S6_S8_PS9_SD_SC_S6_S6_S8_SD_SD_SC_SD_SD_
; %bb.0:
	s_load_b64 s[6:7], s[0:1], 0x0
	v_lshrrev_b32_e32 v1, 3, v0
	s_lshl_b32 s44, s15, 10
	s_mov_b32 s5, 0
	s_delay_alu instid0(VALU_DEP_1) | instskip(SKIP_1) | instid1(VALU_DEP_1)
	v_or_b32_e32 v15, s44, v1
	s_waitcnt lgkmcnt(0)
	v_cmp_gt_i32_e32 vcc_lo, s7, v15
	s_cmp_gt_i32 s6, 0
	s_cselect_b32 s2, -1, 0
	s_delay_alu instid0(SALU_CYCLE_1) | instskip(NEXT) | instid1(SALU_CYCLE_1)
	s_and_b32 s2, vcc_lo, s2
	s_and_saveexec_b32 s3, s2
	s_cbranch_execz .LBB31_72
; %bb.1:
	s_clause 0x8
	s_load_b32 s33, s[0:1], 0x30
	s_load_b32 s42, s[0:1], 0x60
	;; [unrolled: 1-line block ×3, first 2 shown]
	s_load_b64 s[34:35], s[0:1], 0x88
	s_load_b64 s[40:41], s[0:1], 0x58
	s_load_b128 s[36:39], s[0:1], 0x98
	s_load_b256 s[8:15], s[0:1], 0x68
	s_load_b256 s[16:23], s[0:1], 0x38
	;; [unrolled: 1-line block ×3, first 2 shown]
	v_dual_mov_b32 v1, 0 :: v_dual_and_b32 v0, 7, v0
	s_addk_i32 s44, 0x400
	s_delay_alu instid0(SALU_CYCLE_1) | instskip(NEXT) | instid1(VALU_DEP_2)
	v_cmp_gt_u32_e64 s0, s44, v15
	v_cmp_eq_u32_e64 s1, 0, v0
	s_waitcnt lgkmcnt(0)
	v_subrev_nc_u32_e32 v16, s33, v0
	v_subrev_nc_u32_e32 v17, s42, v0
	;; [unrolled: 1-line block ×3, first 2 shown]
	s_branch .LBB31_3
.LBB31_2:                               ;   in Loop: Header=BB31_3 Depth=1
	s_or_b32 exec_lo, exec_lo, s3
	s_add_i32 s5, s5, 1
	s_delay_alu instid0(SALU_CYCLE_1)
	s_cmp_eq_u32 s5, s6
	s_cbranch_scc1 .LBB31_72
.LBB31_3:                               ; =>This Loop Header: Depth=1
                                        ;     Child Loop BB31_5 Depth 2
                                        ;       Child Loop BB31_9 Depth 3
                                        ;         Child Loop BB31_13 Depth 4
                                        ;         Child Loop BB31_43 Depth 4
	;; [unrolled: 1-line block ×3, first 2 shown]
                                        ;     Child Loop BB31_63 Depth 2
                                        ;       Child Loop BB31_66 Depth 3
                                        ;       Child Loop BB31_69 Depth 3
	s_mov_b32 s45, 0
	s_branch .LBB31_5
.LBB31_4:                               ;   in Loop: Header=BB31_5 Depth=2
	s_or_b32 exec_lo, exec_lo, s46
	s_add_i32 s45, s45, 1
	s_delay_alu instid0(SALU_CYCLE_1)
	s_cmp_eq_u32 s45, 8
	s_cbranch_scc1 .LBB31_60
.LBB31_5:                               ;   Parent Loop BB31_3 Depth=1
                                        ; =>  This Loop Header: Depth=2
                                        ;       Child Loop BB31_9 Depth 3
                                        ;         Child Loop BB31_13 Depth 4
                                        ;         Child Loop BB31_43 Depth 4
                                        ;         Child Loop BB31_53 Depth 4
	v_lshl_add_u32 v2, s45, 7, v15
	s_mov_b32 s46, exec_lo
	s_delay_alu instid0(VALU_DEP_1)
	v_cmpx_gt_i32_e64 s7, v2
	s_cbranch_execz .LBB31_4
; %bb.6:                                ;   in Loop: Header=BB31_5 Depth=2
	v_ashrrev_i32_e32 v3, 31, v2
	s_delay_alu instid0(VALU_DEP_1) | instskip(NEXT) | instid1(VALU_DEP_1)
	v_lshlrev_b64 v[4:5], 2, v[2:3]
	v_add_co_u32 v6, vcc_lo, s24, v4
	s_delay_alu instid0(VALU_DEP_2)
	v_add_co_ci_u32_e32 v7, vcc_lo, s25, v5, vcc_lo
	v_add_co_u32 v8, vcc_lo, s26, v4
	v_add_co_ci_u32_e32 v9, vcc_lo, s27, v5, vcc_lo
	global_load_b32 v0, v[6:7], off
	global_load_b32 v6, v[8:9], off
	s_waitcnt vmcnt(1)
	v_add_nc_u32_e32 v3, v16, v0
	s_waitcnt vmcnt(0)
	v_subrev_nc_u32_e32 v19, s33, v6
	s_delay_alu instid0(VALU_DEP_1)
	v_cmp_lt_i32_e32 vcc_lo, v3, v19
	s_and_b32 exec_lo, exec_lo, vcc_lo
	s_cbranch_execz .LBB31_4
; %bb.7:                                ;   in Loop: Header=BB31_5 Depth=2
	v_add_co_u32 v6, vcc_lo, s16, v4
	v_add_co_ci_u32_e32 v7, vcc_lo, s17, v5, vcc_lo
	v_add_co_u32 v4, vcc_lo, s18, v4
	v_add_co_ci_u32_e32 v5, vcc_lo, s19, v5, vcc_lo
	global_load_b32 v0, v[6:7], off
	s_mov_b32 s47, 0
	global_load_b32 v4, v[4:5], off
	s_waitcnt vmcnt(1)
	v_subrev_nc_u32_e32 v5, s42, v0
	s_waitcnt vmcnt(0)
	v_sub_nc_u32_e32 v20, v4, v0
	s_delay_alu instid0(VALU_DEP_2) | instskip(NEXT) | instid1(VALU_DEP_2)
	v_ashrrev_i32_e32 v6, 31, v5
	v_cmp_lt_i32_e64 s2, 0, v20
	s_delay_alu instid0(VALU_DEP_2) | instskip(SKIP_1) | instid1(VALU_DEP_2)
	v_lshlrev_b64 v[7:8], 2, v[5:6]
	v_lshlrev_b64 v[9:10], 3, v[5:6]
	v_add_co_u32 v21, vcc_lo, s20, v7
	s_delay_alu instid0(VALU_DEP_3) | instskip(NEXT) | instid1(VALU_DEP_3)
	v_add_co_ci_u32_e32 v22, vcc_lo, s21, v8, vcc_lo
	v_add_co_u32 v23, vcc_lo, s22, v9
	s_delay_alu instid0(VALU_DEP_4)
	v_add_co_ci_u32_e32 v24, vcc_lo, s23, v10, vcc_lo
	s_branch .LBB31_9
.LBB31_8:                               ;   in Loop: Header=BB31_9 Depth=3
	s_or_b32 exec_lo, exec_lo, s4
	v_add_nc_u32_e32 v3, 8, v3
	s_delay_alu instid0(VALU_DEP_1) | instskip(SKIP_1) | instid1(SALU_CYCLE_1)
	v_cmp_ge_i32_e32 vcc_lo, v3, v19
	s_or_b32 s47, vcc_lo, s47
	s_and_not1_b32 exec_lo, exec_lo, s47
	s_cbranch_execz .LBB31_4
.LBB31_9:                               ;   Parent Loop BB31_3 Depth=1
                                        ;     Parent Loop BB31_5 Depth=2
                                        ; =>    This Loop Header: Depth=3
                                        ;         Child Loop BB31_13 Depth 4
                                        ;         Child Loop BB31_43 Depth 4
	;; [unrolled: 1-line block ×3, first 2 shown]
	v_ashrrev_i32_e32 v4, 31, v3
	s_delay_alu instid0(VALU_DEP_1) | instskip(NEXT) | instid1(VALU_DEP_1)
	v_lshlrev_b64 v[6:7], 2, v[3:4]
	v_add_co_u32 v6, vcc_lo, s28, v6
	s_delay_alu instid0(VALU_DEP_2) | instskip(SKIP_4) | instid1(VALU_DEP_2)
	v_add_co_ci_u32_e32 v7, vcc_lo, s29, v7, vcc_lo
	global_load_b32 v0, v[6:7], off
	s_waitcnt vmcnt(0)
	v_subrev_nc_u32_e32 v6, s33, v0
	v_mov_b32_e32 v0, 0
	v_ashrrev_i32_e32 v7, 31, v6
	s_delay_alu instid0(VALU_DEP_1) | instskip(NEXT) | instid1(VALU_DEP_1)
	v_lshlrev_b64 v[8:9], 2, v[6:7]
	v_add_co_u32 v10, vcc_lo, s8, v8
	s_delay_alu instid0(VALU_DEP_2)
	v_add_co_ci_u32_e32 v11, vcc_lo, s9, v9, vcc_lo
	v_add_co_u32 v8, vcc_lo, s10, v8
	v_add_co_ci_u32_e32 v9, vcc_lo, s11, v9, vcc_lo
	global_load_b32 v11, v[10:11], off
	global_load_b32 v12, v[8:9], off
	v_dual_mov_b32 v8, 0 :: v_dual_mov_b32 v9, 0
	s_waitcnt vmcnt(1)
	v_subrev_nc_u32_e32 v10, s43, v11
	s_waitcnt vmcnt(0)
	v_sub_nc_u32_e32 v25, v12, v11
	v_mov_b32_e32 v12, 0
	s_and_saveexec_b32 s4, s2
	s_cbranch_execz .LBB31_17
; %bb.10:                               ;   in Loop: Header=BB31_9 Depth=3
	v_ashrrev_i32_e32 v11, 31, v10
	v_mov_b32_e32 v12, 0
	s_mov_b32 s48, 0
                                        ; implicit-def: $sgpr49
	s_delay_alu instid0(VALU_DEP_2) | instskip(SKIP_1) | instid1(VALU_DEP_2)
	v_lshlrev_b64 v[8:9], 2, v[10:11]
	v_lshlrev_b64 v[26:27], 3, v[10:11]
	v_add_co_u32 v11, vcc_lo, s12, v8
	s_delay_alu instid0(VALU_DEP_3) | instskip(SKIP_1) | instid1(VALU_DEP_4)
	v_add_co_ci_u32_e32 v14, vcc_lo, s13, v9, vcc_lo
	v_mov_b32_e32 v9, 0
	v_add_co_u32 v26, vcc_lo, s14, v26
	v_add_co_ci_u32_e32 v27, vcc_lo, s15, v27, vcc_lo
	v_mov_b32_e32 v0, v12
	v_mov_b32_e32 v8, 0
	s_branch .LBB31_13
.LBB31_11:                              ;   in Loop: Header=BB31_13 Depth=4
	s_or_b32 exec_lo, exec_lo, s3
	v_cmp_le_i32_e32 vcc_lo, v28, v29
	v_cmp_ge_i32_e64 s3, v28, v29
	v_add_co_ci_u32_e32 v0, vcc_lo, 0, v0, vcc_lo
	s_delay_alu instid0(VALU_DEP_2) | instskip(SKIP_1) | instid1(VALU_DEP_2)
	v_add_co_ci_u32_e64 v12, s3, 0, v12, s3
	s_and_not1_b32 s3, s49, exec_lo
	v_cmp_ge_i32_e32 vcc_lo, v0, v20
	s_and_b32 s49, vcc_lo, exec_lo
	s_delay_alu instid0(SALU_CYCLE_1)
	s_or_b32 s49, s3, s49
.LBB31_12:                              ;   in Loop: Header=BB31_13 Depth=4
	s_or_b32 exec_lo, exec_lo, s50
	s_delay_alu instid0(SALU_CYCLE_1) | instskip(NEXT) | instid1(SALU_CYCLE_1)
	s_and_b32 s3, exec_lo, s49
	s_or_b32 s48, s3, s48
	s_delay_alu instid0(SALU_CYCLE_1)
	s_and_not1_b32 exec_lo, exec_lo, s48
	s_cbranch_execz .LBB31_16
.LBB31_13:                              ;   Parent Loop BB31_3 Depth=1
                                        ;     Parent Loop BB31_5 Depth=2
                                        ;       Parent Loop BB31_9 Depth=3
                                        ; =>      This Inner Loop Header: Depth=4
	s_or_b32 s49, s49, exec_lo
	s_mov_b32 s50, exec_lo
	v_cmpx_lt_i32_e64 v12, v25
	s_cbranch_execz .LBB31_12
; %bb.14:                               ;   in Loop: Header=BB31_13 Depth=4
	v_mov_b32_e32 v13, v1
	v_lshlrev_b64 v[28:29], 2, v[0:1]
	s_mov_b32 s3, exec_lo
	s_delay_alu instid0(VALU_DEP_2) | instskip(NEXT) | instid1(VALU_DEP_2)
	v_lshlrev_b64 v[30:31], 2, v[12:13]
	v_add_co_u32 v28, vcc_lo, v21, v28
	s_delay_alu instid0(VALU_DEP_3) | instskip(NEXT) | instid1(VALU_DEP_3)
	v_add_co_ci_u32_e32 v29, vcc_lo, v22, v29, vcc_lo
	v_add_co_u32 v30, vcc_lo, v11, v30
	s_delay_alu instid0(VALU_DEP_4)
	v_add_co_ci_u32_e32 v31, vcc_lo, v14, v31, vcc_lo
	global_load_b32 v28, v[28:29], off
	global_load_b32 v29, v[30:31], off
	s_waitcnt vmcnt(1)
	v_subrev_nc_u32_e32 v28, s42, v28
	s_waitcnt vmcnt(0)
	v_subrev_nc_u32_e32 v29, s43, v29
	s_delay_alu instid0(VALU_DEP_1)
	v_cmpx_eq_u32_e64 v28, v29
	s_cbranch_execz .LBB31_11
; %bb.15:                               ;   in Loop: Header=BB31_13 Depth=4
	v_lshlrev_b64 v[30:31], 3, v[0:1]
	v_lshlrev_b64 v[32:33], 3, v[12:13]
	s_delay_alu instid0(VALU_DEP_2) | instskip(NEXT) | instid1(VALU_DEP_3)
	v_add_co_u32 v30, vcc_lo, v23, v30
	v_add_co_ci_u32_e32 v31, vcc_lo, v24, v31, vcc_lo
	s_delay_alu instid0(VALU_DEP_3) | instskip(NEXT) | instid1(VALU_DEP_4)
	v_add_co_u32 v32, vcc_lo, v26, v32
	v_add_co_ci_u32_e32 v33, vcc_lo, v27, v33, vcc_lo
	global_load_b64 v[30:31], v[30:31], off
	global_load_b64 v[32:33], v[32:33], off
	s_waitcnt vmcnt(0)
	v_fmac_f32_e32 v8, v30, v32
	v_fmac_f32_e32 v9, v31, v32
	s_delay_alu instid0(VALU_DEP_2) | instskip(NEXT) | instid1(VALU_DEP_2)
	v_fma_f32 v8, -v31, v33, v8
	v_fmac_f32_e32 v9, v30, v33
	s_branch .LBB31_11
.LBB31_16:                              ;   in Loop: Header=BB31_9 Depth=3
	s_or_b32 exec_lo, exec_lo, s48
.LBB31_17:                              ;   in Loop: Header=BB31_9 Depth=3
	s_delay_alu instid0(SALU_CYCLE_1) | instskip(SKIP_3) | instid1(VALU_DEP_2)
	s_or_b32 exec_lo, exec_lo, s4
	v_lshlrev_b64 v[13:14], 3, v[3:4]
	v_cmp_le_i32_e64 s3, v2, v6
	s_mov_b32 s48, exec_lo
	v_add_co_u32 v13, vcc_lo, s30, v13
	s_delay_alu instid0(VALU_DEP_3)
	v_add_co_ci_u32_e32 v14, vcc_lo, s31, v14, vcc_lo
	global_load_b64 v[13:14], v[13:14], off
	s_waitcnt vmcnt(0)
	v_dual_sub_f32 v8, v13, v8 :: v_dual_sub_f32 v9, v14, v9
	v_cmpx_gt_i32_e64 v2, v6
	s_cbranch_execz .LBB31_27
; %bb.18:                               ;   in Loop: Header=BB31_9 Depth=3
	v_lshlrev_b64 v[13:14], 3, v[6:7]
                                        ; implicit-def: $vgpr26
	s_mov_b32 s4, exec_lo
	s_delay_alu instid0(VALU_DEP_1) | instskip(NEXT) | instid1(VALU_DEP_2)
	v_add_co_u32 v13, vcc_lo, s36, v13
	v_add_co_ci_u32_e32 v14, vcc_lo, s37, v14, vcc_lo
	global_load_b64 v[13:14], v[13:14], off
	s_waitcnt vmcnt(0)
	v_cmp_gt_f32_e32 vcc_lo, 0, v13
	v_cndmask_b32_e64 v4, v13, -v13, vcc_lo
	v_cmp_gt_f32_e32 vcc_lo, 0, v14
	v_cndmask_b32_e64 v11, v14, -v14, vcc_lo
	s_delay_alu instid0(VALU_DEP_1)
	v_cmpx_ngt_f32_e32 v4, v11
	s_xor_b32 s49, exec_lo, s4
	s_cbranch_execz .LBB31_22
; %bb.19:                               ;   in Loop: Header=BB31_9 Depth=3
	v_mov_b32_e32 v26, 0
	s_mov_b32 s50, exec_lo
	v_cmpx_neq_f32_e32 0, v14
	s_cbranch_execz .LBB31_21
; %bb.20:                               ;   in Loop: Header=BB31_9 Depth=3
	v_div_scale_f32 v26, null, v11, v11, v4
	v_div_scale_f32 v29, vcc_lo, v4, v11, v4
	s_delay_alu instid0(VALU_DEP_2) | instskip(SKIP_2) | instid1(VALU_DEP_1)
	v_rcp_f32_e32 v27, v26
	s_waitcnt_depctr 0xfff
	v_fma_f32 v28, -v26, v27, 1.0
	v_fmac_f32_e32 v27, v28, v27
	s_delay_alu instid0(VALU_DEP_1) | instskip(NEXT) | instid1(VALU_DEP_1)
	v_mul_f32_e32 v28, v29, v27
	v_fma_f32 v30, -v26, v28, v29
	s_delay_alu instid0(VALU_DEP_1) | instskip(NEXT) | instid1(VALU_DEP_1)
	v_fmac_f32_e32 v28, v30, v27
	v_fma_f32 v26, -v26, v28, v29
	s_delay_alu instid0(VALU_DEP_1) | instskip(NEXT) | instid1(VALU_DEP_1)
	v_div_fmas_f32 v26, v26, v27, v28
	v_div_fixup_f32 v4, v26, v11, v4
	s_delay_alu instid0(VALU_DEP_1) | instskip(NEXT) | instid1(VALU_DEP_1)
	v_fma_f32 v4, v4, v4, 1.0
	v_mul_f32_e32 v26, 0x4f800000, v4
	v_cmp_gt_f32_e32 vcc_lo, 0xf800000, v4
	s_delay_alu instid0(VALU_DEP_2) | instskip(NEXT) | instid1(VALU_DEP_1)
	v_cndmask_b32_e32 v4, v4, v26, vcc_lo
	v_sqrt_f32_e32 v26, v4
	s_waitcnt_depctr 0xfff
	v_add_nc_u32_e32 v27, -1, v26
	v_add_nc_u32_e32 v28, 1, v26
	s_delay_alu instid0(VALU_DEP_2) | instskip(NEXT) | instid1(VALU_DEP_2)
	v_fma_f32 v29, -v27, v26, v4
	v_fma_f32 v30, -v28, v26, v4
	s_delay_alu instid0(VALU_DEP_2) | instskip(NEXT) | instid1(VALU_DEP_1)
	v_cmp_ge_f32_e64 s4, 0, v29
	v_cndmask_b32_e64 v26, v26, v27, s4
	s_delay_alu instid0(VALU_DEP_3) | instskip(NEXT) | instid1(VALU_DEP_1)
	v_cmp_lt_f32_e64 s4, 0, v30
	v_cndmask_b32_e64 v26, v26, v28, s4
	s_delay_alu instid0(VALU_DEP_1) | instskip(NEXT) | instid1(VALU_DEP_1)
	v_mul_f32_e32 v27, 0x37800000, v26
	v_cndmask_b32_e32 v26, v26, v27, vcc_lo
	v_cmp_class_f32_e64 vcc_lo, v4, 0x260
	s_delay_alu instid0(VALU_DEP_2) | instskip(NEXT) | instid1(VALU_DEP_1)
	v_cndmask_b32_e32 v4, v26, v4, vcc_lo
	v_mul_f32_e32 v26, v11, v4
.LBB31_21:                              ;   in Loop: Header=BB31_9 Depth=3
	s_or_b32 exec_lo, exec_lo, s50
                                        ; implicit-def: $vgpr4
                                        ; implicit-def: $vgpr11
.LBB31_22:                              ;   in Loop: Header=BB31_9 Depth=3
	s_and_not1_saveexec_b32 s49, s49
	s_cbranch_execz .LBB31_24
; %bb.23:                               ;   in Loop: Header=BB31_9 Depth=3
	v_div_scale_f32 v26, null, v4, v4, v11
	v_div_scale_f32 v29, vcc_lo, v11, v4, v11
	s_delay_alu instid0(VALU_DEP_2) | instskip(SKIP_2) | instid1(VALU_DEP_1)
	v_rcp_f32_e32 v27, v26
	s_waitcnt_depctr 0xfff
	v_fma_f32 v28, -v26, v27, 1.0
	v_fmac_f32_e32 v27, v28, v27
	s_delay_alu instid0(VALU_DEP_1) | instskip(NEXT) | instid1(VALU_DEP_1)
	v_mul_f32_e32 v28, v29, v27
	v_fma_f32 v30, -v26, v28, v29
	s_delay_alu instid0(VALU_DEP_1) | instskip(NEXT) | instid1(VALU_DEP_1)
	v_fmac_f32_e32 v28, v30, v27
	v_fma_f32 v26, -v26, v28, v29
	s_delay_alu instid0(VALU_DEP_1) | instskip(NEXT) | instid1(VALU_DEP_1)
	v_div_fmas_f32 v26, v26, v27, v28
	v_div_fixup_f32 v11, v26, v4, v11
	s_delay_alu instid0(VALU_DEP_1) | instskip(NEXT) | instid1(VALU_DEP_1)
	v_fma_f32 v11, v11, v11, 1.0
	v_mul_f32_e32 v26, 0x4f800000, v11
	v_cmp_gt_f32_e32 vcc_lo, 0xf800000, v11
	s_delay_alu instid0(VALU_DEP_2) | instskip(NEXT) | instid1(VALU_DEP_1)
	v_cndmask_b32_e32 v11, v11, v26, vcc_lo
	v_sqrt_f32_e32 v26, v11
	s_waitcnt_depctr 0xfff
	v_add_nc_u32_e32 v27, -1, v26
	v_add_nc_u32_e32 v28, 1, v26
	s_delay_alu instid0(VALU_DEP_2) | instskip(NEXT) | instid1(VALU_DEP_2)
	v_fma_f32 v29, -v27, v26, v11
	v_fma_f32 v30, -v28, v26, v11
	s_delay_alu instid0(VALU_DEP_2) | instskip(NEXT) | instid1(VALU_DEP_1)
	v_cmp_ge_f32_e64 s4, 0, v29
	v_cndmask_b32_e64 v26, v26, v27, s4
	s_delay_alu instid0(VALU_DEP_3) | instskip(NEXT) | instid1(VALU_DEP_1)
	v_cmp_lt_f32_e64 s4, 0, v30
	v_cndmask_b32_e64 v26, v26, v28, s4
	s_delay_alu instid0(VALU_DEP_1) | instskip(NEXT) | instid1(VALU_DEP_1)
	v_mul_f32_e32 v27, 0x37800000, v26
	v_cndmask_b32_e32 v26, v26, v27, vcc_lo
	v_cmp_class_f32_e64 vcc_lo, v11, 0x260
	s_delay_alu instid0(VALU_DEP_2) | instskip(NEXT) | instid1(VALU_DEP_1)
	v_cndmask_b32_e32 v11, v26, v11, vcc_lo
	v_mul_f32_e32 v26, v4, v11
.LBB31_24:                              ;   in Loop: Header=BB31_9 Depth=3
	s_or_b32 exec_lo, exec_lo, s49
	v_dual_mov_b32 v4, 0 :: v_dual_mov_b32 v11, 0
	s_mov_b32 s4, exec_lo
	s_delay_alu instid0(VALU_DEP_2)
	v_cmpx_lt_f32_e32 0, v26
	s_cbranch_execz .LBB31_26
; %bb.25:                               ;   in Loop: Header=BB31_9 Depth=3
	v_mul_f32_e32 v4, v14, v14
	s_delay_alu instid0(VALU_DEP_1) | instskip(NEXT) | instid1(VALU_DEP_1)
	v_fmac_f32_e32 v4, v13, v13
	v_div_scale_f32 v11, null, v4, v4, 1.0
	v_div_scale_f32 v28, vcc_lo, 1.0, v4, 1.0
	s_delay_alu instid0(VALU_DEP_2) | instskip(SKIP_2) | instid1(VALU_DEP_1)
	v_rcp_f32_e32 v26, v11
	s_waitcnt_depctr 0xfff
	v_fma_f32 v27, -v11, v26, 1.0
	v_fmac_f32_e32 v26, v27, v26
	s_delay_alu instid0(VALU_DEP_1) | instskip(NEXT) | instid1(VALU_DEP_1)
	v_mul_f32_e32 v27, v28, v26
	v_fma_f32 v29, -v11, v27, v28
	s_delay_alu instid0(VALU_DEP_1) | instskip(NEXT) | instid1(VALU_DEP_1)
	v_fmac_f32_e32 v27, v29, v26
	v_fma_f32 v11, -v11, v27, v28
	v_mul_f32_e32 v28, v9, v14
	v_mul_f32_e64 v14, v14, -v8
	s_delay_alu instid0(VALU_DEP_2) | instskip(NEXT) | instid1(VALU_DEP_4)
	v_fmac_f32_e32 v28, v8, v13
	v_div_fmas_f32 v11, v11, v26, v27
	s_delay_alu instid0(VALU_DEP_3) | instskip(NEXT) | instid1(VALU_DEP_2)
	v_fmac_f32_e32 v14, v9, v13
	v_div_fixup_f32 v8, v11, v4, 1.0
	s_delay_alu instid0(VALU_DEP_1) | instskip(NEXT) | instid1(VALU_DEP_3)
	v_mul_f32_e32 v4, v28, v8
	v_mul_f32_e32 v11, v14, v8
.LBB31_26:                              ;   in Loop: Header=BB31_9 Depth=3
	s_or_b32 exec_lo, exec_lo, s4
	s_delay_alu instid0(VALU_DEP_1)
	v_dual_mov_b32 v8, v4 :: v_dual_mov_b32 v9, v11
.LBB31_27:                              ;   in Loop: Header=BB31_9 Depth=3
	s_or_b32 exec_lo, exec_lo, s48
	s_delay_alu instid0(VALU_DEP_1) | instskip(SKIP_4) | instid1(VALU_DEP_1)
	v_cmp_gt_f32_e32 vcc_lo, 0, v8
                                        ; implicit-def: $vgpr13
	s_mov_b32 s4, exec_lo
	v_cndmask_b32_e64 v4, v8, -v8, vcc_lo
	v_cmp_gt_f32_e32 vcc_lo, 0, v9
	v_cndmask_b32_e64 v11, v9, -v9, vcc_lo
	v_cmpx_ngt_f32_e32 v4, v11
	s_xor_b32 s48, exec_lo, s4
	s_cbranch_execnz .LBB31_30
; %bb.28:                               ;   in Loop: Header=BB31_9 Depth=3
	s_and_not1_saveexec_b32 s48, s48
	s_cbranch_execnz .LBB31_33
.LBB31_29:                              ;   in Loop: Header=BB31_9 Depth=3
	s_or_b32 exec_lo, exec_lo, s48
	v_cmp_class_f32_e64 s48, v13, 0x1f8
	s_delay_alu instid0(VALU_DEP_1)
	s_and_saveexec_b32 s4, s48
	s_cbranch_execz .LBB31_8
	s_branch .LBB31_34
.LBB31_30:                              ;   in Loop: Header=BB31_9 Depth=3
	v_mov_b32_e32 v13, 0
	s_mov_b32 s49, exec_lo
	v_cmpx_neq_f32_e32 0, v9
	s_cbranch_execz .LBB31_32
; %bb.31:                               ;   in Loop: Header=BB31_9 Depth=3
	v_div_scale_f32 v13, null, v11, v11, v4
	v_div_scale_f32 v27, vcc_lo, v4, v11, v4
	s_delay_alu instid0(VALU_DEP_2) | instskip(SKIP_2) | instid1(VALU_DEP_1)
	v_rcp_f32_e32 v14, v13
	s_waitcnt_depctr 0xfff
	v_fma_f32 v26, -v13, v14, 1.0
	v_fmac_f32_e32 v14, v26, v14
	s_delay_alu instid0(VALU_DEP_1) | instskip(NEXT) | instid1(VALU_DEP_1)
	v_mul_f32_e32 v26, v27, v14
	v_fma_f32 v28, -v13, v26, v27
	s_delay_alu instid0(VALU_DEP_1) | instskip(NEXT) | instid1(VALU_DEP_1)
	v_fmac_f32_e32 v26, v28, v14
	v_fma_f32 v13, -v13, v26, v27
	s_delay_alu instid0(VALU_DEP_1) | instskip(NEXT) | instid1(VALU_DEP_1)
	v_div_fmas_f32 v13, v13, v14, v26
	v_div_fixup_f32 v4, v13, v11, v4
	s_delay_alu instid0(VALU_DEP_1) | instskip(NEXT) | instid1(VALU_DEP_1)
	v_fma_f32 v4, v4, v4, 1.0
	v_mul_f32_e32 v13, 0x4f800000, v4
	v_cmp_gt_f32_e32 vcc_lo, 0xf800000, v4
	s_delay_alu instid0(VALU_DEP_2) | instskip(NEXT) | instid1(VALU_DEP_1)
	v_cndmask_b32_e32 v4, v4, v13, vcc_lo
	v_sqrt_f32_e32 v13, v4
	s_waitcnt_depctr 0xfff
	v_add_nc_u32_e32 v14, -1, v13
	v_add_nc_u32_e32 v26, 1, v13
	s_delay_alu instid0(VALU_DEP_2) | instskip(NEXT) | instid1(VALU_DEP_2)
	v_fma_f32 v27, -v14, v13, v4
	v_fma_f32 v28, -v26, v13, v4
	s_delay_alu instid0(VALU_DEP_2) | instskip(NEXT) | instid1(VALU_DEP_1)
	v_cmp_ge_f32_e64 s4, 0, v27
	v_cndmask_b32_e64 v13, v13, v14, s4
	s_delay_alu instid0(VALU_DEP_3) | instskip(NEXT) | instid1(VALU_DEP_1)
	v_cmp_lt_f32_e64 s4, 0, v28
	v_cndmask_b32_e64 v13, v13, v26, s4
	s_delay_alu instid0(VALU_DEP_1) | instskip(NEXT) | instid1(VALU_DEP_1)
	v_mul_f32_e32 v14, 0x37800000, v13
	v_cndmask_b32_e32 v13, v13, v14, vcc_lo
	v_cmp_class_f32_e64 vcc_lo, v4, 0x260
	s_delay_alu instid0(VALU_DEP_2) | instskip(NEXT) | instid1(VALU_DEP_1)
	v_cndmask_b32_e32 v4, v13, v4, vcc_lo
	v_mul_f32_e32 v13, v11, v4
.LBB31_32:                              ;   in Loop: Header=BB31_9 Depth=3
	s_or_b32 exec_lo, exec_lo, s49
                                        ; implicit-def: $vgpr4
                                        ; implicit-def: $vgpr11
	s_and_not1_saveexec_b32 s48, s48
	s_cbranch_execz .LBB31_29
.LBB31_33:                              ;   in Loop: Header=BB31_9 Depth=3
	v_div_scale_f32 v13, null, v4, v4, v11
	v_div_scale_f32 v27, vcc_lo, v11, v4, v11
	s_delay_alu instid0(VALU_DEP_2) | instskip(SKIP_2) | instid1(VALU_DEP_1)
	v_rcp_f32_e32 v14, v13
	s_waitcnt_depctr 0xfff
	v_fma_f32 v26, -v13, v14, 1.0
	v_fmac_f32_e32 v14, v26, v14
	s_delay_alu instid0(VALU_DEP_1) | instskip(NEXT) | instid1(VALU_DEP_1)
	v_mul_f32_e32 v26, v27, v14
	v_fma_f32 v28, -v13, v26, v27
	s_delay_alu instid0(VALU_DEP_1) | instskip(NEXT) | instid1(VALU_DEP_1)
	v_fmac_f32_e32 v26, v28, v14
	v_fma_f32 v13, -v13, v26, v27
	s_delay_alu instid0(VALU_DEP_1) | instskip(NEXT) | instid1(VALU_DEP_1)
	v_div_fmas_f32 v13, v13, v14, v26
	v_div_fixup_f32 v11, v13, v4, v11
	s_delay_alu instid0(VALU_DEP_1) | instskip(NEXT) | instid1(VALU_DEP_1)
	v_fma_f32 v11, v11, v11, 1.0
	v_mul_f32_e32 v13, 0x4f800000, v11
	v_cmp_gt_f32_e32 vcc_lo, 0xf800000, v11
	s_delay_alu instid0(VALU_DEP_2) | instskip(NEXT) | instid1(VALU_DEP_1)
	v_cndmask_b32_e32 v11, v11, v13, vcc_lo
	v_sqrt_f32_e32 v13, v11
	s_waitcnt_depctr 0xfff
	v_add_nc_u32_e32 v14, -1, v13
	v_add_nc_u32_e32 v26, 1, v13
	s_delay_alu instid0(VALU_DEP_2) | instskip(NEXT) | instid1(VALU_DEP_2)
	v_fma_f32 v27, -v14, v13, v11
	v_fma_f32 v28, -v26, v13, v11
	s_delay_alu instid0(VALU_DEP_2) | instskip(NEXT) | instid1(VALU_DEP_1)
	v_cmp_ge_f32_e64 s4, 0, v27
	v_cndmask_b32_e64 v13, v13, v14, s4
	s_delay_alu instid0(VALU_DEP_3) | instskip(NEXT) | instid1(VALU_DEP_1)
	v_cmp_lt_f32_e64 s4, 0, v28
	v_cndmask_b32_e64 v13, v13, v26, s4
	s_delay_alu instid0(VALU_DEP_1) | instskip(NEXT) | instid1(VALU_DEP_1)
	v_mul_f32_e32 v14, 0x37800000, v13
	v_cndmask_b32_e32 v13, v13, v14, vcc_lo
	v_cmp_class_f32_e64 vcc_lo, v11, 0x260
	s_delay_alu instid0(VALU_DEP_2) | instskip(NEXT) | instid1(VALU_DEP_1)
	v_cndmask_b32_e32 v11, v13, v11, vcc_lo
	v_mul_f32_e32 v13, v4, v11
	s_or_b32 exec_lo, exec_lo, s48
	s_delay_alu instid0(VALU_DEP_1) | instskip(NEXT) | instid1(VALU_DEP_1)
	v_cmp_class_f32_e64 s48, v13, 0x1f8
	s_and_saveexec_b32 s4, s48
	s_cbranch_execz .LBB31_8
.LBB31_34:                              ;   in Loop: Header=BB31_9 Depth=3
	s_mov_b32 s48, 0
                                        ; implicit-def: $vgpr13_vgpr14
	s_and_saveexec_b32 s49, s3
	s_delay_alu instid0(SALU_CYCLE_1)
	s_xor_b32 s3, exec_lo, s49
	s_cbranch_execnz .LBB31_37
; %bb.35:                               ;   in Loop: Header=BB31_9 Depth=3
	s_and_not1_saveexec_b32 s3, s3
	s_cbranch_execnz .LBB31_50
.LBB31_36:                              ;   in Loop: Header=BB31_9 Depth=3
	s_or_b32 exec_lo, exec_lo, s3
	s_delay_alu instid0(SALU_CYCLE_1)
	s_and_b32 exec_lo, exec_lo, s48
	s_cbranch_execz .LBB31_8
	s_branch .LBB31_59
.LBB31_37:                              ;   in Loop: Header=BB31_9 Depth=3
	s_mov_b32 s49, exec_lo
                                        ; implicit-def: $vgpr13_vgpr14
	v_cmpx_ge_i32_e64 v2, v6
	s_xor_b32 s49, exec_lo, s49
; %bb.38:                               ;   in Loop: Header=BB31_9 Depth=3
	v_lshlrev_b64 v[6:7], 3, v[6:7]
	s_mov_b32 s48, exec_lo
                                        ; implicit-def: $vgpr12
                                        ; implicit-def: $vgpr25
                                        ; implicit-def: $vgpr10
	s_delay_alu instid0(VALU_DEP_1) | instskip(NEXT) | instid1(VALU_DEP_2)
	v_add_co_u32 v13, vcc_lo, s38, v6
	v_add_co_ci_u32_e32 v14, vcc_lo, s39, v7, vcc_lo
; %bb.39:                               ;   in Loop: Header=BB31_9 Depth=3
	s_and_not1_saveexec_b32 s49, s49
	s_cbranch_execz .LBB31_49
; %bb.40:                               ;   in Loop: Header=BB31_9 Depth=3
	s_mov_b32 s51, s48
	s_mov_b32 s50, exec_lo
                                        ; implicit-def: $vgpr13_vgpr14
	v_cmpx_lt_i32_e64 v12, v25
	s_cbranch_execz .LBB31_48
; %bb.41:                               ;   in Loop: Header=BB31_9 Depth=3
	s_mov_b32 s52, 0
                                        ; implicit-def: $sgpr51
                                        ; implicit-def: $sgpr54
                                        ; implicit-def: $sgpr53
	s_set_inst_prefetch_distance 0x1
	s_branch .LBB31_43
	.p2align	6
.LBB31_42:                              ;   in Loop: Header=BB31_43 Depth=4
	s_or_b32 exec_lo, exec_lo, s55
	s_delay_alu instid0(SALU_CYCLE_1) | instskip(NEXT) | instid1(SALU_CYCLE_1)
	s_and_b32 s55, exec_lo, s54
	s_or_b32 s52, s55, s52
	s_and_not1_b32 s51, s51, exec_lo
	s_and_b32 s55, s53, exec_lo
	s_delay_alu instid0(SALU_CYCLE_1)
	s_or_b32 s51, s51, s55
	s_and_not1_b32 exec_lo, exec_lo, s52
	s_cbranch_execz .LBB31_45
.LBB31_43:                              ;   Parent Loop BB31_3 Depth=1
                                        ;     Parent Loop BB31_5 Depth=2
                                        ;       Parent Loop BB31_9 Depth=3
                                        ; =>      This Inner Loop Header: Depth=4
	v_add_nc_u32_e32 v6, v10, v12
	s_or_b32 s53, s53, exec_lo
	s_or_b32 s54, s54, exec_lo
	s_mov_b32 s55, exec_lo
	s_delay_alu instid0(VALU_DEP_1) | instskip(NEXT) | instid1(VALU_DEP_1)
	v_ashrrev_i32_e32 v7, 31, v6
	v_lshlrev_b64 v[13:14], 2, v[6:7]
	s_delay_alu instid0(VALU_DEP_1) | instskip(NEXT) | instid1(VALU_DEP_2)
	v_add_co_u32 v13, vcc_lo, s12, v13
	v_add_co_ci_u32_e32 v14, vcc_lo, s13, v14, vcc_lo
	global_load_b32 v0, v[13:14], off
	s_waitcnt vmcnt(0)
	v_subrev_nc_u32_e32 v0, s43, v0
	s_delay_alu instid0(VALU_DEP_1)
	v_cmpx_ne_u32_e64 v0, v2
	s_cbranch_execz .LBB31_42
; %bb.44:                               ;   in Loop: Header=BB31_43 Depth=4
	v_add_nc_u32_e32 v12, 1, v12
	s_and_not1_b32 s54, s54, exec_lo
	s_and_not1_b32 s53, s53, exec_lo
	s_delay_alu instid0(VALU_DEP_1) | instskip(SKIP_1) | instid1(SALU_CYCLE_1)
	v_cmp_ge_i32_e32 vcc_lo, v12, v25
	s_and_b32 s56, vcc_lo, exec_lo
	s_or_b32 s54, s54, s56
	s_branch .LBB31_42
.LBB31_45:                              ;   in Loop: Header=BB31_9 Depth=3
	s_set_inst_prefetch_distance 0x2
	s_or_b32 exec_lo, exec_lo, s52
	s_mov_b32 s52, s48
                                        ; implicit-def: $vgpr13_vgpr14
	s_and_saveexec_b32 s53, s51
	s_delay_alu instid0(SALU_CYCLE_1)
	s_xor_b32 s51, exec_lo, s53
; %bb.46:                               ;   in Loop: Header=BB31_9 Depth=3
	v_lshlrev_b64 v[6:7], 3, v[6:7]
	s_or_b32 s52, s48, exec_lo
	s_delay_alu instid0(VALU_DEP_1) | instskip(NEXT) | instid1(VALU_DEP_2)
	v_add_co_u32 v13, vcc_lo, s34, v6
	v_add_co_ci_u32_e32 v14, vcc_lo, s35, v7, vcc_lo
; %bb.47:                               ;   in Loop: Header=BB31_9 Depth=3
	s_or_b32 exec_lo, exec_lo, s51
	s_delay_alu instid0(SALU_CYCLE_1) | instskip(SKIP_1) | instid1(SALU_CYCLE_1)
	s_and_not1_b32 s51, s48, exec_lo
	s_and_b32 s52, s52, exec_lo
	s_or_b32 s51, s51, s52
.LBB31_48:                              ;   in Loop: Header=BB31_9 Depth=3
	s_or_b32 exec_lo, exec_lo, s50
	s_delay_alu instid0(SALU_CYCLE_1) | instskip(SKIP_1) | instid1(SALU_CYCLE_1)
	s_and_not1_b32 s48, s48, exec_lo
	s_and_b32 s50, s51, exec_lo
	s_or_b32 s48, s48, s50
.LBB31_49:                              ;   in Loop: Header=BB31_9 Depth=3
	s_or_b32 exec_lo, exec_lo, s49
	s_delay_alu instid0(SALU_CYCLE_1)
	s_and_b32 s48, s48, exec_lo
                                        ; implicit-def: $vgpr6_vgpr7
	s_and_not1_saveexec_b32 s3, s3
	s_cbranch_execz .LBB31_36
.LBB31_50:                              ;   in Loop: Header=BB31_9 Depth=3
	s_mov_b32 s50, s48
	s_mov_b32 s49, exec_lo
                                        ; implicit-def: $vgpr13_vgpr14
	v_cmpx_lt_i32_e64 v0, v20
	s_cbranch_execz .LBB31_58
; %bb.51:                               ;   in Loop: Header=BB31_9 Depth=3
	s_mov_b32 s51, 0
                                        ; implicit-def: $sgpr50
                                        ; implicit-def: $sgpr53
                                        ; implicit-def: $sgpr52
	s_set_inst_prefetch_distance 0x1
	s_branch .LBB31_53
	.p2align	6
.LBB31_52:                              ;   in Loop: Header=BB31_53 Depth=4
	s_or_b32 exec_lo, exec_lo, s54
	s_delay_alu instid0(SALU_CYCLE_1) | instskip(NEXT) | instid1(SALU_CYCLE_1)
	s_and_b32 s54, exec_lo, s53
	s_or_b32 s51, s54, s51
	s_and_not1_b32 s50, s50, exec_lo
	s_and_b32 s54, s52, exec_lo
	s_delay_alu instid0(SALU_CYCLE_1)
	s_or_b32 s50, s50, s54
	s_and_not1_b32 exec_lo, exec_lo, s51
	s_cbranch_execz .LBB31_55
.LBB31_53:                              ;   Parent Loop BB31_3 Depth=1
                                        ;     Parent Loop BB31_5 Depth=2
                                        ;       Parent Loop BB31_9 Depth=3
                                        ; =>      This Inner Loop Header: Depth=4
	v_add_nc_u32_e32 v10, v5, v0
	s_or_b32 s52, s52, exec_lo
	s_or_b32 s53, s53, exec_lo
	s_mov_b32 s54, exec_lo
	s_delay_alu instid0(VALU_DEP_1) | instskip(NEXT) | instid1(VALU_DEP_1)
	v_ashrrev_i32_e32 v11, 31, v10
	v_lshlrev_b64 v[12:13], 2, v[10:11]
	s_delay_alu instid0(VALU_DEP_1) | instskip(NEXT) | instid1(VALU_DEP_2)
	v_add_co_u32 v12, vcc_lo, s20, v12
	v_add_co_ci_u32_e32 v13, vcc_lo, s21, v13, vcc_lo
	global_load_b32 v4, v[12:13], off
	s_waitcnt vmcnt(0)
	v_subrev_nc_u32_e32 v4, s42, v4
	s_delay_alu instid0(VALU_DEP_1)
	v_cmpx_ne_u32_e64 v4, v6
	s_cbranch_execz .LBB31_52
; %bb.54:                               ;   in Loop: Header=BB31_53 Depth=4
	v_add_nc_u32_e32 v0, 1, v0
	s_and_not1_b32 s53, s53, exec_lo
	s_and_not1_b32 s52, s52, exec_lo
	s_delay_alu instid0(VALU_DEP_1) | instskip(SKIP_1) | instid1(SALU_CYCLE_1)
	v_cmp_ge_i32_e32 vcc_lo, v0, v20
	s_and_b32 s55, vcc_lo, exec_lo
	s_or_b32 s53, s53, s55
	s_branch .LBB31_52
.LBB31_55:                              ;   in Loop: Header=BB31_9 Depth=3
	s_set_inst_prefetch_distance 0x2
	s_or_b32 exec_lo, exec_lo, s51
	s_mov_b32 s51, s48
                                        ; implicit-def: $vgpr13_vgpr14
	s_and_saveexec_b32 s52, s50
	s_delay_alu instid0(SALU_CYCLE_1)
	s_xor_b32 s50, exec_lo, s52
; %bb.56:                               ;   in Loop: Header=BB31_9 Depth=3
	v_lshlrev_b64 v[6:7], 3, v[10:11]
	s_or_b32 s51, s48, exec_lo
	s_delay_alu instid0(VALU_DEP_1) | instskip(NEXT) | instid1(VALU_DEP_2)
	v_add_co_u32 v13, vcc_lo, s40, v6
	v_add_co_ci_u32_e32 v14, vcc_lo, s41, v7, vcc_lo
; %bb.57:                               ;   in Loop: Header=BB31_9 Depth=3
	s_or_b32 exec_lo, exec_lo, s50
	s_delay_alu instid0(SALU_CYCLE_1) | instskip(SKIP_1) | instid1(SALU_CYCLE_1)
	s_and_not1_b32 s50, s48, exec_lo
	s_and_b32 s51, s51, exec_lo
	s_or_b32 s50, s50, s51
.LBB31_58:                              ;   in Loop: Header=BB31_9 Depth=3
	s_or_b32 exec_lo, exec_lo, s49
	s_delay_alu instid0(SALU_CYCLE_1) | instskip(SKIP_1) | instid1(SALU_CYCLE_1)
	s_and_not1_b32 s48, s48, exec_lo
	s_and_b32 s49, s50, exec_lo
	s_or_b32 s48, s48, s49
	s_or_b32 exec_lo, exec_lo, s3
	s_delay_alu instid0(SALU_CYCLE_1)
	s_and_b32 exec_lo, exec_lo, s48
	s_cbranch_execz .LBB31_8
.LBB31_59:                              ;   in Loop: Header=BB31_9 Depth=3
	global_store_b64 v[13:14], v[8:9], off
	s_branch .LBB31_8
.LBB31_60:                              ;   in Loop: Header=BB31_3 Depth=1
	s_and_saveexec_b32 s3, s0
	s_cbranch_execz .LBB31_2
; %bb.61:                               ;   in Loop: Header=BB31_3 Depth=1
	v_mov_b32_e32 v2, v15
	s_mov_b32 s4, 0
	s_branch .LBB31_63
.LBB31_62:                              ;   in Loop: Header=BB31_63 Depth=2
	s_or_b32 exec_lo, exec_lo, s45
	v_add_nc_u32_e32 v2, 0x80, v2
	s_delay_alu instid0(VALU_DEP_1) | instskip(SKIP_1) | instid1(SALU_CYCLE_1)
	v_cmp_le_u32_e32 vcc_lo, s44, v2
	s_or_b32 s4, vcc_lo, s4
	s_and_not1_b32 exec_lo, exec_lo, s4
	s_cbranch_execz .LBB31_2
.LBB31_63:                              ;   Parent Loop BB31_3 Depth=1
                                        ; =>  This Loop Header: Depth=2
                                        ;       Child Loop BB31_66 Depth 3
                                        ;       Child Loop BB31_69 Depth 3
	s_mov_b32 s45, exec_lo
	s_delay_alu instid0(VALU_DEP_1)
	v_cmpx_gt_i32_e64 s7, v2
	s_cbranch_execz .LBB31_62
; %bb.64:                               ;   in Loop: Header=BB31_63 Depth=2
	v_ashrrev_i32_e32 v3, 31, v2
	s_mov_b32 s46, exec_lo
	s_delay_alu instid0(VALU_DEP_1) | instskip(NEXT) | instid1(VALU_DEP_1)
	v_lshlrev_b64 v[4:5], 2, v[2:3]
	v_add_co_u32 v6, vcc_lo, s16, v4
	s_delay_alu instid0(VALU_DEP_2)
	v_add_co_ci_u32_e32 v7, vcc_lo, s17, v5, vcc_lo
	v_add_co_u32 v8, vcc_lo, s18, v4
	v_add_co_ci_u32_e32 v9, vcc_lo, s19, v5, vcc_lo
	global_load_b32 v0, v[6:7], off
	global_load_b32 v7, v[8:9], off
	s_waitcnt vmcnt(1)
	v_add_nc_u32_e32 v6, v17, v0
	s_waitcnt vmcnt(0)
	v_subrev_nc_u32_e32 v0, s42, v7
	s_delay_alu instid0(VALU_DEP_1)
	v_cmpx_lt_i32_e64 v6, v0
	s_cbranch_execz .LBB31_67
; %bb.65:                               ;   in Loop: Header=BB31_63 Depth=2
	v_ashrrev_i32_e32 v7, 31, v6
	s_mov_b32 s47, 0
	s_delay_alu instid0(VALU_DEP_1) | instskip(NEXT) | instid1(VALU_DEP_1)
	v_lshlrev_b64 v[9:10], 3, v[6:7]
	v_add_co_u32 v7, vcc_lo, s40, v9
	s_delay_alu instid0(VALU_DEP_2)
	v_add_co_ci_u32_e32 v8, vcc_lo, s41, v10, vcc_lo
	v_add_co_u32 v9, vcc_lo, s22, v9
	v_add_co_ci_u32_e32 v10, vcc_lo, s23, v10, vcc_lo
.LBB31_66:                              ;   Parent Loop BB31_3 Depth=1
                                        ;     Parent Loop BB31_63 Depth=2
                                        ; =>    This Inner Loop Header: Depth=3
	global_load_b64 v[11:12], v[7:8], off
	v_add_nc_u32_e32 v6, 8, v6
	v_add_co_u32 v7, vcc_lo, v7, 64
	v_add_co_ci_u32_e32 v8, vcc_lo, 0, v8, vcc_lo
	s_delay_alu instid0(VALU_DEP_3) | instskip(SKIP_4) | instid1(VALU_DEP_1)
	v_cmp_ge_i32_e32 vcc_lo, v6, v0
	s_or_b32 s47, vcc_lo, s47
	s_waitcnt vmcnt(0)
	global_store_b64 v[9:10], v[11:12], off
	v_add_co_u32 v9, s2, v9, 64
	v_add_co_ci_u32_e64 v10, s2, 0, v10, s2
	s_and_not1_b32 exec_lo, exec_lo, s47
	s_cbranch_execnz .LBB31_66
.LBB31_67:                              ;   in Loop: Header=BB31_63 Depth=2
	s_or_b32 exec_lo, exec_lo, s46
	v_add_co_u32 v6, vcc_lo, s8, v4
	v_add_co_ci_u32_e32 v7, vcc_lo, s9, v5, vcc_lo
	v_add_co_u32 v4, vcc_lo, s10, v4
	v_add_co_ci_u32_e32 v5, vcc_lo, s11, v5, vcc_lo
	s_mov_b32 s46, exec_lo
	global_load_b32 v0, v[6:7], off
	global_load_b32 v5, v[4:5], off
	s_waitcnt vmcnt(1)
	v_add_nc_u32_e32 v4, v18, v0
	s_waitcnt vmcnt(0)
	v_subrev_nc_u32_e32 v0, s43, v5
	s_delay_alu instid0(VALU_DEP_1)
	v_cmpx_lt_i32_e64 v4, v0
	s_cbranch_execz .LBB31_70
; %bb.68:                               ;   in Loop: Header=BB31_63 Depth=2
	v_ashrrev_i32_e32 v5, 31, v4
	s_mov_b32 s47, 0
	s_delay_alu instid0(VALU_DEP_1) | instskip(NEXT) | instid1(VALU_DEP_1)
	v_lshlrev_b64 v[7:8], 3, v[4:5]
	v_add_co_u32 v5, vcc_lo, s34, v7
	s_delay_alu instid0(VALU_DEP_2)
	v_add_co_ci_u32_e32 v6, vcc_lo, s35, v8, vcc_lo
	v_add_co_u32 v7, vcc_lo, s14, v7
	v_add_co_ci_u32_e32 v8, vcc_lo, s15, v8, vcc_lo
.LBB31_69:                              ;   Parent Loop BB31_3 Depth=1
                                        ;     Parent Loop BB31_63 Depth=2
                                        ; =>    This Inner Loop Header: Depth=3
	global_load_b64 v[9:10], v[5:6], off
	v_add_nc_u32_e32 v4, 8, v4
	v_add_co_u32 v5, vcc_lo, v5, 64
	v_add_co_ci_u32_e32 v6, vcc_lo, 0, v6, vcc_lo
	s_delay_alu instid0(VALU_DEP_3) | instskip(SKIP_4) | instid1(VALU_DEP_1)
	v_cmp_ge_i32_e32 vcc_lo, v4, v0
	s_or_b32 s47, vcc_lo, s47
	s_waitcnt vmcnt(0)
	global_store_b64 v[7:8], v[9:10], off
	v_add_co_u32 v7, s2, v7, 64
	v_add_co_ci_u32_e64 v8, s2, 0, v8, s2
	s_and_not1_b32 exec_lo, exec_lo, s47
	s_cbranch_execnz .LBB31_69
.LBB31_70:                              ;   in Loop: Header=BB31_63 Depth=2
	s_or_b32 exec_lo, exec_lo, s46
	s_delay_alu instid0(SALU_CYCLE_1)
	s_and_b32 exec_lo, exec_lo, s1
	s_cbranch_execz .LBB31_62
; %bb.71:                               ;   in Loop: Header=BB31_63 Depth=2
	v_lshlrev_b64 v[3:4], 3, v[2:3]
	s_delay_alu instid0(VALU_DEP_1) | instskip(NEXT) | instid1(VALU_DEP_2)
	v_add_co_u32 v5, vcc_lo, s38, v3
	v_add_co_ci_u32_e32 v6, vcc_lo, s39, v4, vcc_lo
	v_add_co_u32 v3, vcc_lo, s36, v3
	v_add_co_ci_u32_e32 v4, vcc_lo, s37, v4, vcc_lo
	global_load_b64 v[5:6], v[5:6], off
	s_waitcnt vmcnt(0)
	global_store_b64 v[3:4], v[5:6], off
	s_branch .LBB31_62
.LBB31_72:
	s_nop 0
	s_sendmsg sendmsg(MSG_DEALLOC_VGPRS)
	s_endpgm
	.section	.rodata,"a",@progbits
	.p2align	6, 0x0
	.amdhsa_kernel _ZN9rocsparseL14kernel_freerunILi1024ELi8E21rocsparse_complex_numIfEiiEEvT3_S3_T2_PKS4_S6_PKS3_PKT1_21rocsparse_index_base_S6_S6_S8_PS9_SD_SC_S6_S6_S8_SD_SD_SC_SD_SD_
		.amdhsa_group_segment_fixed_size 0
		.amdhsa_private_segment_fixed_size 0
		.amdhsa_kernarg_size 168
		.amdhsa_user_sgpr_count 15
		.amdhsa_user_sgpr_dispatch_ptr 0
		.amdhsa_user_sgpr_queue_ptr 0
		.amdhsa_user_sgpr_kernarg_segment_ptr 1
		.amdhsa_user_sgpr_dispatch_id 0
		.amdhsa_user_sgpr_private_segment_size 0
		.amdhsa_wavefront_size32 1
		.amdhsa_uses_dynamic_stack 0
		.amdhsa_enable_private_segment 0
		.amdhsa_system_sgpr_workgroup_id_x 1
		.amdhsa_system_sgpr_workgroup_id_y 0
		.amdhsa_system_sgpr_workgroup_id_z 0
		.amdhsa_system_sgpr_workgroup_info 0
		.amdhsa_system_vgpr_workitem_id 0
		.amdhsa_next_free_vgpr 34
		.amdhsa_next_free_sgpr 57
		.amdhsa_reserve_vcc 1
		.amdhsa_float_round_mode_32 0
		.amdhsa_float_round_mode_16_64 0
		.amdhsa_float_denorm_mode_32 3
		.amdhsa_float_denorm_mode_16_64 3
		.amdhsa_dx10_clamp 1
		.amdhsa_ieee_mode 1
		.amdhsa_fp16_overflow 0
		.amdhsa_workgroup_processor_mode 1
		.amdhsa_memory_ordered 1
		.amdhsa_forward_progress 0
		.amdhsa_shared_vgpr_count 0
		.amdhsa_exception_fp_ieee_invalid_op 0
		.amdhsa_exception_fp_denorm_src 0
		.amdhsa_exception_fp_ieee_div_zero 0
		.amdhsa_exception_fp_ieee_overflow 0
		.amdhsa_exception_fp_ieee_underflow 0
		.amdhsa_exception_fp_ieee_inexact 0
		.amdhsa_exception_int_div_zero 0
	.end_amdhsa_kernel
	.section	.text._ZN9rocsparseL14kernel_freerunILi1024ELi8E21rocsparse_complex_numIfEiiEEvT3_S3_T2_PKS4_S6_PKS3_PKT1_21rocsparse_index_base_S6_S6_S8_PS9_SD_SC_S6_S6_S8_SD_SD_SC_SD_SD_,"axG",@progbits,_ZN9rocsparseL14kernel_freerunILi1024ELi8E21rocsparse_complex_numIfEiiEEvT3_S3_T2_PKS4_S6_PKS3_PKT1_21rocsparse_index_base_S6_S6_S8_PS9_SD_SC_S6_S6_S8_SD_SD_SC_SD_SD_,comdat
.Lfunc_end31:
	.size	_ZN9rocsparseL14kernel_freerunILi1024ELi8E21rocsparse_complex_numIfEiiEEvT3_S3_T2_PKS4_S6_PKS3_PKT1_21rocsparse_index_base_S6_S6_S8_PS9_SD_SC_S6_S6_S8_SD_SD_SC_SD_SD_, .Lfunc_end31-_ZN9rocsparseL14kernel_freerunILi1024ELi8E21rocsparse_complex_numIfEiiEEvT3_S3_T2_PKS4_S6_PKS3_PKT1_21rocsparse_index_base_S6_S6_S8_PS9_SD_SC_S6_S6_S8_SD_SD_SC_SD_SD_
                                        ; -- End function
	.section	.AMDGPU.csdata,"",@progbits
; Kernel info:
; codeLenInByte = 3812
; NumSgprs: 59
; NumVgprs: 34
; ScratchSize: 0
; MemoryBound: 0
; FloatMode: 240
; IeeeMode: 1
; LDSByteSize: 0 bytes/workgroup (compile time only)
; SGPRBlocks: 7
; VGPRBlocks: 4
; NumSGPRsForWavesPerEU: 59
; NumVGPRsForWavesPerEU: 34
; Occupancy: 16
; WaveLimiterHint : 1
; COMPUTE_PGM_RSRC2:SCRATCH_EN: 0
; COMPUTE_PGM_RSRC2:USER_SGPR: 15
; COMPUTE_PGM_RSRC2:TRAP_HANDLER: 0
; COMPUTE_PGM_RSRC2:TGID_X_EN: 1
; COMPUTE_PGM_RSRC2:TGID_Y_EN: 0
; COMPUTE_PGM_RSRC2:TGID_Z_EN: 0
; COMPUTE_PGM_RSRC2:TIDIG_COMP_CNT: 0
	.section	.text._ZN9rocsparseL14kernel_freerunILi1024ELi16E21rocsparse_complex_numIfEiiEEvT3_S3_T2_PKS4_S6_PKS3_PKT1_21rocsparse_index_base_S6_S6_S8_PS9_SD_SC_S6_S6_S8_SD_SD_SC_SD_SD_,"axG",@progbits,_ZN9rocsparseL14kernel_freerunILi1024ELi16E21rocsparse_complex_numIfEiiEEvT3_S3_T2_PKS4_S6_PKS3_PKT1_21rocsparse_index_base_S6_S6_S8_PS9_SD_SC_S6_S6_S8_SD_SD_SC_SD_SD_,comdat
	.globl	_ZN9rocsparseL14kernel_freerunILi1024ELi16E21rocsparse_complex_numIfEiiEEvT3_S3_T2_PKS4_S6_PKS3_PKT1_21rocsparse_index_base_S6_S6_S8_PS9_SD_SC_S6_S6_S8_SD_SD_SC_SD_SD_ ; -- Begin function _ZN9rocsparseL14kernel_freerunILi1024ELi16E21rocsparse_complex_numIfEiiEEvT3_S3_T2_PKS4_S6_PKS3_PKT1_21rocsparse_index_base_S6_S6_S8_PS9_SD_SC_S6_S6_S8_SD_SD_SC_SD_SD_
	.p2align	8
	.type	_ZN9rocsparseL14kernel_freerunILi1024ELi16E21rocsparse_complex_numIfEiiEEvT3_S3_T2_PKS4_S6_PKS3_PKT1_21rocsparse_index_base_S6_S6_S8_PS9_SD_SC_S6_S6_S8_SD_SD_SC_SD_SD_,@function
_ZN9rocsparseL14kernel_freerunILi1024ELi16E21rocsparse_complex_numIfEiiEEvT3_S3_T2_PKS4_S6_PKS3_PKT1_21rocsparse_index_base_S6_S6_S8_PS9_SD_SC_S6_S6_S8_SD_SD_SC_SD_SD_: ; @_ZN9rocsparseL14kernel_freerunILi1024ELi16E21rocsparse_complex_numIfEiiEEvT3_S3_T2_PKS4_S6_PKS3_PKT1_21rocsparse_index_base_S6_S6_S8_PS9_SD_SC_S6_S6_S8_SD_SD_SC_SD_SD_
; %bb.0:
	s_load_b64 s[6:7], s[0:1], 0x0
	v_lshrrev_b32_e32 v1, 4, v0
	s_lshl_b32 s44, s15, 10
	s_mov_b32 s5, 0
	s_delay_alu instid0(VALU_DEP_1) | instskip(SKIP_1) | instid1(VALU_DEP_1)
	v_or_b32_e32 v15, s44, v1
	s_waitcnt lgkmcnt(0)
	v_cmp_gt_i32_e32 vcc_lo, s7, v15
	s_cmp_gt_i32 s6, 0
	s_cselect_b32 s2, -1, 0
	s_delay_alu instid0(SALU_CYCLE_1) | instskip(NEXT) | instid1(SALU_CYCLE_1)
	s_and_b32 s2, vcc_lo, s2
	s_and_saveexec_b32 s3, s2
	s_cbranch_execz .LBB32_72
; %bb.1:
	s_clause 0x8
	s_load_b32 s33, s[0:1], 0x30
	s_load_b32 s42, s[0:1], 0x60
	;; [unrolled: 1-line block ×3, first 2 shown]
	s_load_b64 s[34:35], s[0:1], 0x88
	s_load_b64 s[40:41], s[0:1], 0x58
	s_load_b128 s[36:39], s[0:1], 0x98
	s_load_b256 s[8:15], s[0:1], 0x68
	s_load_b256 s[16:23], s[0:1], 0x38
	;; [unrolled: 1-line block ×3, first 2 shown]
	v_dual_mov_b32 v1, 0 :: v_dual_and_b32 v0, 15, v0
	s_addk_i32 s44, 0x400
	s_delay_alu instid0(SALU_CYCLE_1) | instskip(NEXT) | instid1(VALU_DEP_2)
	v_cmp_gt_u32_e64 s0, s44, v15
	v_cmp_eq_u32_e64 s1, 0, v0
	s_waitcnt lgkmcnt(0)
	v_subrev_nc_u32_e32 v16, s33, v0
	v_subrev_nc_u32_e32 v17, s42, v0
	;; [unrolled: 1-line block ×3, first 2 shown]
	s_branch .LBB32_3
.LBB32_2:                               ;   in Loop: Header=BB32_3 Depth=1
	s_or_b32 exec_lo, exec_lo, s3
	s_add_i32 s5, s5, 1
	s_delay_alu instid0(SALU_CYCLE_1)
	s_cmp_eq_u32 s5, s6
	s_cbranch_scc1 .LBB32_72
.LBB32_3:                               ; =>This Loop Header: Depth=1
                                        ;     Child Loop BB32_5 Depth 2
                                        ;       Child Loop BB32_9 Depth 3
                                        ;         Child Loop BB32_13 Depth 4
                                        ;         Child Loop BB32_43 Depth 4
	;; [unrolled: 1-line block ×3, first 2 shown]
                                        ;     Child Loop BB32_63 Depth 2
                                        ;       Child Loop BB32_66 Depth 3
                                        ;       Child Loop BB32_69 Depth 3
	s_mov_b32 s45, 0
	s_branch .LBB32_5
.LBB32_4:                               ;   in Loop: Header=BB32_5 Depth=2
	s_or_b32 exec_lo, exec_lo, s46
	s_add_i32 s45, s45, 1
	s_delay_alu instid0(SALU_CYCLE_1)
	s_cmp_eq_u32 s45, 16
	s_cbranch_scc1 .LBB32_60
.LBB32_5:                               ;   Parent Loop BB32_3 Depth=1
                                        ; =>  This Loop Header: Depth=2
                                        ;       Child Loop BB32_9 Depth 3
                                        ;         Child Loop BB32_13 Depth 4
                                        ;         Child Loop BB32_43 Depth 4
	;; [unrolled: 1-line block ×3, first 2 shown]
	v_lshl_add_u32 v2, s45, 6, v15
	s_mov_b32 s46, exec_lo
	s_delay_alu instid0(VALU_DEP_1)
	v_cmpx_gt_i32_e64 s7, v2
	s_cbranch_execz .LBB32_4
; %bb.6:                                ;   in Loop: Header=BB32_5 Depth=2
	v_ashrrev_i32_e32 v3, 31, v2
	s_delay_alu instid0(VALU_DEP_1) | instskip(NEXT) | instid1(VALU_DEP_1)
	v_lshlrev_b64 v[4:5], 2, v[2:3]
	v_add_co_u32 v6, vcc_lo, s24, v4
	s_delay_alu instid0(VALU_DEP_2)
	v_add_co_ci_u32_e32 v7, vcc_lo, s25, v5, vcc_lo
	v_add_co_u32 v8, vcc_lo, s26, v4
	v_add_co_ci_u32_e32 v9, vcc_lo, s27, v5, vcc_lo
	global_load_b32 v0, v[6:7], off
	global_load_b32 v6, v[8:9], off
	s_waitcnt vmcnt(1)
	v_add_nc_u32_e32 v3, v16, v0
	s_waitcnt vmcnt(0)
	v_subrev_nc_u32_e32 v19, s33, v6
	s_delay_alu instid0(VALU_DEP_1)
	v_cmp_lt_i32_e32 vcc_lo, v3, v19
	s_and_b32 exec_lo, exec_lo, vcc_lo
	s_cbranch_execz .LBB32_4
; %bb.7:                                ;   in Loop: Header=BB32_5 Depth=2
	v_add_co_u32 v6, vcc_lo, s16, v4
	v_add_co_ci_u32_e32 v7, vcc_lo, s17, v5, vcc_lo
	v_add_co_u32 v4, vcc_lo, s18, v4
	v_add_co_ci_u32_e32 v5, vcc_lo, s19, v5, vcc_lo
	global_load_b32 v0, v[6:7], off
	s_mov_b32 s47, 0
	global_load_b32 v4, v[4:5], off
	s_waitcnt vmcnt(1)
	v_subrev_nc_u32_e32 v5, s42, v0
	s_waitcnt vmcnt(0)
	v_sub_nc_u32_e32 v20, v4, v0
	s_delay_alu instid0(VALU_DEP_2) | instskip(NEXT) | instid1(VALU_DEP_2)
	v_ashrrev_i32_e32 v6, 31, v5
	v_cmp_lt_i32_e64 s2, 0, v20
	s_delay_alu instid0(VALU_DEP_2) | instskip(SKIP_1) | instid1(VALU_DEP_2)
	v_lshlrev_b64 v[7:8], 2, v[5:6]
	v_lshlrev_b64 v[9:10], 3, v[5:6]
	v_add_co_u32 v21, vcc_lo, s20, v7
	s_delay_alu instid0(VALU_DEP_3) | instskip(NEXT) | instid1(VALU_DEP_3)
	v_add_co_ci_u32_e32 v22, vcc_lo, s21, v8, vcc_lo
	v_add_co_u32 v23, vcc_lo, s22, v9
	s_delay_alu instid0(VALU_DEP_4)
	v_add_co_ci_u32_e32 v24, vcc_lo, s23, v10, vcc_lo
	s_branch .LBB32_9
.LBB32_8:                               ;   in Loop: Header=BB32_9 Depth=3
	s_or_b32 exec_lo, exec_lo, s4
	v_add_nc_u32_e32 v3, 16, v3
	s_delay_alu instid0(VALU_DEP_1) | instskip(SKIP_1) | instid1(SALU_CYCLE_1)
	v_cmp_ge_i32_e32 vcc_lo, v3, v19
	s_or_b32 s47, vcc_lo, s47
	s_and_not1_b32 exec_lo, exec_lo, s47
	s_cbranch_execz .LBB32_4
.LBB32_9:                               ;   Parent Loop BB32_3 Depth=1
                                        ;     Parent Loop BB32_5 Depth=2
                                        ; =>    This Loop Header: Depth=3
                                        ;         Child Loop BB32_13 Depth 4
                                        ;         Child Loop BB32_43 Depth 4
	;; [unrolled: 1-line block ×3, first 2 shown]
	v_ashrrev_i32_e32 v4, 31, v3
	s_delay_alu instid0(VALU_DEP_1) | instskip(NEXT) | instid1(VALU_DEP_1)
	v_lshlrev_b64 v[6:7], 2, v[3:4]
	v_add_co_u32 v6, vcc_lo, s28, v6
	s_delay_alu instid0(VALU_DEP_2) | instskip(SKIP_4) | instid1(VALU_DEP_2)
	v_add_co_ci_u32_e32 v7, vcc_lo, s29, v7, vcc_lo
	global_load_b32 v0, v[6:7], off
	s_waitcnt vmcnt(0)
	v_subrev_nc_u32_e32 v6, s33, v0
	v_mov_b32_e32 v0, 0
	v_ashrrev_i32_e32 v7, 31, v6
	s_delay_alu instid0(VALU_DEP_1) | instskip(NEXT) | instid1(VALU_DEP_1)
	v_lshlrev_b64 v[8:9], 2, v[6:7]
	v_add_co_u32 v10, vcc_lo, s8, v8
	s_delay_alu instid0(VALU_DEP_2)
	v_add_co_ci_u32_e32 v11, vcc_lo, s9, v9, vcc_lo
	v_add_co_u32 v8, vcc_lo, s10, v8
	v_add_co_ci_u32_e32 v9, vcc_lo, s11, v9, vcc_lo
	global_load_b32 v11, v[10:11], off
	global_load_b32 v12, v[8:9], off
	v_dual_mov_b32 v8, 0 :: v_dual_mov_b32 v9, 0
	s_waitcnt vmcnt(1)
	v_subrev_nc_u32_e32 v10, s43, v11
	s_waitcnt vmcnt(0)
	v_sub_nc_u32_e32 v25, v12, v11
	v_mov_b32_e32 v12, 0
	s_and_saveexec_b32 s4, s2
	s_cbranch_execz .LBB32_17
; %bb.10:                               ;   in Loop: Header=BB32_9 Depth=3
	v_ashrrev_i32_e32 v11, 31, v10
	v_mov_b32_e32 v12, 0
	s_mov_b32 s48, 0
                                        ; implicit-def: $sgpr49
	s_delay_alu instid0(VALU_DEP_2) | instskip(SKIP_1) | instid1(VALU_DEP_2)
	v_lshlrev_b64 v[8:9], 2, v[10:11]
	v_lshlrev_b64 v[26:27], 3, v[10:11]
	v_add_co_u32 v11, vcc_lo, s12, v8
	s_delay_alu instid0(VALU_DEP_3) | instskip(SKIP_1) | instid1(VALU_DEP_4)
	v_add_co_ci_u32_e32 v14, vcc_lo, s13, v9, vcc_lo
	v_mov_b32_e32 v9, 0
	v_add_co_u32 v26, vcc_lo, s14, v26
	v_add_co_ci_u32_e32 v27, vcc_lo, s15, v27, vcc_lo
	v_mov_b32_e32 v0, v12
	v_mov_b32_e32 v8, 0
	s_branch .LBB32_13
.LBB32_11:                              ;   in Loop: Header=BB32_13 Depth=4
	s_or_b32 exec_lo, exec_lo, s3
	v_cmp_le_i32_e32 vcc_lo, v28, v29
	v_cmp_ge_i32_e64 s3, v28, v29
	v_add_co_ci_u32_e32 v0, vcc_lo, 0, v0, vcc_lo
	s_delay_alu instid0(VALU_DEP_2) | instskip(SKIP_1) | instid1(VALU_DEP_2)
	v_add_co_ci_u32_e64 v12, s3, 0, v12, s3
	s_and_not1_b32 s3, s49, exec_lo
	v_cmp_ge_i32_e32 vcc_lo, v0, v20
	s_and_b32 s49, vcc_lo, exec_lo
	s_delay_alu instid0(SALU_CYCLE_1)
	s_or_b32 s49, s3, s49
.LBB32_12:                              ;   in Loop: Header=BB32_13 Depth=4
	s_or_b32 exec_lo, exec_lo, s50
	s_delay_alu instid0(SALU_CYCLE_1) | instskip(NEXT) | instid1(SALU_CYCLE_1)
	s_and_b32 s3, exec_lo, s49
	s_or_b32 s48, s3, s48
	s_delay_alu instid0(SALU_CYCLE_1)
	s_and_not1_b32 exec_lo, exec_lo, s48
	s_cbranch_execz .LBB32_16
.LBB32_13:                              ;   Parent Loop BB32_3 Depth=1
                                        ;     Parent Loop BB32_5 Depth=2
                                        ;       Parent Loop BB32_9 Depth=3
                                        ; =>      This Inner Loop Header: Depth=4
	s_or_b32 s49, s49, exec_lo
	s_mov_b32 s50, exec_lo
	v_cmpx_lt_i32_e64 v12, v25
	s_cbranch_execz .LBB32_12
; %bb.14:                               ;   in Loop: Header=BB32_13 Depth=4
	v_mov_b32_e32 v13, v1
	v_lshlrev_b64 v[28:29], 2, v[0:1]
	s_mov_b32 s3, exec_lo
	s_delay_alu instid0(VALU_DEP_2) | instskip(NEXT) | instid1(VALU_DEP_2)
	v_lshlrev_b64 v[30:31], 2, v[12:13]
	v_add_co_u32 v28, vcc_lo, v21, v28
	s_delay_alu instid0(VALU_DEP_3) | instskip(NEXT) | instid1(VALU_DEP_3)
	v_add_co_ci_u32_e32 v29, vcc_lo, v22, v29, vcc_lo
	v_add_co_u32 v30, vcc_lo, v11, v30
	s_delay_alu instid0(VALU_DEP_4)
	v_add_co_ci_u32_e32 v31, vcc_lo, v14, v31, vcc_lo
	global_load_b32 v28, v[28:29], off
	global_load_b32 v29, v[30:31], off
	s_waitcnt vmcnt(1)
	v_subrev_nc_u32_e32 v28, s42, v28
	s_waitcnt vmcnt(0)
	v_subrev_nc_u32_e32 v29, s43, v29
	s_delay_alu instid0(VALU_DEP_1)
	v_cmpx_eq_u32_e64 v28, v29
	s_cbranch_execz .LBB32_11
; %bb.15:                               ;   in Loop: Header=BB32_13 Depth=4
	v_lshlrev_b64 v[30:31], 3, v[0:1]
	v_lshlrev_b64 v[32:33], 3, v[12:13]
	s_delay_alu instid0(VALU_DEP_2) | instskip(NEXT) | instid1(VALU_DEP_3)
	v_add_co_u32 v30, vcc_lo, v23, v30
	v_add_co_ci_u32_e32 v31, vcc_lo, v24, v31, vcc_lo
	s_delay_alu instid0(VALU_DEP_3) | instskip(NEXT) | instid1(VALU_DEP_4)
	v_add_co_u32 v32, vcc_lo, v26, v32
	v_add_co_ci_u32_e32 v33, vcc_lo, v27, v33, vcc_lo
	global_load_b64 v[30:31], v[30:31], off
	global_load_b64 v[32:33], v[32:33], off
	s_waitcnt vmcnt(0)
	v_fmac_f32_e32 v8, v30, v32
	v_fmac_f32_e32 v9, v31, v32
	s_delay_alu instid0(VALU_DEP_2) | instskip(NEXT) | instid1(VALU_DEP_2)
	v_fma_f32 v8, -v31, v33, v8
	v_fmac_f32_e32 v9, v30, v33
	s_branch .LBB32_11
.LBB32_16:                              ;   in Loop: Header=BB32_9 Depth=3
	s_or_b32 exec_lo, exec_lo, s48
.LBB32_17:                              ;   in Loop: Header=BB32_9 Depth=3
	s_delay_alu instid0(SALU_CYCLE_1) | instskip(SKIP_3) | instid1(VALU_DEP_2)
	s_or_b32 exec_lo, exec_lo, s4
	v_lshlrev_b64 v[13:14], 3, v[3:4]
	v_cmp_le_i32_e64 s3, v2, v6
	s_mov_b32 s48, exec_lo
	v_add_co_u32 v13, vcc_lo, s30, v13
	s_delay_alu instid0(VALU_DEP_3)
	v_add_co_ci_u32_e32 v14, vcc_lo, s31, v14, vcc_lo
	global_load_b64 v[13:14], v[13:14], off
	s_waitcnt vmcnt(0)
	v_dual_sub_f32 v8, v13, v8 :: v_dual_sub_f32 v9, v14, v9
	v_cmpx_gt_i32_e64 v2, v6
	s_cbranch_execz .LBB32_27
; %bb.18:                               ;   in Loop: Header=BB32_9 Depth=3
	v_lshlrev_b64 v[13:14], 3, v[6:7]
                                        ; implicit-def: $vgpr26
	s_mov_b32 s4, exec_lo
	s_delay_alu instid0(VALU_DEP_1) | instskip(NEXT) | instid1(VALU_DEP_2)
	v_add_co_u32 v13, vcc_lo, s36, v13
	v_add_co_ci_u32_e32 v14, vcc_lo, s37, v14, vcc_lo
	global_load_b64 v[13:14], v[13:14], off
	s_waitcnt vmcnt(0)
	v_cmp_gt_f32_e32 vcc_lo, 0, v13
	v_cndmask_b32_e64 v4, v13, -v13, vcc_lo
	v_cmp_gt_f32_e32 vcc_lo, 0, v14
	v_cndmask_b32_e64 v11, v14, -v14, vcc_lo
	s_delay_alu instid0(VALU_DEP_1)
	v_cmpx_ngt_f32_e32 v4, v11
	s_xor_b32 s49, exec_lo, s4
	s_cbranch_execz .LBB32_22
; %bb.19:                               ;   in Loop: Header=BB32_9 Depth=3
	v_mov_b32_e32 v26, 0
	s_mov_b32 s50, exec_lo
	v_cmpx_neq_f32_e32 0, v14
	s_cbranch_execz .LBB32_21
; %bb.20:                               ;   in Loop: Header=BB32_9 Depth=3
	v_div_scale_f32 v26, null, v11, v11, v4
	v_div_scale_f32 v29, vcc_lo, v4, v11, v4
	s_delay_alu instid0(VALU_DEP_2) | instskip(SKIP_2) | instid1(VALU_DEP_1)
	v_rcp_f32_e32 v27, v26
	s_waitcnt_depctr 0xfff
	v_fma_f32 v28, -v26, v27, 1.0
	v_fmac_f32_e32 v27, v28, v27
	s_delay_alu instid0(VALU_DEP_1) | instskip(NEXT) | instid1(VALU_DEP_1)
	v_mul_f32_e32 v28, v29, v27
	v_fma_f32 v30, -v26, v28, v29
	s_delay_alu instid0(VALU_DEP_1) | instskip(NEXT) | instid1(VALU_DEP_1)
	v_fmac_f32_e32 v28, v30, v27
	v_fma_f32 v26, -v26, v28, v29
	s_delay_alu instid0(VALU_DEP_1) | instskip(NEXT) | instid1(VALU_DEP_1)
	v_div_fmas_f32 v26, v26, v27, v28
	v_div_fixup_f32 v4, v26, v11, v4
	s_delay_alu instid0(VALU_DEP_1) | instskip(NEXT) | instid1(VALU_DEP_1)
	v_fma_f32 v4, v4, v4, 1.0
	v_mul_f32_e32 v26, 0x4f800000, v4
	v_cmp_gt_f32_e32 vcc_lo, 0xf800000, v4
	s_delay_alu instid0(VALU_DEP_2) | instskip(NEXT) | instid1(VALU_DEP_1)
	v_cndmask_b32_e32 v4, v4, v26, vcc_lo
	v_sqrt_f32_e32 v26, v4
	s_waitcnt_depctr 0xfff
	v_add_nc_u32_e32 v27, -1, v26
	v_add_nc_u32_e32 v28, 1, v26
	s_delay_alu instid0(VALU_DEP_2) | instskip(NEXT) | instid1(VALU_DEP_2)
	v_fma_f32 v29, -v27, v26, v4
	v_fma_f32 v30, -v28, v26, v4
	s_delay_alu instid0(VALU_DEP_2) | instskip(NEXT) | instid1(VALU_DEP_1)
	v_cmp_ge_f32_e64 s4, 0, v29
	v_cndmask_b32_e64 v26, v26, v27, s4
	s_delay_alu instid0(VALU_DEP_3) | instskip(NEXT) | instid1(VALU_DEP_1)
	v_cmp_lt_f32_e64 s4, 0, v30
	v_cndmask_b32_e64 v26, v26, v28, s4
	s_delay_alu instid0(VALU_DEP_1) | instskip(NEXT) | instid1(VALU_DEP_1)
	v_mul_f32_e32 v27, 0x37800000, v26
	v_cndmask_b32_e32 v26, v26, v27, vcc_lo
	v_cmp_class_f32_e64 vcc_lo, v4, 0x260
	s_delay_alu instid0(VALU_DEP_2) | instskip(NEXT) | instid1(VALU_DEP_1)
	v_cndmask_b32_e32 v4, v26, v4, vcc_lo
	v_mul_f32_e32 v26, v11, v4
.LBB32_21:                              ;   in Loop: Header=BB32_9 Depth=3
	s_or_b32 exec_lo, exec_lo, s50
                                        ; implicit-def: $vgpr4
                                        ; implicit-def: $vgpr11
.LBB32_22:                              ;   in Loop: Header=BB32_9 Depth=3
	s_and_not1_saveexec_b32 s49, s49
	s_cbranch_execz .LBB32_24
; %bb.23:                               ;   in Loop: Header=BB32_9 Depth=3
	v_div_scale_f32 v26, null, v4, v4, v11
	v_div_scale_f32 v29, vcc_lo, v11, v4, v11
	s_delay_alu instid0(VALU_DEP_2) | instskip(SKIP_2) | instid1(VALU_DEP_1)
	v_rcp_f32_e32 v27, v26
	s_waitcnt_depctr 0xfff
	v_fma_f32 v28, -v26, v27, 1.0
	v_fmac_f32_e32 v27, v28, v27
	s_delay_alu instid0(VALU_DEP_1) | instskip(NEXT) | instid1(VALU_DEP_1)
	v_mul_f32_e32 v28, v29, v27
	v_fma_f32 v30, -v26, v28, v29
	s_delay_alu instid0(VALU_DEP_1) | instskip(NEXT) | instid1(VALU_DEP_1)
	v_fmac_f32_e32 v28, v30, v27
	v_fma_f32 v26, -v26, v28, v29
	s_delay_alu instid0(VALU_DEP_1) | instskip(NEXT) | instid1(VALU_DEP_1)
	v_div_fmas_f32 v26, v26, v27, v28
	v_div_fixup_f32 v11, v26, v4, v11
	s_delay_alu instid0(VALU_DEP_1) | instskip(NEXT) | instid1(VALU_DEP_1)
	v_fma_f32 v11, v11, v11, 1.0
	v_mul_f32_e32 v26, 0x4f800000, v11
	v_cmp_gt_f32_e32 vcc_lo, 0xf800000, v11
	s_delay_alu instid0(VALU_DEP_2) | instskip(NEXT) | instid1(VALU_DEP_1)
	v_cndmask_b32_e32 v11, v11, v26, vcc_lo
	v_sqrt_f32_e32 v26, v11
	s_waitcnt_depctr 0xfff
	v_add_nc_u32_e32 v27, -1, v26
	v_add_nc_u32_e32 v28, 1, v26
	s_delay_alu instid0(VALU_DEP_2) | instskip(NEXT) | instid1(VALU_DEP_2)
	v_fma_f32 v29, -v27, v26, v11
	v_fma_f32 v30, -v28, v26, v11
	s_delay_alu instid0(VALU_DEP_2) | instskip(NEXT) | instid1(VALU_DEP_1)
	v_cmp_ge_f32_e64 s4, 0, v29
	v_cndmask_b32_e64 v26, v26, v27, s4
	s_delay_alu instid0(VALU_DEP_3) | instskip(NEXT) | instid1(VALU_DEP_1)
	v_cmp_lt_f32_e64 s4, 0, v30
	v_cndmask_b32_e64 v26, v26, v28, s4
	s_delay_alu instid0(VALU_DEP_1) | instskip(NEXT) | instid1(VALU_DEP_1)
	v_mul_f32_e32 v27, 0x37800000, v26
	v_cndmask_b32_e32 v26, v26, v27, vcc_lo
	v_cmp_class_f32_e64 vcc_lo, v11, 0x260
	s_delay_alu instid0(VALU_DEP_2) | instskip(NEXT) | instid1(VALU_DEP_1)
	v_cndmask_b32_e32 v11, v26, v11, vcc_lo
	v_mul_f32_e32 v26, v4, v11
.LBB32_24:                              ;   in Loop: Header=BB32_9 Depth=3
	s_or_b32 exec_lo, exec_lo, s49
	v_dual_mov_b32 v4, 0 :: v_dual_mov_b32 v11, 0
	s_mov_b32 s4, exec_lo
	s_delay_alu instid0(VALU_DEP_2)
	v_cmpx_lt_f32_e32 0, v26
	s_cbranch_execz .LBB32_26
; %bb.25:                               ;   in Loop: Header=BB32_9 Depth=3
	v_mul_f32_e32 v4, v14, v14
	s_delay_alu instid0(VALU_DEP_1) | instskip(NEXT) | instid1(VALU_DEP_1)
	v_fmac_f32_e32 v4, v13, v13
	v_div_scale_f32 v11, null, v4, v4, 1.0
	v_div_scale_f32 v28, vcc_lo, 1.0, v4, 1.0
	s_delay_alu instid0(VALU_DEP_2) | instskip(SKIP_2) | instid1(VALU_DEP_1)
	v_rcp_f32_e32 v26, v11
	s_waitcnt_depctr 0xfff
	v_fma_f32 v27, -v11, v26, 1.0
	v_fmac_f32_e32 v26, v27, v26
	s_delay_alu instid0(VALU_DEP_1) | instskip(NEXT) | instid1(VALU_DEP_1)
	v_mul_f32_e32 v27, v28, v26
	v_fma_f32 v29, -v11, v27, v28
	s_delay_alu instid0(VALU_DEP_1) | instskip(NEXT) | instid1(VALU_DEP_1)
	v_fmac_f32_e32 v27, v29, v26
	v_fma_f32 v11, -v11, v27, v28
	v_mul_f32_e32 v28, v9, v14
	v_mul_f32_e64 v14, v14, -v8
	s_delay_alu instid0(VALU_DEP_2) | instskip(NEXT) | instid1(VALU_DEP_4)
	v_fmac_f32_e32 v28, v8, v13
	v_div_fmas_f32 v11, v11, v26, v27
	s_delay_alu instid0(VALU_DEP_3) | instskip(NEXT) | instid1(VALU_DEP_2)
	v_fmac_f32_e32 v14, v9, v13
	v_div_fixup_f32 v8, v11, v4, 1.0
	s_delay_alu instid0(VALU_DEP_1) | instskip(NEXT) | instid1(VALU_DEP_3)
	v_mul_f32_e32 v4, v28, v8
	v_mul_f32_e32 v11, v14, v8
.LBB32_26:                              ;   in Loop: Header=BB32_9 Depth=3
	s_or_b32 exec_lo, exec_lo, s4
	s_delay_alu instid0(VALU_DEP_1)
	v_dual_mov_b32 v8, v4 :: v_dual_mov_b32 v9, v11
.LBB32_27:                              ;   in Loop: Header=BB32_9 Depth=3
	s_or_b32 exec_lo, exec_lo, s48
	s_delay_alu instid0(VALU_DEP_1) | instskip(SKIP_4) | instid1(VALU_DEP_1)
	v_cmp_gt_f32_e32 vcc_lo, 0, v8
                                        ; implicit-def: $vgpr13
	s_mov_b32 s4, exec_lo
	v_cndmask_b32_e64 v4, v8, -v8, vcc_lo
	v_cmp_gt_f32_e32 vcc_lo, 0, v9
	v_cndmask_b32_e64 v11, v9, -v9, vcc_lo
	v_cmpx_ngt_f32_e32 v4, v11
	s_xor_b32 s48, exec_lo, s4
	s_cbranch_execnz .LBB32_30
; %bb.28:                               ;   in Loop: Header=BB32_9 Depth=3
	s_and_not1_saveexec_b32 s48, s48
	s_cbranch_execnz .LBB32_33
.LBB32_29:                              ;   in Loop: Header=BB32_9 Depth=3
	s_or_b32 exec_lo, exec_lo, s48
	v_cmp_class_f32_e64 s48, v13, 0x1f8
	s_delay_alu instid0(VALU_DEP_1)
	s_and_saveexec_b32 s4, s48
	s_cbranch_execz .LBB32_8
	s_branch .LBB32_34
.LBB32_30:                              ;   in Loop: Header=BB32_9 Depth=3
	v_mov_b32_e32 v13, 0
	s_mov_b32 s49, exec_lo
	v_cmpx_neq_f32_e32 0, v9
	s_cbranch_execz .LBB32_32
; %bb.31:                               ;   in Loop: Header=BB32_9 Depth=3
	v_div_scale_f32 v13, null, v11, v11, v4
	v_div_scale_f32 v27, vcc_lo, v4, v11, v4
	s_delay_alu instid0(VALU_DEP_2) | instskip(SKIP_2) | instid1(VALU_DEP_1)
	v_rcp_f32_e32 v14, v13
	s_waitcnt_depctr 0xfff
	v_fma_f32 v26, -v13, v14, 1.0
	v_fmac_f32_e32 v14, v26, v14
	s_delay_alu instid0(VALU_DEP_1) | instskip(NEXT) | instid1(VALU_DEP_1)
	v_mul_f32_e32 v26, v27, v14
	v_fma_f32 v28, -v13, v26, v27
	s_delay_alu instid0(VALU_DEP_1) | instskip(NEXT) | instid1(VALU_DEP_1)
	v_fmac_f32_e32 v26, v28, v14
	v_fma_f32 v13, -v13, v26, v27
	s_delay_alu instid0(VALU_DEP_1) | instskip(NEXT) | instid1(VALU_DEP_1)
	v_div_fmas_f32 v13, v13, v14, v26
	v_div_fixup_f32 v4, v13, v11, v4
	s_delay_alu instid0(VALU_DEP_1) | instskip(NEXT) | instid1(VALU_DEP_1)
	v_fma_f32 v4, v4, v4, 1.0
	v_mul_f32_e32 v13, 0x4f800000, v4
	v_cmp_gt_f32_e32 vcc_lo, 0xf800000, v4
	s_delay_alu instid0(VALU_DEP_2) | instskip(NEXT) | instid1(VALU_DEP_1)
	v_cndmask_b32_e32 v4, v4, v13, vcc_lo
	v_sqrt_f32_e32 v13, v4
	s_waitcnt_depctr 0xfff
	v_add_nc_u32_e32 v14, -1, v13
	v_add_nc_u32_e32 v26, 1, v13
	s_delay_alu instid0(VALU_DEP_2) | instskip(NEXT) | instid1(VALU_DEP_2)
	v_fma_f32 v27, -v14, v13, v4
	v_fma_f32 v28, -v26, v13, v4
	s_delay_alu instid0(VALU_DEP_2) | instskip(NEXT) | instid1(VALU_DEP_1)
	v_cmp_ge_f32_e64 s4, 0, v27
	v_cndmask_b32_e64 v13, v13, v14, s4
	s_delay_alu instid0(VALU_DEP_3) | instskip(NEXT) | instid1(VALU_DEP_1)
	v_cmp_lt_f32_e64 s4, 0, v28
	v_cndmask_b32_e64 v13, v13, v26, s4
	s_delay_alu instid0(VALU_DEP_1) | instskip(NEXT) | instid1(VALU_DEP_1)
	v_mul_f32_e32 v14, 0x37800000, v13
	v_cndmask_b32_e32 v13, v13, v14, vcc_lo
	v_cmp_class_f32_e64 vcc_lo, v4, 0x260
	s_delay_alu instid0(VALU_DEP_2) | instskip(NEXT) | instid1(VALU_DEP_1)
	v_cndmask_b32_e32 v4, v13, v4, vcc_lo
	v_mul_f32_e32 v13, v11, v4
.LBB32_32:                              ;   in Loop: Header=BB32_9 Depth=3
	s_or_b32 exec_lo, exec_lo, s49
                                        ; implicit-def: $vgpr4
                                        ; implicit-def: $vgpr11
	s_and_not1_saveexec_b32 s48, s48
	s_cbranch_execz .LBB32_29
.LBB32_33:                              ;   in Loop: Header=BB32_9 Depth=3
	v_div_scale_f32 v13, null, v4, v4, v11
	v_div_scale_f32 v27, vcc_lo, v11, v4, v11
	s_delay_alu instid0(VALU_DEP_2) | instskip(SKIP_2) | instid1(VALU_DEP_1)
	v_rcp_f32_e32 v14, v13
	s_waitcnt_depctr 0xfff
	v_fma_f32 v26, -v13, v14, 1.0
	v_fmac_f32_e32 v14, v26, v14
	s_delay_alu instid0(VALU_DEP_1) | instskip(NEXT) | instid1(VALU_DEP_1)
	v_mul_f32_e32 v26, v27, v14
	v_fma_f32 v28, -v13, v26, v27
	s_delay_alu instid0(VALU_DEP_1) | instskip(NEXT) | instid1(VALU_DEP_1)
	v_fmac_f32_e32 v26, v28, v14
	v_fma_f32 v13, -v13, v26, v27
	s_delay_alu instid0(VALU_DEP_1) | instskip(NEXT) | instid1(VALU_DEP_1)
	v_div_fmas_f32 v13, v13, v14, v26
	v_div_fixup_f32 v11, v13, v4, v11
	s_delay_alu instid0(VALU_DEP_1) | instskip(NEXT) | instid1(VALU_DEP_1)
	v_fma_f32 v11, v11, v11, 1.0
	v_mul_f32_e32 v13, 0x4f800000, v11
	v_cmp_gt_f32_e32 vcc_lo, 0xf800000, v11
	s_delay_alu instid0(VALU_DEP_2) | instskip(NEXT) | instid1(VALU_DEP_1)
	v_cndmask_b32_e32 v11, v11, v13, vcc_lo
	v_sqrt_f32_e32 v13, v11
	s_waitcnt_depctr 0xfff
	v_add_nc_u32_e32 v14, -1, v13
	v_add_nc_u32_e32 v26, 1, v13
	s_delay_alu instid0(VALU_DEP_2) | instskip(NEXT) | instid1(VALU_DEP_2)
	v_fma_f32 v27, -v14, v13, v11
	v_fma_f32 v28, -v26, v13, v11
	s_delay_alu instid0(VALU_DEP_2) | instskip(NEXT) | instid1(VALU_DEP_1)
	v_cmp_ge_f32_e64 s4, 0, v27
	v_cndmask_b32_e64 v13, v13, v14, s4
	s_delay_alu instid0(VALU_DEP_3) | instskip(NEXT) | instid1(VALU_DEP_1)
	v_cmp_lt_f32_e64 s4, 0, v28
	v_cndmask_b32_e64 v13, v13, v26, s4
	s_delay_alu instid0(VALU_DEP_1) | instskip(NEXT) | instid1(VALU_DEP_1)
	v_mul_f32_e32 v14, 0x37800000, v13
	v_cndmask_b32_e32 v13, v13, v14, vcc_lo
	v_cmp_class_f32_e64 vcc_lo, v11, 0x260
	s_delay_alu instid0(VALU_DEP_2) | instskip(NEXT) | instid1(VALU_DEP_1)
	v_cndmask_b32_e32 v11, v13, v11, vcc_lo
	v_mul_f32_e32 v13, v4, v11
	s_or_b32 exec_lo, exec_lo, s48
	s_delay_alu instid0(VALU_DEP_1) | instskip(NEXT) | instid1(VALU_DEP_1)
	v_cmp_class_f32_e64 s48, v13, 0x1f8
	s_and_saveexec_b32 s4, s48
	s_cbranch_execz .LBB32_8
.LBB32_34:                              ;   in Loop: Header=BB32_9 Depth=3
	s_mov_b32 s48, 0
                                        ; implicit-def: $vgpr13_vgpr14
	s_and_saveexec_b32 s49, s3
	s_delay_alu instid0(SALU_CYCLE_1)
	s_xor_b32 s3, exec_lo, s49
	s_cbranch_execnz .LBB32_37
; %bb.35:                               ;   in Loop: Header=BB32_9 Depth=3
	s_and_not1_saveexec_b32 s3, s3
	s_cbranch_execnz .LBB32_50
.LBB32_36:                              ;   in Loop: Header=BB32_9 Depth=3
	s_or_b32 exec_lo, exec_lo, s3
	s_delay_alu instid0(SALU_CYCLE_1)
	s_and_b32 exec_lo, exec_lo, s48
	s_cbranch_execz .LBB32_8
	s_branch .LBB32_59
.LBB32_37:                              ;   in Loop: Header=BB32_9 Depth=3
	s_mov_b32 s49, exec_lo
                                        ; implicit-def: $vgpr13_vgpr14
	v_cmpx_ge_i32_e64 v2, v6
	s_xor_b32 s49, exec_lo, s49
; %bb.38:                               ;   in Loop: Header=BB32_9 Depth=3
	v_lshlrev_b64 v[6:7], 3, v[6:7]
	s_mov_b32 s48, exec_lo
                                        ; implicit-def: $vgpr12
                                        ; implicit-def: $vgpr25
                                        ; implicit-def: $vgpr10
	s_delay_alu instid0(VALU_DEP_1) | instskip(NEXT) | instid1(VALU_DEP_2)
	v_add_co_u32 v13, vcc_lo, s38, v6
	v_add_co_ci_u32_e32 v14, vcc_lo, s39, v7, vcc_lo
; %bb.39:                               ;   in Loop: Header=BB32_9 Depth=3
	s_and_not1_saveexec_b32 s49, s49
	s_cbranch_execz .LBB32_49
; %bb.40:                               ;   in Loop: Header=BB32_9 Depth=3
	s_mov_b32 s51, s48
	s_mov_b32 s50, exec_lo
                                        ; implicit-def: $vgpr13_vgpr14
	v_cmpx_lt_i32_e64 v12, v25
	s_cbranch_execz .LBB32_48
; %bb.41:                               ;   in Loop: Header=BB32_9 Depth=3
	s_mov_b32 s52, 0
                                        ; implicit-def: $sgpr51
                                        ; implicit-def: $sgpr54
                                        ; implicit-def: $sgpr53
	s_set_inst_prefetch_distance 0x1
	s_branch .LBB32_43
	.p2align	6
.LBB32_42:                              ;   in Loop: Header=BB32_43 Depth=4
	s_or_b32 exec_lo, exec_lo, s55
	s_delay_alu instid0(SALU_CYCLE_1) | instskip(NEXT) | instid1(SALU_CYCLE_1)
	s_and_b32 s55, exec_lo, s54
	s_or_b32 s52, s55, s52
	s_and_not1_b32 s51, s51, exec_lo
	s_and_b32 s55, s53, exec_lo
	s_delay_alu instid0(SALU_CYCLE_1)
	s_or_b32 s51, s51, s55
	s_and_not1_b32 exec_lo, exec_lo, s52
	s_cbranch_execz .LBB32_45
.LBB32_43:                              ;   Parent Loop BB32_3 Depth=1
                                        ;     Parent Loop BB32_5 Depth=2
                                        ;       Parent Loop BB32_9 Depth=3
                                        ; =>      This Inner Loop Header: Depth=4
	v_add_nc_u32_e32 v6, v10, v12
	s_or_b32 s53, s53, exec_lo
	s_or_b32 s54, s54, exec_lo
	s_mov_b32 s55, exec_lo
	s_delay_alu instid0(VALU_DEP_1) | instskip(NEXT) | instid1(VALU_DEP_1)
	v_ashrrev_i32_e32 v7, 31, v6
	v_lshlrev_b64 v[13:14], 2, v[6:7]
	s_delay_alu instid0(VALU_DEP_1) | instskip(NEXT) | instid1(VALU_DEP_2)
	v_add_co_u32 v13, vcc_lo, s12, v13
	v_add_co_ci_u32_e32 v14, vcc_lo, s13, v14, vcc_lo
	global_load_b32 v0, v[13:14], off
	s_waitcnt vmcnt(0)
	v_subrev_nc_u32_e32 v0, s43, v0
	s_delay_alu instid0(VALU_DEP_1)
	v_cmpx_ne_u32_e64 v0, v2
	s_cbranch_execz .LBB32_42
; %bb.44:                               ;   in Loop: Header=BB32_43 Depth=4
	v_add_nc_u32_e32 v12, 1, v12
	s_and_not1_b32 s54, s54, exec_lo
	s_and_not1_b32 s53, s53, exec_lo
	s_delay_alu instid0(VALU_DEP_1) | instskip(SKIP_1) | instid1(SALU_CYCLE_1)
	v_cmp_ge_i32_e32 vcc_lo, v12, v25
	s_and_b32 s56, vcc_lo, exec_lo
	s_or_b32 s54, s54, s56
	s_branch .LBB32_42
.LBB32_45:                              ;   in Loop: Header=BB32_9 Depth=3
	s_set_inst_prefetch_distance 0x2
	s_or_b32 exec_lo, exec_lo, s52
	s_mov_b32 s52, s48
                                        ; implicit-def: $vgpr13_vgpr14
	s_and_saveexec_b32 s53, s51
	s_delay_alu instid0(SALU_CYCLE_1)
	s_xor_b32 s51, exec_lo, s53
; %bb.46:                               ;   in Loop: Header=BB32_9 Depth=3
	v_lshlrev_b64 v[6:7], 3, v[6:7]
	s_or_b32 s52, s48, exec_lo
	s_delay_alu instid0(VALU_DEP_1) | instskip(NEXT) | instid1(VALU_DEP_2)
	v_add_co_u32 v13, vcc_lo, s34, v6
	v_add_co_ci_u32_e32 v14, vcc_lo, s35, v7, vcc_lo
; %bb.47:                               ;   in Loop: Header=BB32_9 Depth=3
	s_or_b32 exec_lo, exec_lo, s51
	s_delay_alu instid0(SALU_CYCLE_1) | instskip(SKIP_1) | instid1(SALU_CYCLE_1)
	s_and_not1_b32 s51, s48, exec_lo
	s_and_b32 s52, s52, exec_lo
	s_or_b32 s51, s51, s52
.LBB32_48:                              ;   in Loop: Header=BB32_9 Depth=3
	s_or_b32 exec_lo, exec_lo, s50
	s_delay_alu instid0(SALU_CYCLE_1) | instskip(SKIP_1) | instid1(SALU_CYCLE_1)
	s_and_not1_b32 s48, s48, exec_lo
	s_and_b32 s50, s51, exec_lo
	s_or_b32 s48, s48, s50
.LBB32_49:                              ;   in Loop: Header=BB32_9 Depth=3
	s_or_b32 exec_lo, exec_lo, s49
	s_delay_alu instid0(SALU_CYCLE_1)
	s_and_b32 s48, s48, exec_lo
                                        ; implicit-def: $vgpr6_vgpr7
	s_and_not1_saveexec_b32 s3, s3
	s_cbranch_execz .LBB32_36
.LBB32_50:                              ;   in Loop: Header=BB32_9 Depth=3
	s_mov_b32 s50, s48
	s_mov_b32 s49, exec_lo
                                        ; implicit-def: $vgpr13_vgpr14
	v_cmpx_lt_i32_e64 v0, v20
	s_cbranch_execz .LBB32_58
; %bb.51:                               ;   in Loop: Header=BB32_9 Depth=3
	s_mov_b32 s51, 0
                                        ; implicit-def: $sgpr50
                                        ; implicit-def: $sgpr53
                                        ; implicit-def: $sgpr52
	s_set_inst_prefetch_distance 0x1
	s_branch .LBB32_53
	.p2align	6
.LBB32_52:                              ;   in Loop: Header=BB32_53 Depth=4
	s_or_b32 exec_lo, exec_lo, s54
	s_delay_alu instid0(SALU_CYCLE_1) | instskip(NEXT) | instid1(SALU_CYCLE_1)
	s_and_b32 s54, exec_lo, s53
	s_or_b32 s51, s54, s51
	s_and_not1_b32 s50, s50, exec_lo
	s_and_b32 s54, s52, exec_lo
	s_delay_alu instid0(SALU_CYCLE_1)
	s_or_b32 s50, s50, s54
	s_and_not1_b32 exec_lo, exec_lo, s51
	s_cbranch_execz .LBB32_55
.LBB32_53:                              ;   Parent Loop BB32_3 Depth=1
                                        ;     Parent Loop BB32_5 Depth=2
                                        ;       Parent Loop BB32_9 Depth=3
                                        ; =>      This Inner Loop Header: Depth=4
	v_add_nc_u32_e32 v10, v5, v0
	s_or_b32 s52, s52, exec_lo
	s_or_b32 s53, s53, exec_lo
	s_mov_b32 s54, exec_lo
	s_delay_alu instid0(VALU_DEP_1) | instskip(NEXT) | instid1(VALU_DEP_1)
	v_ashrrev_i32_e32 v11, 31, v10
	v_lshlrev_b64 v[12:13], 2, v[10:11]
	s_delay_alu instid0(VALU_DEP_1) | instskip(NEXT) | instid1(VALU_DEP_2)
	v_add_co_u32 v12, vcc_lo, s20, v12
	v_add_co_ci_u32_e32 v13, vcc_lo, s21, v13, vcc_lo
	global_load_b32 v4, v[12:13], off
	s_waitcnt vmcnt(0)
	v_subrev_nc_u32_e32 v4, s42, v4
	s_delay_alu instid0(VALU_DEP_1)
	v_cmpx_ne_u32_e64 v4, v6
	s_cbranch_execz .LBB32_52
; %bb.54:                               ;   in Loop: Header=BB32_53 Depth=4
	v_add_nc_u32_e32 v0, 1, v0
	s_and_not1_b32 s53, s53, exec_lo
	s_and_not1_b32 s52, s52, exec_lo
	s_delay_alu instid0(VALU_DEP_1) | instskip(SKIP_1) | instid1(SALU_CYCLE_1)
	v_cmp_ge_i32_e32 vcc_lo, v0, v20
	s_and_b32 s55, vcc_lo, exec_lo
	s_or_b32 s53, s53, s55
	s_branch .LBB32_52
.LBB32_55:                              ;   in Loop: Header=BB32_9 Depth=3
	s_set_inst_prefetch_distance 0x2
	s_or_b32 exec_lo, exec_lo, s51
	s_mov_b32 s51, s48
                                        ; implicit-def: $vgpr13_vgpr14
	s_and_saveexec_b32 s52, s50
	s_delay_alu instid0(SALU_CYCLE_1)
	s_xor_b32 s50, exec_lo, s52
; %bb.56:                               ;   in Loop: Header=BB32_9 Depth=3
	v_lshlrev_b64 v[6:7], 3, v[10:11]
	s_or_b32 s51, s48, exec_lo
	s_delay_alu instid0(VALU_DEP_1) | instskip(NEXT) | instid1(VALU_DEP_2)
	v_add_co_u32 v13, vcc_lo, s40, v6
	v_add_co_ci_u32_e32 v14, vcc_lo, s41, v7, vcc_lo
; %bb.57:                               ;   in Loop: Header=BB32_9 Depth=3
	s_or_b32 exec_lo, exec_lo, s50
	s_delay_alu instid0(SALU_CYCLE_1) | instskip(SKIP_1) | instid1(SALU_CYCLE_1)
	s_and_not1_b32 s50, s48, exec_lo
	s_and_b32 s51, s51, exec_lo
	s_or_b32 s50, s50, s51
.LBB32_58:                              ;   in Loop: Header=BB32_9 Depth=3
	s_or_b32 exec_lo, exec_lo, s49
	s_delay_alu instid0(SALU_CYCLE_1) | instskip(SKIP_1) | instid1(SALU_CYCLE_1)
	s_and_not1_b32 s48, s48, exec_lo
	s_and_b32 s49, s50, exec_lo
	s_or_b32 s48, s48, s49
	s_or_b32 exec_lo, exec_lo, s3
	s_delay_alu instid0(SALU_CYCLE_1)
	s_and_b32 exec_lo, exec_lo, s48
	s_cbranch_execz .LBB32_8
.LBB32_59:                              ;   in Loop: Header=BB32_9 Depth=3
	global_store_b64 v[13:14], v[8:9], off
	s_branch .LBB32_8
.LBB32_60:                              ;   in Loop: Header=BB32_3 Depth=1
	s_and_saveexec_b32 s3, s0
	s_cbranch_execz .LBB32_2
; %bb.61:                               ;   in Loop: Header=BB32_3 Depth=1
	v_mov_b32_e32 v2, v15
	s_mov_b32 s4, 0
	s_branch .LBB32_63
.LBB32_62:                              ;   in Loop: Header=BB32_63 Depth=2
	s_or_b32 exec_lo, exec_lo, s45
	v_add_nc_u32_e32 v2, 64, v2
	s_delay_alu instid0(VALU_DEP_1) | instskip(SKIP_1) | instid1(SALU_CYCLE_1)
	v_cmp_le_u32_e32 vcc_lo, s44, v2
	s_or_b32 s4, vcc_lo, s4
	s_and_not1_b32 exec_lo, exec_lo, s4
	s_cbranch_execz .LBB32_2
.LBB32_63:                              ;   Parent Loop BB32_3 Depth=1
                                        ; =>  This Loop Header: Depth=2
                                        ;       Child Loop BB32_66 Depth 3
                                        ;       Child Loop BB32_69 Depth 3
	s_mov_b32 s45, exec_lo
	s_delay_alu instid0(VALU_DEP_1)
	v_cmpx_gt_i32_e64 s7, v2
	s_cbranch_execz .LBB32_62
; %bb.64:                               ;   in Loop: Header=BB32_63 Depth=2
	v_ashrrev_i32_e32 v3, 31, v2
	s_mov_b32 s46, exec_lo
	s_delay_alu instid0(VALU_DEP_1) | instskip(NEXT) | instid1(VALU_DEP_1)
	v_lshlrev_b64 v[4:5], 2, v[2:3]
	v_add_co_u32 v6, vcc_lo, s16, v4
	s_delay_alu instid0(VALU_DEP_2)
	v_add_co_ci_u32_e32 v7, vcc_lo, s17, v5, vcc_lo
	v_add_co_u32 v8, vcc_lo, s18, v4
	v_add_co_ci_u32_e32 v9, vcc_lo, s19, v5, vcc_lo
	global_load_b32 v0, v[6:7], off
	global_load_b32 v7, v[8:9], off
	s_waitcnt vmcnt(1)
	v_add_nc_u32_e32 v6, v17, v0
	s_waitcnt vmcnt(0)
	v_subrev_nc_u32_e32 v0, s42, v7
	s_delay_alu instid0(VALU_DEP_1)
	v_cmpx_lt_i32_e64 v6, v0
	s_cbranch_execz .LBB32_67
; %bb.65:                               ;   in Loop: Header=BB32_63 Depth=2
	v_ashrrev_i32_e32 v7, 31, v6
	s_mov_b32 s47, 0
	s_delay_alu instid0(VALU_DEP_1) | instskip(NEXT) | instid1(VALU_DEP_1)
	v_lshlrev_b64 v[9:10], 3, v[6:7]
	v_add_co_u32 v7, vcc_lo, s40, v9
	s_delay_alu instid0(VALU_DEP_2)
	v_add_co_ci_u32_e32 v8, vcc_lo, s41, v10, vcc_lo
	v_add_co_u32 v9, vcc_lo, s22, v9
	v_add_co_ci_u32_e32 v10, vcc_lo, s23, v10, vcc_lo
	.p2align	6
.LBB32_66:                              ;   Parent Loop BB32_3 Depth=1
                                        ;     Parent Loop BB32_63 Depth=2
                                        ; =>    This Inner Loop Header: Depth=3
	global_load_b64 v[11:12], v[7:8], off
	v_add_nc_u32_e32 v6, 16, v6
	v_add_co_u32 v7, vcc_lo, 0x80, v7
	v_add_co_ci_u32_e32 v8, vcc_lo, 0, v8, vcc_lo
	s_delay_alu instid0(VALU_DEP_3) | instskip(SKIP_4) | instid1(VALU_DEP_1)
	v_cmp_ge_i32_e32 vcc_lo, v6, v0
	s_or_b32 s47, vcc_lo, s47
	s_waitcnt vmcnt(0)
	global_store_b64 v[9:10], v[11:12], off
	v_add_co_u32 v9, s2, 0x80, v9
	v_add_co_ci_u32_e64 v10, s2, 0, v10, s2
	s_and_not1_b32 exec_lo, exec_lo, s47
	s_cbranch_execnz .LBB32_66
.LBB32_67:                              ;   in Loop: Header=BB32_63 Depth=2
	s_or_b32 exec_lo, exec_lo, s46
	v_add_co_u32 v6, vcc_lo, s8, v4
	v_add_co_ci_u32_e32 v7, vcc_lo, s9, v5, vcc_lo
	v_add_co_u32 v4, vcc_lo, s10, v4
	v_add_co_ci_u32_e32 v5, vcc_lo, s11, v5, vcc_lo
	s_mov_b32 s46, exec_lo
	global_load_b32 v0, v[6:7], off
	global_load_b32 v5, v[4:5], off
	s_waitcnt vmcnt(1)
	v_add_nc_u32_e32 v4, v18, v0
	s_waitcnt vmcnt(0)
	v_subrev_nc_u32_e32 v0, s43, v5
	s_delay_alu instid0(VALU_DEP_1)
	v_cmpx_lt_i32_e64 v4, v0
	s_cbranch_execz .LBB32_70
; %bb.68:                               ;   in Loop: Header=BB32_63 Depth=2
	v_ashrrev_i32_e32 v5, 31, v4
	s_mov_b32 s47, 0
	s_delay_alu instid0(VALU_DEP_1) | instskip(NEXT) | instid1(VALU_DEP_1)
	v_lshlrev_b64 v[7:8], 3, v[4:5]
	v_add_co_u32 v5, vcc_lo, s34, v7
	s_delay_alu instid0(VALU_DEP_2)
	v_add_co_ci_u32_e32 v6, vcc_lo, s35, v8, vcc_lo
	v_add_co_u32 v7, vcc_lo, s14, v7
	v_add_co_ci_u32_e32 v8, vcc_lo, s15, v8, vcc_lo
	.p2align	6
.LBB32_69:                              ;   Parent Loop BB32_3 Depth=1
                                        ;     Parent Loop BB32_63 Depth=2
                                        ; =>    This Inner Loop Header: Depth=3
	global_load_b64 v[9:10], v[5:6], off
	v_add_nc_u32_e32 v4, 16, v4
	v_add_co_u32 v5, vcc_lo, 0x80, v5
	v_add_co_ci_u32_e32 v6, vcc_lo, 0, v6, vcc_lo
	s_delay_alu instid0(VALU_DEP_3) | instskip(SKIP_4) | instid1(VALU_DEP_1)
	v_cmp_ge_i32_e32 vcc_lo, v4, v0
	s_or_b32 s47, vcc_lo, s47
	s_waitcnt vmcnt(0)
	global_store_b64 v[7:8], v[9:10], off
	v_add_co_u32 v7, s2, 0x80, v7
	v_add_co_ci_u32_e64 v8, s2, 0, v8, s2
	s_and_not1_b32 exec_lo, exec_lo, s47
	s_cbranch_execnz .LBB32_69
.LBB32_70:                              ;   in Loop: Header=BB32_63 Depth=2
	s_or_b32 exec_lo, exec_lo, s46
	s_delay_alu instid0(SALU_CYCLE_1)
	s_and_b32 exec_lo, exec_lo, s1
	s_cbranch_execz .LBB32_62
; %bb.71:                               ;   in Loop: Header=BB32_63 Depth=2
	v_lshlrev_b64 v[3:4], 3, v[2:3]
	s_delay_alu instid0(VALU_DEP_1) | instskip(NEXT) | instid1(VALU_DEP_2)
	v_add_co_u32 v5, vcc_lo, s38, v3
	v_add_co_ci_u32_e32 v6, vcc_lo, s39, v4, vcc_lo
	v_add_co_u32 v3, vcc_lo, s36, v3
	v_add_co_ci_u32_e32 v4, vcc_lo, s37, v4, vcc_lo
	global_load_b64 v[5:6], v[5:6], off
	s_waitcnt vmcnt(0)
	global_store_b64 v[3:4], v[5:6], off
	s_branch .LBB32_62
.LBB32_72:
	s_nop 0
	s_sendmsg sendmsg(MSG_DEALLOC_VGPRS)
	s_endpgm
	.section	.rodata,"a",@progbits
	.p2align	6, 0x0
	.amdhsa_kernel _ZN9rocsparseL14kernel_freerunILi1024ELi16E21rocsparse_complex_numIfEiiEEvT3_S3_T2_PKS4_S6_PKS3_PKT1_21rocsparse_index_base_S6_S6_S8_PS9_SD_SC_S6_S6_S8_SD_SD_SC_SD_SD_
		.amdhsa_group_segment_fixed_size 0
		.amdhsa_private_segment_fixed_size 0
		.amdhsa_kernarg_size 168
		.amdhsa_user_sgpr_count 15
		.amdhsa_user_sgpr_dispatch_ptr 0
		.amdhsa_user_sgpr_queue_ptr 0
		.amdhsa_user_sgpr_kernarg_segment_ptr 1
		.amdhsa_user_sgpr_dispatch_id 0
		.amdhsa_user_sgpr_private_segment_size 0
		.amdhsa_wavefront_size32 1
		.amdhsa_uses_dynamic_stack 0
		.amdhsa_enable_private_segment 0
		.amdhsa_system_sgpr_workgroup_id_x 1
		.amdhsa_system_sgpr_workgroup_id_y 0
		.amdhsa_system_sgpr_workgroup_id_z 0
		.amdhsa_system_sgpr_workgroup_info 0
		.amdhsa_system_vgpr_workitem_id 0
		.amdhsa_next_free_vgpr 34
		.amdhsa_next_free_sgpr 57
		.amdhsa_reserve_vcc 1
		.amdhsa_float_round_mode_32 0
		.amdhsa_float_round_mode_16_64 0
		.amdhsa_float_denorm_mode_32 3
		.amdhsa_float_denorm_mode_16_64 3
		.amdhsa_dx10_clamp 1
		.amdhsa_ieee_mode 1
		.amdhsa_fp16_overflow 0
		.amdhsa_workgroup_processor_mode 1
		.amdhsa_memory_ordered 1
		.amdhsa_forward_progress 0
		.amdhsa_shared_vgpr_count 0
		.amdhsa_exception_fp_ieee_invalid_op 0
		.amdhsa_exception_fp_denorm_src 0
		.amdhsa_exception_fp_ieee_div_zero 0
		.amdhsa_exception_fp_ieee_overflow 0
		.amdhsa_exception_fp_ieee_underflow 0
		.amdhsa_exception_fp_ieee_inexact 0
		.amdhsa_exception_int_div_zero 0
	.end_amdhsa_kernel
	.section	.text._ZN9rocsparseL14kernel_freerunILi1024ELi16E21rocsparse_complex_numIfEiiEEvT3_S3_T2_PKS4_S6_PKS3_PKT1_21rocsparse_index_base_S6_S6_S8_PS9_SD_SC_S6_S6_S8_SD_SD_SC_SD_SD_,"axG",@progbits,_ZN9rocsparseL14kernel_freerunILi1024ELi16E21rocsparse_complex_numIfEiiEEvT3_S3_T2_PKS4_S6_PKS3_PKT1_21rocsparse_index_base_S6_S6_S8_PS9_SD_SC_S6_S6_S8_SD_SD_SC_SD_SD_,comdat
.Lfunc_end32:
	.size	_ZN9rocsparseL14kernel_freerunILi1024ELi16E21rocsparse_complex_numIfEiiEEvT3_S3_T2_PKS4_S6_PKS3_PKT1_21rocsparse_index_base_S6_S6_S8_PS9_SD_SC_S6_S6_S8_SD_SD_SC_SD_SD_, .Lfunc_end32-_ZN9rocsparseL14kernel_freerunILi1024ELi16E21rocsparse_complex_numIfEiiEEvT3_S3_T2_PKS4_S6_PKS3_PKT1_21rocsparse_index_base_S6_S6_S8_PS9_SD_SC_S6_S6_S8_SD_SD_SC_SD_SD_
                                        ; -- End function
	.section	.AMDGPU.csdata,"",@progbits
; Kernel info:
; codeLenInByte = 3824
; NumSgprs: 59
; NumVgprs: 34
; ScratchSize: 0
; MemoryBound: 0
; FloatMode: 240
; IeeeMode: 1
; LDSByteSize: 0 bytes/workgroup (compile time only)
; SGPRBlocks: 7
; VGPRBlocks: 4
; NumSGPRsForWavesPerEU: 59
; NumVGPRsForWavesPerEU: 34
; Occupancy: 16
; WaveLimiterHint : 1
; COMPUTE_PGM_RSRC2:SCRATCH_EN: 0
; COMPUTE_PGM_RSRC2:USER_SGPR: 15
; COMPUTE_PGM_RSRC2:TRAP_HANDLER: 0
; COMPUTE_PGM_RSRC2:TGID_X_EN: 1
; COMPUTE_PGM_RSRC2:TGID_Y_EN: 0
; COMPUTE_PGM_RSRC2:TGID_Z_EN: 0
; COMPUTE_PGM_RSRC2:TIDIG_COMP_CNT: 0
	.section	.text._ZN9rocsparseL14kernel_freerunILi1024ELi32E21rocsparse_complex_numIfEiiEEvT3_S3_T2_PKS4_S6_PKS3_PKT1_21rocsparse_index_base_S6_S6_S8_PS9_SD_SC_S6_S6_S8_SD_SD_SC_SD_SD_,"axG",@progbits,_ZN9rocsparseL14kernel_freerunILi1024ELi32E21rocsparse_complex_numIfEiiEEvT3_S3_T2_PKS4_S6_PKS3_PKT1_21rocsparse_index_base_S6_S6_S8_PS9_SD_SC_S6_S6_S8_SD_SD_SC_SD_SD_,comdat
	.globl	_ZN9rocsparseL14kernel_freerunILi1024ELi32E21rocsparse_complex_numIfEiiEEvT3_S3_T2_PKS4_S6_PKS3_PKT1_21rocsparse_index_base_S6_S6_S8_PS9_SD_SC_S6_S6_S8_SD_SD_SC_SD_SD_ ; -- Begin function _ZN9rocsparseL14kernel_freerunILi1024ELi32E21rocsparse_complex_numIfEiiEEvT3_S3_T2_PKS4_S6_PKS3_PKT1_21rocsparse_index_base_S6_S6_S8_PS9_SD_SC_S6_S6_S8_SD_SD_SC_SD_SD_
	.p2align	8
	.type	_ZN9rocsparseL14kernel_freerunILi1024ELi32E21rocsparse_complex_numIfEiiEEvT3_S3_T2_PKS4_S6_PKS3_PKT1_21rocsparse_index_base_S6_S6_S8_PS9_SD_SC_S6_S6_S8_SD_SD_SC_SD_SD_,@function
_ZN9rocsparseL14kernel_freerunILi1024ELi32E21rocsparse_complex_numIfEiiEEvT3_S3_T2_PKS4_S6_PKS3_PKT1_21rocsparse_index_base_S6_S6_S8_PS9_SD_SC_S6_S6_S8_SD_SD_SC_SD_SD_: ; @_ZN9rocsparseL14kernel_freerunILi1024ELi32E21rocsparse_complex_numIfEiiEEvT3_S3_T2_PKS4_S6_PKS3_PKT1_21rocsparse_index_base_S6_S6_S8_PS9_SD_SC_S6_S6_S8_SD_SD_SC_SD_SD_
; %bb.0:
	s_load_b64 s[6:7], s[0:1], 0x0
	v_lshrrev_b32_e32 v1, 5, v0
	s_lshl_b32 s44, s15, 10
	s_mov_b32 s5, 0
	s_delay_alu instid0(VALU_DEP_1) | instskip(SKIP_1) | instid1(VALU_DEP_1)
	v_or_b32_e32 v15, s44, v1
	s_waitcnt lgkmcnt(0)
	v_cmp_gt_i32_e32 vcc_lo, s7, v15
	s_cmp_gt_i32 s6, 0
	s_cselect_b32 s2, -1, 0
	s_delay_alu instid0(SALU_CYCLE_1) | instskip(NEXT) | instid1(SALU_CYCLE_1)
	s_and_b32 s2, vcc_lo, s2
	s_and_saveexec_b32 s3, s2
	s_cbranch_execz .LBB33_72
; %bb.1:
	s_clause 0x8
	s_load_b32 s33, s[0:1], 0x30
	s_load_b32 s42, s[0:1], 0x60
	;; [unrolled: 1-line block ×3, first 2 shown]
	s_load_b64 s[34:35], s[0:1], 0x88
	s_load_b64 s[40:41], s[0:1], 0x58
	s_load_b128 s[36:39], s[0:1], 0x98
	s_load_b256 s[8:15], s[0:1], 0x68
	s_load_b256 s[16:23], s[0:1], 0x38
	;; [unrolled: 1-line block ×3, first 2 shown]
	v_dual_mov_b32 v1, 0 :: v_dual_and_b32 v0, 31, v0
	s_addk_i32 s44, 0x400
	s_delay_alu instid0(SALU_CYCLE_1) | instskip(NEXT) | instid1(VALU_DEP_2)
	v_cmp_gt_u32_e64 s0, s44, v15
	v_cmp_eq_u32_e64 s1, 0, v0
	s_waitcnt lgkmcnt(0)
	v_subrev_nc_u32_e32 v16, s33, v0
	v_subrev_nc_u32_e32 v17, s42, v0
	;; [unrolled: 1-line block ×3, first 2 shown]
	s_branch .LBB33_3
.LBB33_2:                               ;   in Loop: Header=BB33_3 Depth=1
	s_or_b32 exec_lo, exec_lo, s3
	s_add_i32 s5, s5, 1
	s_delay_alu instid0(SALU_CYCLE_1)
	s_cmp_eq_u32 s5, s6
	s_cbranch_scc1 .LBB33_72
.LBB33_3:                               ; =>This Loop Header: Depth=1
                                        ;     Child Loop BB33_5 Depth 2
                                        ;       Child Loop BB33_9 Depth 3
                                        ;         Child Loop BB33_13 Depth 4
                                        ;         Child Loop BB33_43 Depth 4
	;; [unrolled: 1-line block ×3, first 2 shown]
                                        ;     Child Loop BB33_63 Depth 2
                                        ;       Child Loop BB33_66 Depth 3
                                        ;       Child Loop BB33_69 Depth 3
	s_mov_b32 s45, 0
	s_branch .LBB33_5
.LBB33_4:                               ;   in Loop: Header=BB33_5 Depth=2
	s_or_b32 exec_lo, exec_lo, s46
	s_add_i32 s45, s45, 1
	s_delay_alu instid0(SALU_CYCLE_1)
	s_cmp_eq_u32 s45, 32
	s_cbranch_scc1 .LBB33_60
.LBB33_5:                               ;   Parent Loop BB33_3 Depth=1
                                        ; =>  This Loop Header: Depth=2
                                        ;       Child Loop BB33_9 Depth 3
                                        ;         Child Loop BB33_13 Depth 4
                                        ;         Child Loop BB33_43 Depth 4
	;; [unrolled: 1-line block ×3, first 2 shown]
	v_lshl_add_u32 v2, s45, 5, v15
	s_mov_b32 s46, exec_lo
	s_delay_alu instid0(VALU_DEP_1)
	v_cmpx_gt_i32_e64 s7, v2
	s_cbranch_execz .LBB33_4
; %bb.6:                                ;   in Loop: Header=BB33_5 Depth=2
	v_ashrrev_i32_e32 v3, 31, v2
	s_delay_alu instid0(VALU_DEP_1) | instskip(NEXT) | instid1(VALU_DEP_1)
	v_lshlrev_b64 v[4:5], 2, v[2:3]
	v_add_co_u32 v6, vcc_lo, s24, v4
	s_delay_alu instid0(VALU_DEP_2)
	v_add_co_ci_u32_e32 v7, vcc_lo, s25, v5, vcc_lo
	v_add_co_u32 v8, vcc_lo, s26, v4
	v_add_co_ci_u32_e32 v9, vcc_lo, s27, v5, vcc_lo
	global_load_b32 v0, v[6:7], off
	global_load_b32 v6, v[8:9], off
	s_waitcnt vmcnt(1)
	v_add_nc_u32_e32 v3, v16, v0
	s_waitcnt vmcnt(0)
	v_subrev_nc_u32_e32 v19, s33, v6
	s_delay_alu instid0(VALU_DEP_1)
	v_cmp_lt_i32_e32 vcc_lo, v3, v19
	s_and_b32 exec_lo, exec_lo, vcc_lo
	s_cbranch_execz .LBB33_4
; %bb.7:                                ;   in Loop: Header=BB33_5 Depth=2
	v_add_co_u32 v6, vcc_lo, s16, v4
	v_add_co_ci_u32_e32 v7, vcc_lo, s17, v5, vcc_lo
	v_add_co_u32 v4, vcc_lo, s18, v4
	v_add_co_ci_u32_e32 v5, vcc_lo, s19, v5, vcc_lo
	global_load_b32 v0, v[6:7], off
	s_mov_b32 s47, 0
	global_load_b32 v4, v[4:5], off
	s_waitcnt vmcnt(1)
	v_subrev_nc_u32_e32 v5, s42, v0
	s_waitcnt vmcnt(0)
	v_sub_nc_u32_e32 v20, v4, v0
	s_delay_alu instid0(VALU_DEP_2) | instskip(NEXT) | instid1(VALU_DEP_2)
	v_ashrrev_i32_e32 v6, 31, v5
	v_cmp_lt_i32_e64 s2, 0, v20
	s_delay_alu instid0(VALU_DEP_2) | instskip(SKIP_1) | instid1(VALU_DEP_2)
	v_lshlrev_b64 v[7:8], 2, v[5:6]
	v_lshlrev_b64 v[9:10], 3, v[5:6]
	v_add_co_u32 v21, vcc_lo, s20, v7
	s_delay_alu instid0(VALU_DEP_3) | instskip(NEXT) | instid1(VALU_DEP_3)
	v_add_co_ci_u32_e32 v22, vcc_lo, s21, v8, vcc_lo
	v_add_co_u32 v23, vcc_lo, s22, v9
	s_delay_alu instid0(VALU_DEP_4)
	v_add_co_ci_u32_e32 v24, vcc_lo, s23, v10, vcc_lo
	s_branch .LBB33_9
.LBB33_8:                               ;   in Loop: Header=BB33_9 Depth=3
	s_or_b32 exec_lo, exec_lo, s4
	v_add_nc_u32_e32 v3, 32, v3
	s_delay_alu instid0(VALU_DEP_1) | instskip(SKIP_1) | instid1(SALU_CYCLE_1)
	v_cmp_ge_i32_e32 vcc_lo, v3, v19
	s_or_b32 s47, vcc_lo, s47
	s_and_not1_b32 exec_lo, exec_lo, s47
	s_cbranch_execz .LBB33_4
.LBB33_9:                               ;   Parent Loop BB33_3 Depth=1
                                        ;     Parent Loop BB33_5 Depth=2
                                        ; =>    This Loop Header: Depth=3
                                        ;         Child Loop BB33_13 Depth 4
                                        ;         Child Loop BB33_43 Depth 4
	;; [unrolled: 1-line block ×3, first 2 shown]
	v_ashrrev_i32_e32 v4, 31, v3
	s_delay_alu instid0(VALU_DEP_1) | instskip(NEXT) | instid1(VALU_DEP_1)
	v_lshlrev_b64 v[6:7], 2, v[3:4]
	v_add_co_u32 v6, vcc_lo, s28, v6
	s_delay_alu instid0(VALU_DEP_2) | instskip(SKIP_4) | instid1(VALU_DEP_2)
	v_add_co_ci_u32_e32 v7, vcc_lo, s29, v7, vcc_lo
	global_load_b32 v0, v[6:7], off
	s_waitcnt vmcnt(0)
	v_subrev_nc_u32_e32 v6, s33, v0
	v_mov_b32_e32 v0, 0
	v_ashrrev_i32_e32 v7, 31, v6
	s_delay_alu instid0(VALU_DEP_1) | instskip(NEXT) | instid1(VALU_DEP_1)
	v_lshlrev_b64 v[8:9], 2, v[6:7]
	v_add_co_u32 v10, vcc_lo, s8, v8
	s_delay_alu instid0(VALU_DEP_2)
	v_add_co_ci_u32_e32 v11, vcc_lo, s9, v9, vcc_lo
	v_add_co_u32 v8, vcc_lo, s10, v8
	v_add_co_ci_u32_e32 v9, vcc_lo, s11, v9, vcc_lo
	global_load_b32 v11, v[10:11], off
	global_load_b32 v12, v[8:9], off
	v_dual_mov_b32 v8, 0 :: v_dual_mov_b32 v9, 0
	s_waitcnt vmcnt(1)
	v_subrev_nc_u32_e32 v10, s43, v11
	s_waitcnt vmcnt(0)
	v_sub_nc_u32_e32 v25, v12, v11
	v_mov_b32_e32 v12, 0
	s_and_saveexec_b32 s4, s2
	s_cbranch_execz .LBB33_17
; %bb.10:                               ;   in Loop: Header=BB33_9 Depth=3
	v_ashrrev_i32_e32 v11, 31, v10
	v_mov_b32_e32 v12, 0
	s_mov_b32 s48, 0
                                        ; implicit-def: $sgpr49
	s_delay_alu instid0(VALU_DEP_2) | instskip(SKIP_1) | instid1(VALU_DEP_2)
	v_lshlrev_b64 v[8:9], 2, v[10:11]
	v_lshlrev_b64 v[26:27], 3, v[10:11]
	v_add_co_u32 v11, vcc_lo, s12, v8
	s_delay_alu instid0(VALU_DEP_3) | instskip(SKIP_1) | instid1(VALU_DEP_4)
	v_add_co_ci_u32_e32 v14, vcc_lo, s13, v9, vcc_lo
	v_mov_b32_e32 v9, 0
	v_add_co_u32 v26, vcc_lo, s14, v26
	v_add_co_ci_u32_e32 v27, vcc_lo, s15, v27, vcc_lo
	v_mov_b32_e32 v0, v12
	v_mov_b32_e32 v8, 0
	s_branch .LBB33_13
.LBB33_11:                              ;   in Loop: Header=BB33_13 Depth=4
	s_or_b32 exec_lo, exec_lo, s3
	v_cmp_le_i32_e32 vcc_lo, v28, v29
	v_cmp_ge_i32_e64 s3, v28, v29
	v_add_co_ci_u32_e32 v0, vcc_lo, 0, v0, vcc_lo
	s_delay_alu instid0(VALU_DEP_2) | instskip(SKIP_1) | instid1(VALU_DEP_2)
	v_add_co_ci_u32_e64 v12, s3, 0, v12, s3
	s_and_not1_b32 s3, s49, exec_lo
	v_cmp_ge_i32_e32 vcc_lo, v0, v20
	s_and_b32 s49, vcc_lo, exec_lo
	s_delay_alu instid0(SALU_CYCLE_1)
	s_or_b32 s49, s3, s49
.LBB33_12:                              ;   in Loop: Header=BB33_13 Depth=4
	s_or_b32 exec_lo, exec_lo, s50
	s_delay_alu instid0(SALU_CYCLE_1) | instskip(NEXT) | instid1(SALU_CYCLE_1)
	s_and_b32 s3, exec_lo, s49
	s_or_b32 s48, s3, s48
	s_delay_alu instid0(SALU_CYCLE_1)
	s_and_not1_b32 exec_lo, exec_lo, s48
	s_cbranch_execz .LBB33_16
.LBB33_13:                              ;   Parent Loop BB33_3 Depth=1
                                        ;     Parent Loop BB33_5 Depth=2
                                        ;       Parent Loop BB33_9 Depth=3
                                        ; =>      This Inner Loop Header: Depth=4
	s_or_b32 s49, s49, exec_lo
	s_mov_b32 s50, exec_lo
	v_cmpx_lt_i32_e64 v12, v25
	s_cbranch_execz .LBB33_12
; %bb.14:                               ;   in Loop: Header=BB33_13 Depth=4
	v_mov_b32_e32 v13, v1
	v_lshlrev_b64 v[28:29], 2, v[0:1]
	s_mov_b32 s3, exec_lo
	s_delay_alu instid0(VALU_DEP_2) | instskip(NEXT) | instid1(VALU_DEP_2)
	v_lshlrev_b64 v[30:31], 2, v[12:13]
	v_add_co_u32 v28, vcc_lo, v21, v28
	s_delay_alu instid0(VALU_DEP_3) | instskip(NEXT) | instid1(VALU_DEP_3)
	v_add_co_ci_u32_e32 v29, vcc_lo, v22, v29, vcc_lo
	v_add_co_u32 v30, vcc_lo, v11, v30
	s_delay_alu instid0(VALU_DEP_4)
	v_add_co_ci_u32_e32 v31, vcc_lo, v14, v31, vcc_lo
	global_load_b32 v28, v[28:29], off
	global_load_b32 v29, v[30:31], off
	s_waitcnt vmcnt(1)
	v_subrev_nc_u32_e32 v28, s42, v28
	s_waitcnt vmcnt(0)
	v_subrev_nc_u32_e32 v29, s43, v29
	s_delay_alu instid0(VALU_DEP_1)
	v_cmpx_eq_u32_e64 v28, v29
	s_cbranch_execz .LBB33_11
; %bb.15:                               ;   in Loop: Header=BB33_13 Depth=4
	v_lshlrev_b64 v[30:31], 3, v[0:1]
	v_lshlrev_b64 v[32:33], 3, v[12:13]
	s_delay_alu instid0(VALU_DEP_2) | instskip(NEXT) | instid1(VALU_DEP_3)
	v_add_co_u32 v30, vcc_lo, v23, v30
	v_add_co_ci_u32_e32 v31, vcc_lo, v24, v31, vcc_lo
	s_delay_alu instid0(VALU_DEP_3) | instskip(NEXT) | instid1(VALU_DEP_4)
	v_add_co_u32 v32, vcc_lo, v26, v32
	v_add_co_ci_u32_e32 v33, vcc_lo, v27, v33, vcc_lo
	global_load_b64 v[30:31], v[30:31], off
	global_load_b64 v[32:33], v[32:33], off
	s_waitcnt vmcnt(0)
	v_fmac_f32_e32 v8, v30, v32
	v_fmac_f32_e32 v9, v31, v32
	s_delay_alu instid0(VALU_DEP_2) | instskip(NEXT) | instid1(VALU_DEP_2)
	v_fma_f32 v8, -v31, v33, v8
	v_fmac_f32_e32 v9, v30, v33
	s_branch .LBB33_11
.LBB33_16:                              ;   in Loop: Header=BB33_9 Depth=3
	s_or_b32 exec_lo, exec_lo, s48
.LBB33_17:                              ;   in Loop: Header=BB33_9 Depth=3
	s_delay_alu instid0(SALU_CYCLE_1) | instskip(SKIP_3) | instid1(VALU_DEP_2)
	s_or_b32 exec_lo, exec_lo, s4
	v_lshlrev_b64 v[13:14], 3, v[3:4]
	v_cmp_le_i32_e64 s3, v2, v6
	s_mov_b32 s48, exec_lo
	v_add_co_u32 v13, vcc_lo, s30, v13
	s_delay_alu instid0(VALU_DEP_3)
	v_add_co_ci_u32_e32 v14, vcc_lo, s31, v14, vcc_lo
	global_load_b64 v[13:14], v[13:14], off
	s_waitcnt vmcnt(0)
	v_dual_sub_f32 v8, v13, v8 :: v_dual_sub_f32 v9, v14, v9
	v_cmpx_gt_i32_e64 v2, v6
	s_cbranch_execz .LBB33_27
; %bb.18:                               ;   in Loop: Header=BB33_9 Depth=3
	v_lshlrev_b64 v[13:14], 3, v[6:7]
                                        ; implicit-def: $vgpr26
	s_mov_b32 s4, exec_lo
	s_delay_alu instid0(VALU_DEP_1) | instskip(NEXT) | instid1(VALU_DEP_2)
	v_add_co_u32 v13, vcc_lo, s36, v13
	v_add_co_ci_u32_e32 v14, vcc_lo, s37, v14, vcc_lo
	global_load_b64 v[13:14], v[13:14], off
	s_waitcnt vmcnt(0)
	v_cmp_gt_f32_e32 vcc_lo, 0, v13
	v_cndmask_b32_e64 v4, v13, -v13, vcc_lo
	v_cmp_gt_f32_e32 vcc_lo, 0, v14
	v_cndmask_b32_e64 v11, v14, -v14, vcc_lo
	s_delay_alu instid0(VALU_DEP_1)
	v_cmpx_ngt_f32_e32 v4, v11
	s_xor_b32 s49, exec_lo, s4
	s_cbranch_execz .LBB33_22
; %bb.19:                               ;   in Loop: Header=BB33_9 Depth=3
	v_mov_b32_e32 v26, 0
	s_mov_b32 s50, exec_lo
	v_cmpx_neq_f32_e32 0, v14
	s_cbranch_execz .LBB33_21
; %bb.20:                               ;   in Loop: Header=BB33_9 Depth=3
	v_div_scale_f32 v26, null, v11, v11, v4
	v_div_scale_f32 v29, vcc_lo, v4, v11, v4
	s_delay_alu instid0(VALU_DEP_2) | instskip(SKIP_2) | instid1(VALU_DEP_1)
	v_rcp_f32_e32 v27, v26
	s_waitcnt_depctr 0xfff
	v_fma_f32 v28, -v26, v27, 1.0
	v_fmac_f32_e32 v27, v28, v27
	s_delay_alu instid0(VALU_DEP_1) | instskip(NEXT) | instid1(VALU_DEP_1)
	v_mul_f32_e32 v28, v29, v27
	v_fma_f32 v30, -v26, v28, v29
	s_delay_alu instid0(VALU_DEP_1) | instskip(NEXT) | instid1(VALU_DEP_1)
	v_fmac_f32_e32 v28, v30, v27
	v_fma_f32 v26, -v26, v28, v29
	s_delay_alu instid0(VALU_DEP_1) | instskip(NEXT) | instid1(VALU_DEP_1)
	v_div_fmas_f32 v26, v26, v27, v28
	v_div_fixup_f32 v4, v26, v11, v4
	s_delay_alu instid0(VALU_DEP_1) | instskip(NEXT) | instid1(VALU_DEP_1)
	v_fma_f32 v4, v4, v4, 1.0
	v_mul_f32_e32 v26, 0x4f800000, v4
	v_cmp_gt_f32_e32 vcc_lo, 0xf800000, v4
	s_delay_alu instid0(VALU_DEP_2) | instskip(NEXT) | instid1(VALU_DEP_1)
	v_cndmask_b32_e32 v4, v4, v26, vcc_lo
	v_sqrt_f32_e32 v26, v4
	s_waitcnt_depctr 0xfff
	v_add_nc_u32_e32 v27, -1, v26
	v_add_nc_u32_e32 v28, 1, v26
	s_delay_alu instid0(VALU_DEP_2) | instskip(NEXT) | instid1(VALU_DEP_2)
	v_fma_f32 v29, -v27, v26, v4
	v_fma_f32 v30, -v28, v26, v4
	s_delay_alu instid0(VALU_DEP_2) | instskip(NEXT) | instid1(VALU_DEP_1)
	v_cmp_ge_f32_e64 s4, 0, v29
	v_cndmask_b32_e64 v26, v26, v27, s4
	s_delay_alu instid0(VALU_DEP_3) | instskip(NEXT) | instid1(VALU_DEP_1)
	v_cmp_lt_f32_e64 s4, 0, v30
	v_cndmask_b32_e64 v26, v26, v28, s4
	s_delay_alu instid0(VALU_DEP_1) | instskip(NEXT) | instid1(VALU_DEP_1)
	v_mul_f32_e32 v27, 0x37800000, v26
	v_cndmask_b32_e32 v26, v26, v27, vcc_lo
	v_cmp_class_f32_e64 vcc_lo, v4, 0x260
	s_delay_alu instid0(VALU_DEP_2) | instskip(NEXT) | instid1(VALU_DEP_1)
	v_cndmask_b32_e32 v4, v26, v4, vcc_lo
	v_mul_f32_e32 v26, v11, v4
.LBB33_21:                              ;   in Loop: Header=BB33_9 Depth=3
	s_or_b32 exec_lo, exec_lo, s50
                                        ; implicit-def: $vgpr4
                                        ; implicit-def: $vgpr11
.LBB33_22:                              ;   in Loop: Header=BB33_9 Depth=3
	s_and_not1_saveexec_b32 s49, s49
	s_cbranch_execz .LBB33_24
; %bb.23:                               ;   in Loop: Header=BB33_9 Depth=3
	v_div_scale_f32 v26, null, v4, v4, v11
	v_div_scale_f32 v29, vcc_lo, v11, v4, v11
	s_delay_alu instid0(VALU_DEP_2) | instskip(SKIP_2) | instid1(VALU_DEP_1)
	v_rcp_f32_e32 v27, v26
	s_waitcnt_depctr 0xfff
	v_fma_f32 v28, -v26, v27, 1.0
	v_fmac_f32_e32 v27, v28, v27
	s_delay_alu instid0(VALU_DEP_1) | instskip(NEXT) | instid1(VALU_DEP_1)
	v_mul_f32_e32 v28, v29, v27
	v_fma_f32 v30, -v26, v28, v29
	s_delay_alu instid0(VALU_DEP_1) | instskip(NEXT) | instid1(VALU_DEP_1)
	v_fmac_f32_e32 v28, v30, v27
	v_fma_f32 v26, -v26, v28, v29
	s_delay_alu instid0(VALU_DEP_1) | instskip(NEXT) | instid1(VALU_DEP_1)
	v_div_fmas_f32 v26, v26, v27, v28
	v_div_fixup_f32 v11, v26, v4, v11
	s_delay_alu instid0(VALU_DEP_1) | instskip(NEXT) | instid1(VALU_DEP_1)
	v_fma_f32 v11, v11, v11, 1.0
	v_mul_f32_e32 v26, 0x4f800000, v11
	v_cmp_gt_f32_e32 vcc_lo, 0xf800000, v11
	s_delay_alu instid0(VALU_DEP_2) | instskip(NEXT) | instid1(VALU_DEP_1)
	v_cndmask_b32_e32 v11, v11, v26, vcc_lo
	v_sqrt_f32_e32 v26, v11
	s_waitcnt_depctr 0xfff
	v_add_nc_u32_e32 v27, -1, v26
	v_add_nc_u32_e32 v28, 1, v26
	s_delay_alu instid0(VALU_DEP_2) | instskip(NEXT) | instid1(VALU_DEP_2)
	v_fma_f32 v29, -v27, v26, v11
	v_fma_f32 v30, -v28, v26, v11
	s_delay_alu instid0(VALU_DEP_2) | instskip(NEXT) | instid1(VALU_DEP_1)
	v_cmp_ge_f32_e64 s4, 0, v29
	v_cndmask_b32_e64 v26, v26, v27, s4
	s_delay_alu instid0(VALU_DEP_3) | instskip(NEXT) | instid1(VALU_DEP_1)
	v_cmp_lt_f32_e64 s4, 0, v30
	v_cndmask_b32_e64 v26, v26, v28, s4
	s_delay_alu instid0(VALU_DEP_1) | instskip(NEXT) | instid1(VALU_DEP_1)
	v_mul_f32_e32 v27, 0x37800000, v26
	v_cndmask_b32_e32 v26, v26, v27, vcc_lo
	v_cmp_class_f32_e64 vcc_lo, v11, 0x260
	s_delay_alu instid0(VALU_DEP_2) | instskip(NEXT) | instid1(VALU_DEP_1)
	v_cndmask_b32_e32 v11, v26, v11, vcc_lo
	v_mul_f32_e32 v26, v4, v11
.LBB33_24:                              ;   in Loop: Header=BB33_9 Depth=3
	s_or_b32 exec_lo, exec_lo, s49
	v_dual_mov_b32 v4, 0 :: v_dual_mov_b32 v11, 0
	s_mov_b32 s4, exec_lo
	s_delay_alu instid0(VALU_DEP_2)
	v_cmpx_lt_f32_e32 0, v26
	s_cbranch_execz .LBB33_26
; %bb.25:                               ;   in Loop: Header=BB33_9 Depth=3
	v_mul_f32_e32 v4, v14, v14
	s_delay_alu instid0(VALU_DEP_1) | instskip(NEXT) | instid1(VALU_DEP_1)
	v_fmac_f32_e32 v4, v13, v13
	v_div_scale_f32 v11, null, v4, v4, 1.0
	v_div_scale_f32 v28, vcc_lo, 1.0, v4, 1.0
	s_delay_alu instid0(VALU_DEP_2) | instskip(SKIP_2) | instid1(VALU_DEP_1)
	v_rcp_f32_e32 v26, v11
	s_waitcnt_depctr 0xfff
	v_fma_f32 v27, -v11, v26, 1.0
	v_fmac_f32_e32 v26, v27, v26
	s_delay_alu instid0(VALU_DEP_1) | instskip(NEXT) | instid1(VALU_DEP_1)
	v_mul_f32_e32 v27, v28, v26
	v_fma_f32 v29, -v11, v27, v28
	s_delay_alu instid0(VALU_DEP_1) | instskip(NEXT) | instid1(VALU_DEP_1)
	v_fmac_f32_e32 v27, v29, v26
	v_fma_f32 v11, -v11, v27, v28
	v_mul_f32_e32 v28, v9, v14
	v_mul_f32_e64 v14, v14, -v8
	s_delay_alu instid0(VALU_DEP_2) | instskip(NEXT) | instid1(VALU_DEP_4)
	v_fmac_f32_e32 v28, v8, v13
	v_div_fmas_f32 v11, v11, v26, v27
	s_delay_alu instid0(VALU_DEP_3) | instskip(NEXT) | instid1(VALU_DEP_2)
	v_fmac_f32_e32 v14, v9, v13
	v_div_fixup_f32 v8, v11, v4, 1.0
	s_delay_alu instid0(VALU_DEP_1) | instskip(NEXT) | instid1(VALU_DEP_3)
	v_mul_f32_e32 v4, v28, v8
	v_mul_f32_e32 v11, v14, v8
.LBB33_26:                              ;   in Loop: Header=BB33_9 Depth=3
	s_or_b32 exec_lo, exec_lo, s4
	s_delay_alu instid0(VALU_DEP_1)
	v_dual_mov_b32 v8, v4 :: v_dual_mov_b32 v9, v11
.LBB33_27:                              ;   in Loop: Header=BB33_9 Depth=3
	s_or_b32 exec_lo, exec_lo, s48
	s_delay_alu instid0(VALU_DEP_1) | instskip(SKIP_4) | instid1(VALU_DEP_1)
	v_cmp_gt_f32_e32 vcc_lo, 0, v8
                                        ; implicit-def: $vgpr13
	s_mov_b32 s4, exec_lo
	v_cndmask_b32_e64 v4, v8, -v8, vcc_lo
	v_cmp_gt_f32_e32 vcc_lo, 0, v9
	v_cndmask_b32_e64 v11, v9, -v9, vcc_lo
	v_cmpx_ngt_f32_e32 v4, v11
	s_xor_b32 s48, exec_lo, s4
	s_cbranch_execnz .LBB33_30
; %bb.28:                               ;   in Loop: Header=BB33_9 Depth=3
	s_and_not1_saveexec_b32 s48, s48
	s_cbranch_execnz .LBB33_33
.LBB33_29:                              ;   in Loop: Header=BB33_9 Depth=3
	s_or_b32 exec_lo, exec_lo, s48
	v_cmp_class_f32_e64 s48, v13, 0x1f8
	s_delay_alu instid0(VALU_DEP_1)
	s_and_saveexec_b32 s4, s48
	s_cbranch_execz .LBB33_8
	s_branch .LBB33_34
.LBB33_30:                              ;   in Loop: Header=BB33_9 Depth=3
	v_mov_b32_e32 v13, 0
	s_mov_b32 s49, exec_lo
	v_cmpx_neq_f32_e32 0, v9
	s_cbranch_execz .LBB33_32
; %bb.31:                               ;   in Loop: Header=BB33_9 Depth=3
	v_div_scale_f32 v13, null, v11, v11, v4
	v_div_scale_f32 v27, vcc_lo, v4, v11, v4
	s_delay_alu instid0(VALU_DEP_2) | instskip(SKIP_2) | instid1(VALU_DEP_1)
	v_rcp_f32_e32 v14, v13
	s_waitcnt_depctr 0xfff
	v_fma_f32 v26, -v13, v14, 1.0
	v_fmac_f32_e32 v14, v26, v14
	s_delay_alu instid0(VALU_DEP_1) | instskip(NEXT) | instid1(VALU_DEP_1)
	v_mul_f32_e32 v26, v27, v14
	v_fma_f32 v28, -v13, v26, v27
	s_delay_alu instid0(VALU_DEP_1) | instskip(NEXT) | instid1(VALU_DEP_1)
	v_fmac_f32_e32 v26, v28, v14
	v_fma_f32 v13, -v13, v26, v27
	s_delay_alu instid0(VALU_DEP_1) | instskip(NEXT) | instid1(VALU_DEP_1)
	v_div_fmas_f32 v13, v13, v14, v26
	v_div_fixup_f32 v4, v13, v11, v4
	s_delay_alu instid0(VALU_DEP_1) | instskip(NEXT) | instid1(VALU_DEP_1)
	v_fma_f32 v4, v4, v4, 1.0
	v_mul_f32_e32 v13, 0x4f800000, v4
	v_cmp_gt_f32_e32 vcc_lo, 0xf800000, v4
	s_delay_alu instid0(VALU_DEP_2) | instskip(NEXT) | instid1(VALU_DEP_1)
	v_cndmask_b32_e32 v4, v4, v13, vcc_lo
	v_sqrt_f32_e32 v13, v4
	s_waitcnt_depctr 0xfff
	v_add_nc_u32_e32 v14, -1, v13
	v_add_nc_u32_e32 v26, 1, v13
	s_delay_alu instid0(VALU_DEP_2) | instskip(NEXT) | instid1(VALU_DEP_2)
	v_fma_f32 v27, -v14, v13, v4
	v_fma_f32 v28, -v26, v13, v4
	s_delay_alu instid0(VALU_DEP_2) | instskip(NEXT) | instid1(VALU_DEP_1)
	v_cmp_ge_f32_e64 s4, 0, v27
	v_cndmask_b32_e64 v13, v13, v14, s4
	s_delay_alu instid0(VALU_DEP_3) | instskip(NEXT) | instid1(VALU_DEP_1)
	v_cmp_lt_f32_e64 s4, 0, v28
	v_cndmask_b32_e64 v13, v13, v26, s4
	s_delay_alu instid0(VALU_DEP_1) | instskip(NEXT) | instid1(VALU_DEP_1)
	v_mul_f32_e32 v14, 0x37800000, v13
	v_cndmask_b32_e32 v13, v13, v14, vcc_lo
	v_cmp_class_f32_e64 vcc_lo, v4, 0x260
	s_delay_alu instid0(VALU_DEP_2) | instskip(NEXT) | instid1(VALU_DEP_1)
	v_cndmask_b32_e32 v4, v13, v4, vcc_lo
	v_mul_f32_e32 v13, v11, v4
.LBB33_32:                              ;   in Loop: Header=BB33_9 Depth=3
	s_or_b32 exec_lo, exec_lo, s49
                                        ; implicit-def: $vgpr4
                                        ; implicit-def: $vgpr11
	s_and_not1_saveexec_b32 s48, s48
	s_cbranch_execz .LBB33_29
.LBB33_33:                              ;   in Loop: Header=BB33_9 Depth=3
	v_div_scale_f32 v13, null, v4, v4, v11
	v_div_scale_f32 v27, vcc_lo, v11, v4, v11
	s_delay_alu instid0(VALU_DEP_2) | instskip(SKIP_2) | instid1(VALU_DEP_1)
	v_rcp_f32_e32 v14, v13
	s_waitcnt_depctr 0xfff
	v_fma_f32 v26, -v13, v14, 1.0
	v_fmac_f32_e32 v14, v26, v14
	s_delay_alu instid0(VALU_DEP_1) | instskip(NEXT) | instid1(VALU_DEP_1)
	v_mul_f32_e32 v26, v27, v14
	v_fma_f32 v28, -v13, v26, v27
	s_delay_alu instid0(VALU_DEP_1) | instskip(NEXT) | instid1(VALU_DEP_1)
	v_fmac_f32_e32 v26, v28, v14
	v_fma_f32 v13, -v13, v26, v27
	s_delay_alu instid0(VALU_DEP_1) | instskip(NEXT) | instid1(VALU_DEP_1)
	v_div_fmas_f32 v13, v13, v14, v26
	v_div_fixup_f32 v11, v13, v4, v11
	s_delay_alu instid0(VALU_DEP_1) | instskip(NEXT) | instid1(VALU_DEP_1)
	v_fma_f32 v11, v11, v11, 1.0
	v_mul_f32_e32 v13, 0x4f800000, v11
	v_cmp_gt_f32_e32 vcc_lo, 0xf800000, v11
	s_delay_alu instid0(VALU_DEP_2) | instskip(NEXT) | instid1(VALU_DEP_1)
	v_cndmask_b32_e32 v11, v11, v13, vcc_lo
	v_sqrt_f32_e32 v13, v11
	s_waitcnt_depctr 0xfff
	v_add_nc_u32_e32 v14, -1, v13
	v_add_nc_u32_e32 v26, 1, v13
	s_delay_alu instid0(VALU_DEP_2) | instskip(NEXT) | instid1(VALU_DEP_2)
	v_fma_f32 v27, -v14, v13, v11
	v_fma_f32 v28, -v26, v13, v11
	s_delay_alu instid0(VALU_DEP_2) | instskip(NEXT) | instid1(VALU_DEP_1)
	v_cmp_ge_f32_e64 s4, 0, v27
	v_cndmask_b32_e64 v13, v13, v14, s4
	s_delay_alu instid0(VALU_DEP_3) | instskip(NEXT) | instid1(VALU_DEP_1)
	v_cmp_lt_f32_e64 s4, 0, v28
	v_cndmask_b32_e64 v13, v13, v26, s4
	s_delay_alu instid0(VALU_DEP_1) | instskip(NEXT) | instid1(VALU_DEP_1)
	v_mul_f32_e32 v14, 0x37800000, v13
	v_cndmask_b32_e32 v13, v13, v14, vcc_lo
	v_cmp_class_f32_e64 vcc_lo, v11, 0x260
	s_delay_alu instid0(VALU_DEP_2) | instskip(NEXT) | instid1(VALU_DEP_1)
	v_cndmask_b32_e32 v11, v13, v11, vcc_lo
	v_mul_f32_e32 v13, v4, v11
	s_or_b32 exec_lo, exec_lo, s48
	s_delay_alu instid0(VALU_DEP_1) | instskip(NEXT) | instid1(VALU_DEP_1)
	v_cmp_class_f32_e64 s48, v13, 0x1f8
	s_and_saveexec_b32 s4, s48
	s_cbranch_execz .LBB33_8
.LBB33_34:                              ;   in Loop: Header=BB33_9 Depth=3
	s_mov_b32 s48, 0
                                        ; implicit-def: $vgpr13_vgpr14
	s_and_saveexec_b32 s49, s3
	s_delay_alu instid0(SALU_CYCLE_1)
	s_xor_b32 s3, exec_lo, s49
	s_cbranch_execnz .LBB33_37
; %bb.35:                               ;   in Loop: Header=BB33_9 Depth=3
	s_and_not1_saveexec_b32 s3, s3
	s_cbranch_execnz .LBB33_50
.LBB33_36:                              ;   in Loop: Header=BB33_9 Depth=3
	s_or_b32 exec_lo, exec_lo, s3
	s_delay_alu instid0(SALU_CYCLE_1)
	s_and_b32 exec_lo, exec_lo, s48
	s_cbranch_execz .LBB33_8
	s_branch .LBB33_59
.LBB33_37:                              ;   in Loop: Header=BB33_9 Depth=3
	s_mov_b32 s49, exec_lo
                                        ; implicit-def: $vgpr13_vgpr14
	v_cmpx_ge_i32_e64 v2, v6
	s_xor_b32 s49, exec_lo, s49
; %bb.38:                               ;   in Loop: Header=BB33_9 Depth=3
	v_lshlrev_b64 v[6:7], 3, v[6:7]
	s_mov_b32 s48, exec_lo
                                        ; implicit-def: $vgpr12
                                        ; implicit-def: $vgpr25
                                        ; implicit-def: $vgpr10
	s_delay_alu instid0(VALU_DEP_1) | instskip(NEXT) | instid1(VALU_DEP_2)
	v_add_co_u32 v13, vcc_lo, s38, v6
	v_add_co_ci_u32_e32 v14, vcc_lo, s39, v7, vcc_lo
; %bb.39:                               ;   in Loop: Header=BB33_9 Depth=3
	s_and_not1_saveexec_b32 s49, s49
	s_cbranch_execz .LBB33_49
; %bb.40:                               ;   in Loop: Header=BB33_9 Depth=3
	s_mov_b32 s51, s48
	s_mov_b32 s50, exec_lo
                                        ; implicit-def: $vgpr13_vgpr14
	v_cmpx_lt_i32_e64 v12, v25
	s_cbranch_execz .LBB33_48
; %bb.41:                               ;   in Loop: Header=BB33_9 Depth=3
	s_mov_b32 s52, 0
                                        ; implicit-def: $sgpr51
                                        ; implicit-def: $sgpr54
                                        ; implicit-def: $sgpr53
	s_set_inst_prefetch_distance 0x1
	s_branch .LBB33_43
	.p2align	6
.LBB33_42:                              ;   in Loop: Header=BB33_43 Depth=4
	s_or_b32 exec_lo, exec_lo, s55
	s_delay_alu instid0(SALU_CYCLE_1) | instskip(NEXT) | instid1(SALU_CYCLE_1)
	s_and_b32 s55, exec_lo, s54
	s_or_b32 s52, s55, s52
	s_and_not1_b32 s51, s51, exec_lo
	s_and_b32 s55, s53, exec_lo
	s_delay_alu instid0(SALU_CYCLE_1)
	s_or_b32 s51, s51, s55
	s_and_not1_b32 exec_lo, exec_lo, s52
	s_cbranch_execz .LBB33_45
.LBB33_43:                              ;   Parent Loop BB33_3 Depth=1
                                        ;     Parent Loop BB33_5 Depth=2
                                        ;       Parent Loop BB33_9 Depth=3
                                        ; =>      This Inner Loop Header: Depth=4
	v_add_nc_u32_e32 v6, v10, v12
	s_or_b32 s53, s53, exec_lo
	s_or_b32 s54, s54, exec_lo
	s_mov_b32 s55, exec_lo
	s_delay_alu instid0(VALU_DEP_1) | instskip(NEXT) | instid1(VALU_DEP_1)
	v_ashrrev_i32_e32 v7, 31, v6
	v_lshlrev_b64 v[13:14], 2, v[6:7]
	s_delay_alu instid0(VALU_DEP_1) | instskip(NEXT) | instid1(VALU_DEP_2)
	v_add_co_u32 v13, vcc_lo, s12, v13
	v_add_co_ci_u32_e32 v14, vcc_lo, s13, v14, vcc_lo
	global_load_b32 v0, v[13:14], off
	s_waitcnt vmcnt(0)
	v_subrev_nc_u32_e32 v0, s43, v0
	s_delay_alu instid0(VALU_DEP_1)
	v_cmpx_ne_u32_e64 v0, v2
	s_cbranch_execz .LBB33_42
; %bb.44:                               ;   in Loop: Header=BB33_43 Depth=4
	v_add_nc_u32_e32 v12, 1, v12
	s_and_not1_b32 s54, s54, exec_lo
	s_and_not1_b32 s53, s53, exec_lo
	s_delay_alu instid0(VALU_DEP_1) | instskip(SKIP_1) | instid1(SALU_CYCLE_1)
	v_cmp_ge_i32_e32 vcc_lo, v12, v25
	s_and_b32 s56, vcc_lo, exec_lo
	s_or_b32 s54, s54, s56
	s_branch .LBB33_42
.LBB33_45:                              ;   in Loop: Header=BB33_9 Depth=3
	s_set_inst_prefetch_distance 0x2
	s_or_b32 exec_lo, exec_lo, s52
	s_mov_b32 s52, s48
                                        ; implicit-def: $vgpr13_vgpr14
	s_and_saveexec_b32 s53, s51
	s_delay_alu instid0(SALU_CYCLE_1)
	s_xor_b32 s51, exec_lo, s53
; %bb.46:                               ;   in Loop: Header=BB33_9 Depth=3
	v_lshlrev_b64 v[6:7], 3, v[6:7]
	s_or_b32 s52, s48, exec_lo
	s_delay_alu instid0(VALU_DEP_1) | instskip(NEXT) | instid1(VALU_DEP_2)
	v_add_co_u32 v13, vcc_lo, s34, v6
	v_add_co_ci_u32_e32 v14, vcc_lo, s35, v7, vcc_lo
; %bb.47:                               ;   in Loop: Header=BB33_9 Depth=3
	s_or_b32 exec_lo, exec_lo, s51
	s_delay_alu instid0(SALU_CYCLE_1) | instskip(SKIP_1) | instid1(SALU_CYCLE_1)
	s_and_not1_b32 s51, s48, exec_lo
	s_and_b32 s52, s52, exec_lo
	s_or_b32 s51, s51, s52
.LBB33_48:                              ;   in Loop: Header=BB33_9 Depth=3
	s_or_b32 exec_lo, exec_lo, s50
	s_delay_alu instid0(SALU_CYCLE_1) | instskip(SKIP_1) | instid1(SALU_CYCLE_1)
	s_and_not1_b32 s48, s48, exec_lo
	s_and_b32 s50, s51, exec_lo
	s_or_b32 s48, s48, s50
.LBB33_49:                              ;   in Loop: Header=BB33_9 Depth=3
	s_or_b32 exec_lo, exec_lo, s49
	s_delay_alu instid0(SALU_CYCLE_1)
	s_and_b32 s48, s48, exec_lo
                                        ; implicit-def: $vgpr6_vgpr7
	s_and_not1_saveexec_b32 s3, s3
	s_cbranch_execz .LBB33_36
.LBB33_50:                              ;   in Loop: Header=BB33_9 Depth=3
	s_mov_b32 s50, s48
	s_mov_b32 s49, exec_lo
                                        ; implicit-def: $vgpr13_vgpr14
	v_cmpx_lt_i32_e64 v0, v20
	s_cbranch_execz .LBB33_58
; %bb.51:                               ;   in Loop: Header=BB33_9 Depth=3
	s_mov_b32 s51, 0
                                        ; implicit-def: $sgpr50
                                        ; implicit-def: $sgpr53
                                        ; implicit-def: $sgpr52
	s_set_inst_prefetch_distance 0x1
	s_branch .LBB33_53
	.p2align	6
.LBB33_52:                              ;   in Loop: Header=BB33_53 Depth=4
	s_or_b32 exec_lo, exec_lo, s54
	s_delay_alu instid0(SALU_CYCLE_1) | instskip(NEXT) | instid1(SALU_CYCLE_1)
	s_and_b32 s54, exec_lo, s53
	s_or_b32 s51, s54, s51
	s_and_not1_b32 s50, s50, exec_lo
	s_and_b32 s54, s52, exec_lo
	s_delay_alu instid0(SALU_CYCLE_1)
	s_or_b32 s50, s50, s54
	s_and_not1_b32 exec_lo, exec_lo, s51
	s_cbranch_execz .LBB33_55
.LBB33_53:                              ;   Parent Loop BB33_3 Depth=1
                                        ;     Parent Loop BB33_5 Depth=2
                                        ;       Parent Loop BB33_9 Depth=3
                                        ; =>      This Inner Loop Header: Depth=4
	v_add_nc_u32_e32 v10, v5, v0
	s_or_b32 s52, s52, exec_lo
	s_or_b32 s53, s53, exec_lo
	s_mov_b32 s54, exec_lo
	s_delay_alu instid0(VALU_DEP_1) | instskip(NEXT) | instid1(VALU_DEP_1)
	v_ashrrev_i32_e32 v11, 31, v10
	v_lshlrev_b64 v[12:13], 2, v[10:11]
	s_delay_alu instid0(VALU_DEP_1) | instskip(NEXT) | instid1(VALU_DEP_2)
	v_add_co_u32 v12, vcc_lo, s20, v12
	v_add_co_ci_u32_e32 v13, vcc_lo, s21, v13, vcc_lo
	global_load_b32 v4, v[12:13], off
	s_waitcnt vmcnt(0)
	v_subrev_nc_u32_e32 v4, s42, v4
	s_delay_alu instid0(VALU_DEP_1)
	v_cmpx_ne_u32_e64 v4, v6
	s_cbranch_execz .LBB33_52
; %bb.54:                               ;   in Loop: Header=BB33_53 Depth=4
	v_add_nc_u32_e32 v0, 1, v0
	s_and_not1_b32 s53, s53, exec_lo
	s_and_not1_b32 s52, s52, exec_lo
	s_delay_alu instid0(VALU_DEP_1) | instskip(SKIP_1) | instid1(SALU_CYCLE_1)
	v_cmp_ge_i32_e32 vcc_lo, v0, v20
	s_and_b32 s55, vcc_lo, exec_lo
	s_or_b32 s53, s53, s55
	s_branch .LBB33_52
.LBB33_55:                              ;   in Loop: Header=BB33_9 Depth=3
	s_set_inst_prefetch_distance 0x2
	s_or_b32 exec_lo, exec_lo, s51
	s_mov_b32 s51, s48
                                        ; implicit-def: $vgpr13_vgpr14
	s_and_saveexec_b32 s52, s50
	s_delay_alu instid0(SALU_CYCLE_1)
	s_xor_b32 s50, exec_lo, s52
; %bb.56:                               ;   in Loop: Header=BB33_9 Depth=3
	v_lshlrev_b64 v[6:7], 3, v[10:11]
	s_or_b32 s51, s48, exec_lo
	s_delay_alu instid0(VALU_DEP_1) | instskip(NEXT) | instid1(VALU_DEP_2)
	v_add_co_u32 v13, vcc_lo, s40, v6
	v_add_co_ci_u32_e32 v14, vcc_lo, s41, v7, vcc_lo
; %bb.57:                               ;   in Loop: Header=BB33_9 Depth=3
	s_or_b32 exec_lo, exec_lo, s50
	s_delay_alu instid0(SALU_CYCLE_1) | instskip(SKIP_1) | instid1(SALU_CYCLE_1)
	s_and_not1_b32 s50, s48, exec_lo
	s_and_b32 s51, s51, exec_lo
	s_or_b32 s50, s50, s51
.LBB33_58:                              ;   in Loop: Header=BB33_9 Depth=3
	s_or_b32 exec_lo, exec_lo, s49
	s_delay_alu instid0(SALU_CYCLE_1) | instskip(SKIP_1) | instid1(SALU_CYCLE_1)
	s_and_not1_b32 s48, s48, exec_lo
	s_and_b32 s49, s50, exec_lo
	s_or_b32 s48, s48, s49
	s_or_b32 exec_lo, exec_lo, s3
	s_delay_alu instid0(SALU_CYCLE_1)
	s_and_b32 exec_lo, exec_lo, s48
	s_cbranch_execz .LBB33_8
.LBB33_59:                              ;   in Loop: Header=BB33_9 Depth=3
	global_store_b64 v[13:14], v[8:9], off
	s_branch .LBB33_8
.LBB33_60:                              ;   in Loop: Header=BB33_3 Depth=1
	s_and_saveexec_b32 s3, s0
	s_cbranch_execz .LBB33_2
; %bb.61:                               ;   in Loop: Header=BB33_3 Depth=1
	v_mov_b32_e32 v2, v15
	s_mov_b32 s4, 0
	s_branch .LBB33_63
.LBB33_62:                              ;   in Loop: Header=BB33_63 Depth=2
	s_or_b32 exec_lo, exec_lo, s45
	v_add_nc_u32_e32 v2, 32, v2
	s_delay_alu instid0(VALU_DEP_1) | instskip(SKIP_1) | instid1(SALU_CYCLE_1)
	v_cmp_le_u32_e32 vcc_lo, s44, v2
	s_or_b32 s4, vcc_lo, s4
	s_and_not1_b32 exec_lo, exec_lo, s4
	s_cbranch_execz .LBB33_2
.LBB33_63:                              ;   Parent Loop BB33_3 Depth=1
                                        ; =>  This Loop Header: Depth=2
                                        ;       Child Loop BB33_66 Depth 3
                                        ;       Child Loop BB33_69 Depth 3
	s_mov_b32 s45, exec_lo
	s_delay_alu instid0(VALU_DEP_1)
	v_cmpx_gt_i32_e64 s7, v2
	s_cbranch_execz .LBB33_62
; %bb.64:                               ;   in Loop: Header=BB33_63 Depth=2
	v_ashrrev_i32_e32 v3, 31, v2
	s_mov_b32 s46, exec_lo
	s_delay_alu instid0(VALU_DEP_1) | instskip(NEXT) | instid1(VALU_DEP_1)
	v_lshlrev_b64 v[4:5], 2, v[2:3]
	v_add_co_u32 v6, vcc_lo, s16, v4
	s_delay_alu instid0(VALU_DEP_2)
	v_add_co_ci_u32_e32 v7, vcc_lo, s17, v5, vcc_lo
	v_add_co_u32 v8, vcc_lo, s18, v4
	v_add_co_ci_u32_e32 v9, vcc_lo, s19, v5, vcc_lo
	global_load_b32 v0, v[6:7], off
	global_load_b32 v7, v[8:9], off
	s_waitcnt vmcnt(1)
	v_add_nc_u32_e32 v6, v17, v0
	s_waitcnt vmcnt(0)
	v_subrev_nc_u32_e32 v0, s42, v7
	s_delay_alu instid0(VALU_DEP_1)
	v_cmpx_lt_i32_e64 v6, v0
	s_cbranch_execz .LBB33_67
; %bb.65:                               ;   in Loop: Header=BB33_63 Depth=2
	v_ashrrev_i32_e32 v7, 31, v6
	s_mov_b32 s47, 0
	s_delay_alu instid0(VALU_DEP_1) | instskip(NEXT) | instid1(VALU_DEP_1)
	v_lshlrev_b64 v[9:10], 3, v[6:7]
	v_add_co_u32 v7, vcc_lo, s40, v9
	s_delay_alu instid0(VALU_DEP_2)
	v_add_co_ci_u32_e32 v8, vcc_lo, s41, v10, vcc_lo
	v_add_co_u32 v9, vcc_lo, s22, v9
	v_add_co_ci_u32_e32 v10, vcc_lo, s23, v10, vcc_lo
	.p2align	6
.LBB33_66:                              ;   Parent Loop BB33_3 Depth=1
                                        ;     Parent Loop BB33_63 Depth=2
                                        ; =>    This Inner Loop Header: Depth=3
	global_load_b64 v[11:12], v[7:8], off
	v_add_nc_u32_e32 v6, 32, v6
	v_add_co_u32 v7, vcc_lo, 0x100, v7
	v_add_co_ci_u32_e32 v8, vcc_lo, 0, v8, vcc_lo
	s_delay_alu instid0(VALU_DEP_3) | instskip(SKIP_4) | instid1(VALU_DEP_1)
	v_cmp_ge_i32_e32 vcc_lo, v6, v0
	s_or_b32 s47, vcc_lo, s47
	s_waitcnt vmcnt(0)
	global_store_b64 v[9:10], v[11:12], off
	v_add_co_u32 v9, s2, 0x100, v9
	v_add_co_ci_u32_e64 v10, s2, 0, v10, s2
	s_and_not1_b32 exec_lo, exec_lo, s47
	s_cbranch_execnz .LBB33_66
.LBB33_67:                              ;   in Loop: Header=BB33_63 Depth=2
	s_or_b32 exec_lo, exec_lo, s46
	v_add_co_u32 v6, vcc_lo, s8, v4
	v_add_co_ci_u32_e32 v7, vcc_lo, s9, v5, vcc_lo
	v_add_co_u32 v4, vcc_lo, s10, v4
	v_add_co_ci_u32_e32 v5, vcc_lo, s11, v5, vcc_lo
	s_mov_b32 s46, exec_lo
	global_load_b32 v0, v[6:7], off
	global_load_b32 v5, v[4:5], off
	s_waitcnt vmcnt(1)
	v_add_nc_u32_e32 v4, v18, v0
	s_waitcnt vmcnt(0)
	v_subrev_nc_u32_e32 v0, s43, v5
	s_delay_alu instid0(VALU_DEP_1)
	v_cmpx_lt_i32_e64 v4, v0
	s_cbranch_execz .LBB33_70
; %bb.68:                               ;   in Loop: Header=BB33_63 Depth=2
	v_ashrrev_i32_e32 v5, 31, v4
	s_mov_b32 s47, 0
	s_delay_alu instid0(VALU_DEP_1) | instskip(NEXT) | instid1(VALU_DEP_1)
	v_lshlrev_b64 v[7:8], 3, v[4:5]
	v_add_co_u32 v5, vcc_lo, s34, v7
	s_delay_alu instid0(VALU_DEP_2)
	v_add_co_ci_u32_e32 v6, vcc_lo, s35, v8, vcc_lo
	v_add_co_u32 v7, vcc_lo, s14, v7
	v_add_co_ci_u32_e32 v8, vcc_lo, s15, v8, vcc_lo
	.p2align	6
.LBB33_69:                              ;   Parent Loop BB33_3 Depth=1
                                        ;     Parent Loop BB33_63 Depth=2
                                        ; =>    This Inner Loop Header: Depth=3
	global_load_b64 v[9:10], v[5:6], off
	v_add_nc_u32_e32 v4, 32, v4
	v_add_co_u32 v5, vcc_lo, 0x100, v5
	v_add_co_ci_u32_e32 v6, vcc_lo, 0, v6, vcc_lo
	s_delay_alu instid0(VALU_DEP_3) | instskip(SKIP_4) | instid1(VALU_DEP_1)
	v_cmp_ge_i32_e32 vcc_lo, v4, v0
	s_or_b32 s47, vcc_lo, s47
	s_waitcnt vmcnt(0)
	global_store_b64 v[7:8], v[9:10], off
	v_add_co_u32 v7, s2, 0x100, v7
	v_add_co_ci_u32_e64 v8, s2, 0, v8, s2
	s_and_not1_b32 exec_lo, exec_lo, s47
	s_cbranch_execnz .LBB33_69
.LBB33_70:                              ;   in Loop: Header=BB33_63 Depth=2
	s_or_b32 exec_lo, exec_lo, s46
	s_delay_alu instid0(SALU_CYCLE_1)
	s_and_b32 exec_lo, exec_lo, s1
	s_cbranch_execz .LBB33_62
; %bb.71:                               ;   in Loop: Header=BB33_63 Depth=2
	v_lshlrev_b64 v[3:4], 3, v[2:3]
	s_delay_alu instid0(VALU_DEP_1) | instskip(NEXT) | instid1(VALU_DEP_2)
	v_add_co_u32 v5, vcc_lo, s38, v3
	v_add_co_ci_u32_e32 v6, vcc_lo, s39, v4, vcc_lo
	v_add_co_u32 v3, vcc_lo, s36, v3
	v_add_co_ci_u32_e32 v4, vcc_lo, s37, v4, vcc_lo
	global_load_b64 v[5:6], v[5:6], off
	s_waitcnt vmcnt(0)
	global_store_b64 v[3:4], v[5:6], off
	s_branch .LBB33_62
.LBB33_72:
	s_nop 0
	s_sendmsg sendmsg(MSG_DEALLOC_VGPRS)
	s_endpgm
	.section	.rodata,"a",@progbits
	.p2align	6, 0x0
	.amdhsa_kernel _ZN9rocsparseL14kernel_freerunILi1024ELi32E21rocsparse_complex_numIfEiiEEvT3_S3_T2_PKS4_S6_PKS3_PKT1_21rocsparse_index_base_S6_S6_S8_PS9_SD_SC_S6_S6_S8_SD_SD_SC_SD_SD_
		.amdhsa_group_segment_fixed_size 0
		.amdhsa_private_segment_fixed_size 0
		.amdhsa_kernarg_size 168
		.amdhsa_user_sgpr_count 15
		.amdhsa_user_sgpr_dispatch_ptr 0
		.amdhsa_user_sgpr_queue_ptr 0
		.amdhsa_user_sgpr_kernarg_segment_ptr 1
		.amdhsa_user_sgpr_dispatch_id 0
		.amdhsa_user_sgpr_private_segment_size 0
		.amdhsa_wavefront_size32 1
		.amdhsa_uses_dynamic_stack 0
		.amdhsa_enable_private_segment 0
		.amdhsa_system_sgpr_workgroup_id_x 1
		.amdhsa_system_sgpr_workgroup_id_y 0
		.amdhsa_system_sgpr_workgroup_id_z 0
		.amdhsa_system_sgpr_workgroup_info 0
		.amdhsa_system_vgpr_workitem_id 0
		.amdhsa_next_free_vgpr 34
		.amdhsa_next_free_sgpr 57
		.amdhsa_reserve_vcc 1
		.amdhsa_float_round_mode_32 0
		.amdhsa_float_round_mode_16_64 0
		.amdhsa_float_denorm_mode_32 3
		.amdhsa_float_denorm_mode_16_64 3
		.amdhsa_dx10_clamp 1
		.amdhsa_ieee_mode 1
		.amdhsa_fp16_overflow 0
		.amdhsa_workgroup_processor_mode 1
		.amdhsa_memory_ordered 1
		.amdhsa_forward_progress 0
		.amdhsa_shared_vgpr_count 0
		.amdhsa_exception_fp_ieee_invalid_op 0
		.amdhsa_exception_fp_denorm_src 0
		.amdhsa_exception_fp_ieee_div_zero 0
		.amdhsa_exception_fp_ieee_overflow 0
		.amdhsa_exception_fp_ieee_underflow 0
		.amdhsa_exception_fp_ieee_inexact 0
		.amdhsa_exception_int_div_zero 0
	.end_amdhsa_kernel
	.section	.text._ZN9rocsparseL14kernel_freerunILi1024ELi32E21rocsparse_complex_numIfEiiEEvT3_S3_T2_PKS4_S6_PKS3_PKT1_21rocsparse_index_base_S6_S6_S8_PS9_SD_SC_S6_S6_S8_SD_SD_SC_SD_SD_,"axG",@progbits,_ZN9rocsparseL14kernel_freerunILi1024ELi32E21rocsparse_complex_numIfEiiEEvT3_S3_T2_PKS4_S6_PKS3_PKT1_21rocsparse_index_base_S6_S6_S8_PS9_SD_SC_S6_S6_S8_SD_SD_SC_SD_SD_,comdat
.Lfunc_end33:
	.size	_ZN9rocsparseL14kernel_freerunILi1024ELi32E21rocsparse_complex_numIfEiiEEvT3_S3_T2_PKS4_S6_PKS3_PKT1_21rocsparse_index_base_S6_S6_S8_PS9_SD_SC_S6_S6_S8_SD_SD_SC_SD_SD_, .Lfunc_end33-_ZN9rocsparseL14kernel_freerunILi1024ELi32E21rocsparse_complex_numIfEiiEEvT3_S3_T2_PKS4_S6_PKS3_PKT1_21rocsparse_index_base_S6_S6_S8_PS9_SD_SC_S6_S6_S8_SD_SD_SC_SD_SD_
                                        ; -- End function
	.section	.AMDGPU.csdata,"",@progbits
; Kernel info:
; codeLenInByte = 3824
; NumSgprs: 59
; NumVgprs: 34
; ScratchSize: 0
; MemoryBound: 0
; FloatMode: 240
; IeeeMode: 1
; LDSByteSize: 0 bytes/workgroup (compile time only)
; SGPRBlocks: 7
; VGPRBlocks: 4
; NumSGPRsForWavesPerEU: 59
; NumVGPRsForWavesPerEU: 34
; Occupancy: 16
; WaveLimiterHint : 1
; COMPUTE_PGM_RSRC2:SCRATCH_EN: 0
; COMPUTE_PGM_RSRC2:USER_SGPR: 15
; COMPUTE_PGM_RSRC2:TRAP_HANDLER: 0
; COMPUTE_PGM_RSRC2:TGID_X_EN: 1
; COMPUTE_PGM_RSRC2:TGID_Y_EN: 0
; COMPUTE_PGM_RSRC2:TGID_Z_EN: 0
; COMPUTE_PGM_RSRC2:TIDIG_COMP_CNT: 0
	.section	.text._ZN9rocsparseL14kernel_freerunILi1024ELi64E21rocsparse_complex_numIfEiiEEvT3_S3_T2_PKS4_S6_PKS3_PKT1_21rocsparse_index_base_S6_S6_S8_PS9_SD_SC_S6_S6_S8_SD_SD_SC_SD_SD_,"axG",@progbits,_ZN9rocsparseL14kernel_freerunILi1024ELi64E21rocsparse_complex_numIfEiiEEvT3_S3_T2_PKS4_S6_PKS3_PKT1_21rocsparse_index_base_S6_S6_S8_PS9_SD_SC_S6_S6_S8_SD_SD_SC_SD_SD_,comdat
	.globl	_ZN9rocsparseL14kernel_freerunILi1024ELi64E21rocsparse_complex_numIfEiiEEvT3_S3_T2_PKS4_S6_PKS3_PKT1_21rocsparse_index_base_S6_S6_S8_PS9_SD_SC_S6_S6_S8_SD_SD_SC_SD_SD_ ; -- Begin function _ZN9rocsparseL14kernel_freerunILi1024ELi64E21rocsparse_complex_numIfEiiEEvT3_S3_T2_PKS4_S6_PKS3_PKT1_21rocsparse_index_base_S6_S6_S8_PS9_SD_SC_S6_S6_S8_SD_SD_SC_SD_SD_
	.p2align	8
	.type	_ZN9rocsparseL14kernel_freerunILi1024ELi64E21rocsparse_complex_numIfEiiEEvT3_S3_T2_PKS4_S6_PKS3_PKT1_21rocsparse_index_base_S6_S6_S8_PS9_SD_SC_S6_S6_S8_SD_SD_SC_SD_SD_,@function
_ZN9rocsparseL14kernel_freerunILi1024ELi64E21rocsparse_complex_numIfEiiEEvT3_S3_T2_PKS4_S6_PKS3_PKT1_21rocsparse_index_base_S6_S6_S8_PS9_SD_SC_S6_S6_S8_SD_SD_SC_SD_SD_: ; @_ZN9rocsparseL14kernel_freerunILi1024ELi64E21rocsparse_complex_numIfEiiEEvT3_S3_T2_PKS4_S6_PKS3_PKT1_21rocsparse_index_base_S6_S6_S8_PS9_SD_SC_S6_S6_S8_SD_SD_SC_SD_SD_
; %bb.0:
	s_load_b64 s[6:7], s[0:1], 0x0
	v_lshrrev_b32_e32 v1, 6, v0
	s_lshl_b32 s44, s15, 10
	s_mov_b32 s5, 0
	s_delay_alu instid0(VALU_DEP_1) | instskip(SKIP_1) | instid1(VALU_DEP_1)
	v_or_b32_e32 v15, s44, v1
	s_waitcnt lgkmcnt(0)
	v_cmp_gt_i32_e32 vcc_lo, s7, v15
	s_cmp_gt_i32 s6, 0
	s_cselect_b32 s2, -1, 0
	s_delay_alu instid0(SALU_CYCLE_1) | instskip(NEXT) | instid1(SALU_CYCLE_1)
	s_and_b32 s2, vcc_lo, s2
	s_and_saveexec_b32 s3, s2
	s_cbranch_execz .LBB34_72
; %bb.1:
	s_clause 0x8
	s_load_b32 s33, s[0:1], 0x30
	s_load_b32 s42, s[0:1], 0x60
	;; [unrolled: 1-line block ×3, first 2 shown]
	s_load_b64 s[34:35], s[0:1], 0x88
	s_load_b64 s[40:41], s[0:1], 0x58
	s_load_b128 s[36:39], s[0:1], 0x98
	s_load_b256 s[8:15], s[0:1], 0x68
	s_load_b256 s[16:23], s[0:1], 0x38
	;; [unrolled: 1-line block ×3, first 2 shown]
	v_dual_mov_b32 v1, 0 :: v_dual_and_b32 v0, 63, v0
	s_addk_i32 s44, 0x400
	s_delay_alu instid0(SALU_CYCLE_1) | instskip(NEXT) | instid1(VALU_DEP_2)
	v_cmp_gt_u32_e64 s0, s44, v15
	v_cmp_eq_u32_e64 s1, 0, v0
	s_waitcnt lgkmcnt(0)
	v_subrev_nc_u32_e32 v16, s33, v0
	v_subrev_nc_u32_e32 v17, s42, v0
	;; [unrolled: 1-line block ×3, first 2 shown]
	s_branch .LBB34_3
.LBB34_2:                               ;   in Loop: Header=BB34_3 Depth=1
	s_or_b32 exec_lo, exec_lo, s3
	s_add_i32 s5, s5, 1
	s_delay_alu instid0(SALU_CYCLE_1)
	s_cmp_eq_u32 s5, s6
	s_cbranch_scc1 .LBB34_72
.LBB34_3:                               ; =>This Loop Header: Depth=1
                                        ;     Child Loop BB34_5 Depth 2
                                        ;       Child Loop BB34_9 Depth 3
                                        ;         Child Loop BB34_13 Depth 4
                                        ;         Child Loop BB34_43 Depth 4
                                        ;         Child Loop BB34_53 Depth 4
                                        ;     Child Loop BB34_63 Depth 2
                                        ;       Child Loop BB34_66 Depth 3
                                        ;       Child Loop BB34_69 Depth 3
	s_mov_b32 s45, 0
	s_branch .LBB34_5
.LBB34_4:                               ;   in Loop: Header=BB34_5 Depth=2
	s_or_b32 exec_lo, exec_lo, s46
	s_add_i32 s45, s45, 1
	s_delay_alu instid0(SALU_CYCLE_1)
	s_cmp_eq_u32 s45, 64
	s_cbranch_scc1 .LBB34_60
.LBB34_5:                               ;   Parent Loop BB34_3 Depth=1
                                        ; =>  This Loop Header: Depth=2
                                        ;       Child Loop BB34_9 Depth 3
                                        ;         Child Loop BB34_13 Depth 4
                                        ;         Child Loop BB34_43 Depth 4
	;; [unrolled: 1-line block ×3, first 2 shown]
	v_lshl_add_u32 v2, s45, 4, v15
	s_mov_b32 s46, exec_lo
	s_delay_alu instid0(VALU_DEP_1)
	v_cmpx_gt_i32_e64 s7, v2
	s_cbranch_execz .LBB34_4
; %bb.6:                                ;   in Loop: Header=BB34_5 Depth=2
	v_ashrrev_i32_e32 v3, 31, v2
	s_delay_alu instid0(VALU_DEP_1) | instskip(NEXT) | instid1(VALU_DEP_1)
	v_lshlrev_b64 v[4:5], 2, v[2:3]
	v_add_co_u32 v6, vcc_lo, s24, v4
	s_delay_alu instid0(VALU_DEP_2)
	v_add_co_ci_u32_e32 v7, vcc_lo, s25, v5, vcc_lo
	v_add_co_u32 v8, vcc_lo, s26, v4
	v_add_co_ci_u32_e32 v9, vcc_lo, s27, v5, vcc_lo
	global_load_b32 v0, v[6:7], off
	global_load_b32 v6, v[8:9], off
	s_waitcnt vmcnt(1)
	v_add_nc_u32_e32 v3, v16, v0
	s_waitcnt vmcnt(0)
	v_subrev_nc_u32_e32 v19, s33, v6
	s_delay_alu instid0(VALU_DEP_1)
	v_cmp_lt_i32_e32 vcc_lo, v3, v19
	s_and_b32 exec_lo, exec_lo, vcc_lo
	s_cbranch_execz .LBB34_4
; %bb.7:                                ;   in Loop: Header=BB34_5 Depth=2
	v_add_co_u32 v6, vcc_lo, s16, v4
	v_add_co_ci_u32_e32 v7, vcc_lo, s17, v5, vcc_lo
	v_add_co_u32 v4, vcc_lo, s18, v4
	v_add_co_ci_u32_e32 v5, vcc_lo, s19, v5, vcc_lo
	global_load_b32 v0, v[6:7], off
	s_mov_b32 s47, 0
	global_load_b32 v4, v[4:5], off
	s_waitcnt vmcnt(1)
	v_subrev_nc_u32_e32 v5, s42, v0
	s_waitcnt vmcnt(0)
	v_sub_nc_u32_e32 v20, v4, v0
	s_delay_alu instid0(VALU_DEP_2) | instskip(NEXT) | instid1(VALU_DEP_2)
	v_ashrrev_i32_e32 v6, 31, v5
	v_cmp_lt_i32_e64 s2, 0, v20
	s_delay_alu instid0(VALU_DEP_2) | instskip(SKIP_1) | instid1(VALU_DEP_2)
	v_lshlrev_b64 v[7:8], 2, v[5:6]
	v_lshlrev_b64 v[9:10], 3, v[5:6]
	v_add_co_u32 v21, vcc_lo, s20, v7
	s_delay_alu instid0(VALU_DEP_3) | instskip(NEXT) | instid1(VALU_DEP_3)
	v_add_co_ci_u32_e32 v22, vcc_lo, s21, v8, vcc_lo
	v_add_co_u32 v23, vcc_lo, s22, v9
	s_delay_alu instid0(VALU_DEP_4)
	v_add_co_ci_u32_e32 v24, vcc_lo, s23, v10, vcc_lo
	s_branch .LBB34_9
.LBB34_8:                               ;   in Loop: Header=BB34_9 Depth=3
	s_or_b32 exec_lo, exec_lo, s4
	v_add_nc_u32_e32 v3, 64, v3
	s_delay_alu instid0(VALU_DEP_1) | instskip(SKIP_1) | instid1(SALU_CYCLE_1)
	v_cmp_ge_i32_e32 vcc_lo, v3, v19
	s_or_b32 s47, vcc_lo, s47
	s_and_not1_b32 exec_lo, exec_lo, s47
	s_cbranch_execz .LBB34_4
.LBB34_9:                               ;   Parent Loop BB34_3 Depth=1
                                        ;     Parent Loop BB34_5 Depth=2
                                        ; =>    This Loop Header: Depth=3
                                        ;         Child Loop BB34_13 Depth 4
                                        ;         Child Loop BB34_43 Depth 4
	;; [unrolled: 1-line block ×3, first 2 shown]
	v_ashrrev_i32_e32 v4, 31, v3
	s_delay_alu instid0(VALU_DEP_1) | instskip(NEXT) | instid1(VALU_DEP_1)
	v_lshlrev_b64 v[6:7], 2, v[3:4]
	v_add_co_u32 v6, vcc_lo, s28, v6
	s_delay_alu instid0(VALU_DEP_2) | instskip(SKIP_4) | instid1(VALU_DEP_2)
	v_add_co_ci_u32_e32 v7, vcc_lo, s29, v7, vcc_lo
	global_load_b32 v0, v[6:7], off
	s_waitcnt vmcnt(0)
	v_subrev_nc_u32_e32 v6, s33, v0
	v_mov_b32_e32 v0, 0
	v_ashrrev_i32_e32 v7, 31, v6
	s_delay_alu instid0(VALU_DEP_1) | instskip(NEXT) | instid1(VALU_DEP_1)
	v_lshlrev_b64 v[8:9], 2, v[6:7]
	v_add_co_u32 v10, vcc_lo, s8, v8
	s_delay_alu instid0(VALU_DEP_2)
	v_add_co_ci_u32_e32 v11, vcc_lo, s9, v9, vcc_lo
	v_add_co_u32 v8, vcc_lo, s10, v8
	v_add_co_ci_u32_e32 v9, vcc_lo, s11, v9, vcc_lo
	global_load_b32 v11, v[10:11], off
	global_load_b32 v12, v[8:9], off
	v_dual_mov_b32 v8, 0 :: v_dual_mov_b32 v9, 0
	s_waitcnt vmcnt(1)
	v_subrev_nc_u32_e32 v10, s43, v11
	s_waitcnt vmcnt(0)
	v_sub_nc_u32_e32 v25, v12, v11
	v_mov_b32_e32 v12, 0
	s_and_saveexec_b32 s4, s2
	s_cbranch_execz .LBB34_17
; %bb.10:                               ;   in Loop: Header=BB34_9 Depth=3
	v_ashrrev_i32_e32 v11, 31, v10
	v_mov_b32_e32 v12, 0
	s_mov_b32 s48, 0
                                        ; implicit-def: $sgpr49
	s_delay_alu instid0(VALU_DEP_2) | instskip(SKIP_1) | instid1(VALU_DEP_2)
	v_lshlrev_b64 v[8:9], 2, v[10:11]
	v_lshlrev_b64 v[26:27], 3, v[10:11]
	v_add_co_u32 v11, vcc_lo, s12, v8
	s_delay_alu instid0(VALU_DEP_3) | instskip(SKIP_1) | instid1(VALU_DEP_4)
	v_add_co_ci_u32_e32 v14, vcc_lo, s13, v9, vcc_lo
	v_mov_b32_e32 v9, 0
	v_add_co_u32 v26, vcc_lo, s14, v26
	v_add_co_ci_u32_e32 v27, vcc_lo, s15, v27, vcc_lo
	v_mov_b32_e32 v0, v12
	v_mov_b32_e32 v8, 0
	s_branch .LBB34_13
.LBB34_11:                              ;   in Loop: Header=BB34_13 Depth=4
	s_or_b32 exec_lo, exec_lo, s3
	v_cmp_le_i32_e32 vcc_lo, v28, v29
	v_cmp_ge_i32_e64 s3, v28, v29
	v_add_co_ci_u32_e32 v0, vcc_lo, 0, v0, vcc_lo
	s_delay_alu instid0(VALU_DEP_2) | instskip(SKIP_1) | instid1(VALU_DEP_2)
	v_add_co_ci_u32_e64 v12, s3, 0, v12, s3
	s_and_not1_b32 s3, s49, exec_lo
	v_cmp_ge_i32_e32 vcc_lo, v0, v20
	s_and_b32 s49, vcc_lo, exec_lo
	s_delay_alu instid0(SALU_CYCLE_1)
	s_or_b32 s49, s3, s49
.LBB34_12:                              ;   in Loop: Header=BB34_13 Depth=4
	s_or_b32 exec_lo, exec_lo, s50
	s_delay_alu instid0(SALU_CYCLE_1) | instskip(NEXT) | instid1(SALU_CYCLE_1)
	s_and_b32 s3, exec_lo, s49
	s_or_b32 s48, s3, s48
	s_delay_alu instid0(SALU_CYCLE_1)
	s_and_not1_b32 exec_lo, exec_lo, s48
	s_cbranch_execz .LBB34_16
.LBB34_13:                              ;   Parent Loop BB34_3 Depth=1
                                        ;     Parent Loop BB34_5 Depth=2
                                        ;       Parent Loop BB34_9 Depth=3
                                        ; =>      This Inner Loop Header: Depth=4
	s_or_b32 s49, s49, exec_lo
	s_mov_b32 s50, exec_lo
	v_cmpx_lt_i32_e64 v12, v25
	s_cbranch_execz .LBB34_12
; %bb.14:                               ;   in Loop: Header=BB34_13 Depth=4
	v_mov_b32_e32 v13, v1
	v_lshlrev_b64 v[28:29], 2, v[0:1]
	s_mov_b32 s3, exec_lo
	s_delay_alu instid0(VALU_DEP_2) | instskip(NEXT) | instid1(VALU_DEP_2)
	v_lshlrev_b64 v[30:31], 2, v[12:13]
	v_add_co_u32 v28, vcc_lo, v21, v28
	s_delay_alu instid0(VALU_DEP_3) | instskip(NEXT) | instid1(VALU_DEP_3)
	v_add_co_ci_u32_e32 v29, vcc_lo, v22, v29, vcc_lo
	v_add_co_u32 v30, vcc_lo, v11, v30
	s_delay_alu instid0(VALU_DEP_4)
	v_add_co_ci_u32_e32 v31, vcc_lo, v14, v31, vcc_lo
	global_load_b32 v28, v[28:29], off
	global_load_b32 v29, v[30:31], off
	s_waitcnt vmcnt(1)
	v_subrev_nc_u32_e32 v28, s42, v28
	s_waitcnt vmcnt(0)
	v_subrev_nc_u32_e32 v29, s43, v29
	s_delay_alu instid0(VALU_DEP_1)
	v_cmpx_eq_u32_e64 v28, v29
	s_cbranch_execz .LBB34_11
; %bb.15:                               ;   in Loop: Header=BB34_13 Depth=4
	v_lshlrev_b64 v[30:31], 3, v[0:1]
	v_lshlrev_b64 v[32:33], 3, v[12:13]
	s_delay_alu instid0(VALU_DEP_2) | instskip(NEXT) | instid1(VALU_DEP_3)
	v_add_co_u32 v30, vcc_lo, v23, v30
	v_add_co_ci_u32_e32 v31, vcc_lo, v24, v31, vcc_lo
	s_delay_alu instid0(VALU_DEP_3) | instskip(NEXT) | instid1(VALU_DEP_4)
	v_add_co_u32 v32, vcc_lo, v26, v32
	v_add_co_ci_u32_e32 v33, vcc_lo, v27, v33, vcc_lo
	global_load_b64 v[30:31], v[30:31], off
	global_load_b64 v[32:33], v[32:33], off
	s_waitcnt vmcnt(0)
	v_fmac_f32_e32 v8, v30, v32
	v_fmac_f32_e32 v9, v31, v32
	s_delay_alu instid0(VALU_DEP_2) | instskip(NEXT) | instid1(VALU_DEP_2)
	v_fma_f32 v8, -v31, v33, v8
	v_fmac_f32_e32 v9, v30, v33
	s_branch .LBB34_11
.LBB34_16:                              ;   in Loop: Header=BB34_9 Depth=3
	s_or_b32 exec_lo, exec_lo, s48
.LBB34_17:                              ;   in Loop: Header=BB34_9 Depth=3
	s_delay_alu instid0(SALU_CYCLE_1) | instskip(SKIP_3) | instid1(VALU_DEP_2)
	s_or_b32 exec_lo, exec_lo, s4
	v_lshlrev_b64 v[13:14], 3, v[3:4]
	v_cmp_le_i32_e64 s3, v2, v6
	s_mov_b32 s48, exec_lo
	v_add_co_u32 v13, vcc_lo, s30, v13
	s_delay_alu instid0(VALU_DEP_3)
	v_add_co_ci_u32_e32 v14, vcc_lo, s31, v14, vcc_lo
	global_load_b64 v[13:14], v[13:14], off
	s_waitcnt vmcnt(0)
	v_dual_sub_f32 v8, v13, v8 :: v_dual_sub_f32 v9, v14, v9
	v_cmpx_gt_i32_e64 v2, v6
	s_cbranch_execz .LBB34_27
; %bb.18:                               ;   in Loop: Header=BB34_9 Depth=3
	v_lshlrev_b64 v[13:14], 3, v[6:7]
                                        ; implicit-def: $vgpr26
	s_mov_b32 s4, exec_lo
	s_delay_alu instid0(VALU_DEP_1) | instskip(NEXT) | instid1(VALU_DEP_2)
	v_add_co_u32 v13, vcc_lo, s36, v13
	v_add_co_ci_u32_e32 v14, vcc_lo, s37, v14, vcc_lo
	global_load_b64 v[13:14], v[13:14], off
	s_waitcnt vmcnt(0)
	v_cmp_gt_f32_e32 vcc_lo, 0, v13
	v_cndmask_b32_e64 v4, v13, -v13, vcc_lo
	v_cmp_gt_f32_e32 vcc_lo, 0, v14
	v_cndmask_b32_e64 v11, v14, -v14, vcc_lo
	s_delay_alu instid0(VALU_DEP_1)
	v_cmpx_ngt_f32_e32 v4, v11
	s_xor_b32 s49, exec_lo, s4
	s_cbranch_execz .LBB34_22
; %bb.19:                               ;   in Loop: Header=BB34_9 Depth=3
	v_mov_b32_e32 v26, 0
	s_mov_b32 s50, exec_lo
	v_cmpx_neq_f32_e32 0, v14
	s_cbranch_execz .LBB34_21
; %bb.20:                               ;   in Loop: Header=BB34_9 Depth=3
	v_div_scale_f32 v26, null, v11, v11, v4
	v_div_scale_f32 v29, vcc_lo, v4, v11, v4
	s_delay_alu instid0(VALU_DEP_2) | instskip(SKIP_2) | instid1(VALU_DEP_1)
	v_rcp_f32_e32 v27, v26
	s_waitcnt_depctr 0xfff
	v_fma_f32 v28, -v26, v27, 1.0
	v_fmac_f32_e32 v27, v28, v27
	s_delay_alu instid0(VALU_DEP_1) | instskip(NEXT) | instid1(VALU_DEP_1)
	v_mul_f32_e32 v28, v29, v27
	v_fma_f32 v30, -v26, v28, v29
	s_delay_alu instid0(VALU_DEP_1) | instskip(NEXT) | instid1(VALU_DEP_1)
	v_fmac_f32_e32 v28, v30, v27
	v_fma_f32 v26, -v26, v28, v29
	s_delay_alu instid0(VALU_DEP_1) | instskip(NEXT) | instid1(VALU_DEP_1)
	v_div_fmas_f32 v26, v26, v27, v28
	v_div_fixup_f32 v4, v26, v11, v4
	s_delay_alu instid0(VALU_DEP_1) | instskip(NEXT) | instid1(VALU_DEP_1)
	v_fma_f32 v4, v4, v4, 1.0
	v_mul_f32_e32 v26, 0x4f800000, v4
	v_cmp_gt_f32_e32 vcc_lo, 0xf800000, v4
	s_delay_alu instid0(VALU_DEP_2) | instskip(NEXT) | instid1(VALU_DEP_1)
	v_cndmask_b32_e32 v4, v4, v26, vcc_lo
	v_sqrt_f32_e32 v26, v4
	s_waitcnt_depctr 0xfff
	v_add_nc_u32_e32 v27, -1, v26
	v_add_nc_u32_e32 v28, 1, v26
	s_delay_alu instid0(VALU_DEP_2) | instskip(NEXT) | instid1(VALU_DEP_2)
	v_fma_f32 v29, -v27, v26, v4
	v_fma_f32 v30, -v28, v26, v4
	s_delay_alu instid0(VALU_DEP_2) | instskip(NEXT) | instid1(VALU_DEP_1)
	v_cmp_ge_f32_e64 s4, 0, v29
	v_cndmask_b32_e64 v26, v26, v27, s4
	s_delay_alu instid0(VALU_DEP_3) | instskip(NEXT) | instid1(VALU_DEP_1)
	v_cmp_lt_f32_e64 s4, 0, v30
	v_cndmask_b32_e64 v26, v26, v28, s4
	s_delay_alu instid0(VALU_DEP_1) | instskip(NEXT) | instid1(VALU_DEP_1)
	v_mul_f32_e32 v27, 0x37800000, v26
	v_cndmask_b32_e32 v26, v26, v27, vcc_lo
	v_cmp_class_f32_e64 vcc_lo, v4, 0x260
	s_delay_alu instid0(VALU_DEP_2) | instskip(NEXT) | instid1(VALU_DEP_1)
	v_cndmask_b32_e32 v4, v26, v4, vcc_lo
	v_mul_f32_e32 v26, v11, v4
.LBB34_21:                              ;   in Loop: Header=BB34_9 Depth=3
	s_or_b32 exec_lo, exec_lo, s50
                                        ; implicit-def: $vgpr4
                                        ; implicit-def: $vgpr11
.LBB34_22:                              ;   in Loop: Header=BB34_9 Depth=3
	s_and_not1_saveexec_b32 s49, s49
	s_cbranch_execz .LBB34_24
; %bb.23:                               ;   in Loop: Header=BB34_9 Depth=3
	v_div_scale_f32 v26, null, v4, v4, v11
	v_div_scale_f32 v29, vcc_lo, v11, v4, v11
	s_delay_alu instid0(VALU_DEP_2) | instskip(SKIP_2) | instid1(VALU_DEP_1)
	v_rcp_f32_e32 v27, v26
	s_waitcnt_depctr 0xfff
	v_fma_f32 v28, -v26, v27, 1.0
	v_fmac_f32_e32 v27, v28, v27
	s_delay_alu instid0(VALU_DEP_1) | instskip(NEXT) | instid1(VALU_DEP_1)
	v_mul_f32_e32 v28, v29, v27
	v_fma_f32 v30, -v26, v28, v29
	s_delay_alu instid0(VALU_DEP_1) | instskip(NEXT) | instid1(VALU_DEP_1)
	v_fmac_f32_e32 v28, v30, v27
	v_fma_f32 v26, -v26, v28, v29
	s_delay_alu instid0(VALU_DEP_1) | instskip(NEXT) | instid1(VALU_DEP_1)
	v_div_fmas_f32 v26, v26, v27, v28
	v_div_fixup_f32 v11, v26, v4, v11
	s_delay_alu instid0(VALU_DEP_1) | instskip(NEXT) | instid1(VALU_DEP_1)
	v_fma_f32 v11, v11, v11, 1.0
	v_mul_f32_e32 v26, 0x4f800000, v11
	v_cmp_gt_f32_e32 vcc_lo, 0xf800000, v11
	s_delay_alu instid0(VALU_DEP_2) | instskip(NEXT) | instid1(VALU_DEP_1)
	v_cndmask_b32_e32 v11, v11, v26, vcc_lo
	v_sqrt_f32_e32 v26, v11
	s_waitcnt_depctr 0xfff
	v_add_nc_u32_e32 v27, -1, v26
	v_add_nc_u32_e32 v28, 1, v26
	s_delay_alu instid0(VALU_DEP_2) | instskip(NEXT) | instid1(VALU_DEP_2)
	v_fma_f32 v29, -v27, v26, v11
	v_fma_f32 v30, -v28, v26, v11
	s_delay_alu instid0(VALU_DEP_2) | instskip(NEXT) | instid1(VALU_DEP_1)
	v_cmp_ge_f32_e64 s4, 0, v29
	v_cndmask_b32_e64 v26, v26, v27, s4
	s_delay_alu instid0(VALU_DEP_3) | instskip(NEXT) | instid1(VALU_DEP_1)
	v_cmp_lt_f32_e64 s4, 0, v30
	v_cndmask_b32_e64 v26, v26, v28, s4
	s_delay_alu instid0(VALU_DEP_1) | instskip(NEXT) | instid1(VALU_DEP_1)
	v_mul_f32_e32 v27, 0x37800000, v26
	v_cndmask_b32_e32 v26, v26, v27, vcc_lo
	v_cmp_class_f32_e64 vcc_lo, v11, 0x260
	s_delay_alu instid0(VALU_DEP_2) | instskip(NEXT) | instid1(VALU_DEP_1)
	v_cndmask_b32_e32 v11, v26, v11, vcc_lo
	v_mul_f32_e32 v26, v4, v11
.LBB34_24:                              ;   in Loop: Header=BB34_9 Depth=3
	s_or_b32 exec_lo, exec_lo, s49
	v_dual_mov_b32 v4, 0 :: v_dual_mov_b32 v11, 0
	s_mov_b32 s4, exec_lo
	s_delay_alu instid0(VALU_DEP_2)
	v_cmpx_lt_f32_e32 0, v26
	s_cbranch_execz .LBB34_26
; %bb.25:                               ;   in Loop: Header=BB34_9 Depth=3
	v_mul_f32_e32 v4, v14, v14
	s_delay_alu instid0(VALU_DEP_1) | instskip(NEXT) | instid1(VALU_DEP_1)
	v_fmac_f32_e32 v4, v13, v13
	v_div_scale_f32 v11, null, v4, v4, 1.0
	v_div_scale_f32 v28, vcc_lo, 1.0, v4, 1.0
	s_delay_alu instid0(VALU_DEP_2) | instskip(SKIP_2) | instid1(VALU_DEP_1)
	v_rcp_f32_e32 v26, v11
	s_waitcnt_depctr 0xfff
	v_fma_f32 v27, -v11, v26, 1.0
	v_fmac_f32_e32 v26, v27, v26
	s_delay_alu instid0(VALU_DEP_1) | instskip(NEXT) | instid1(VALU_DEP_1)
	v_mul_f32_e32 v27, v28, v26
	v_fma_f32 v29, -v11, v27, v28
	s_delay_alu instid0(VALU_DEP_1) | instskip(NEXT) | instid1(VALU_DEP_1)
	v_fmac_f32_e32 v27, v29, v26
	v_fma_f32 v11, -v11, v27, v28
	v_mul_f32_e32 v28, v9, v14
	v_mul_f32_e64 v14, v14, -v8
	s_delay_alu instid0(VALU_DEP_2) | instskip(NEXT) | instid1(VALU_DEP_4)
	v_fmac_f32_e32 v28, v8, v13
	v_div_fmas_f32 v11, v11, v26, v27
	s_delay_alu instid0(VALU_DEP_3) | instskip(NEXT) | instid1(VALU_DEP_2)
	v_fmac_f32_e32 v14, v9, v13
	v_div_fixup_f32 v8, v11, v4, 1.0
	s_delay_alu instid0(VALU_DEP_1) | instskip(NEXT) | instid1(VALU_DEP_3)
	v_mul_f32_e32 v4, v28, v8
	v_mul_f32_e32 v11, v14, v8
.LBB34_26:                              ;   in Loop: Header=BB34_9 Depth=3
	s_or_b32 exec_lo, exec_lo, s4
	s_delay_alu instid0(VALU_DEP_1)
	v_dual_mov_b32 v8, v4 :: v_dual_mov_b32 v9, v11
.LBB34_27:                              ;   in Loop: Header=BB34_9 Depth=3
	s_or_b32 exec_lo, exec_lo, s48
	s_delay_alu instid0(VALU_DEP_1) | instskip(SKIP_4) | instid1(VALU_DEP_1)
	v_cmp_gt_f32_e32 vcc_lo, 0, v8
                                        ; implicit-def: $vgpr13
	s_mov_b32 s4, exec_lo
	v_cndmask_b32_e64 v4, v8, -v8, vcc_lo
	v_cmp_gt_f32_e32 vcc_lo, 0, v9
	v_cndmask_b32_e64 v11, v9, -v9, vcc_lo
	v_cmpx_ngt_f32_e32 v4, v11
	s_xor_b32 s48, exec_lo, s4
	s_cbranch_execnz .LBB34_30
; %bb.28:                               ;   in Loop: Header=BB34_9 Depth=3
	s_and_not1_saveexec_b32 s48, s48
	s_cbranch_execnz .LBB34_33
.LBB34_29:                              ;   in Loop: Header=BB34_9 Depth=3
	s_or_b32 exec_lo, exec_lo, s48
	v_cmp_class_f32_e64 s48, v13, 0x1f8
	s_delay_alu instid0(VALU_DEP_1)
	s_and_saveexec_b32 s4, s48
	s_cbranch_execz .LBB34_8
	s_branch .LBB34_34
.LBB34_30:                              ;   in Loop: Header=BB34_9 Depth=3
	v_mov_b32_e32 v13, 0
	s_mov_b32 s49, exec_lo
	v_cmpx_neq_f32_e32 0, v9
	s_cbranch_execz .LBB34_32
; %bb.31:                               ;   in Loop: Header=BB34_9 Depth=3
	v_div_scale_f32 v13, null, v11, v11, v4
	v_div_scale_f32 v27, vcc_lo, v4, v11, v4
	s_delay_alu instid0(VALU_DEP_2) | instskip(SKIP_2) | instid1(VALU_DEP_1)
	v_rcp_f32_e32 v14, v13
	s_waitcnt_depctr 0xfff
	v_fma_f32 v26, -v13, v14, 1.0
	v_fmac_f32_e32 v14, v26, v14
	s_delay_alu instid0(VALU_DEP_1) | instskip(NEXT) | instid1(VALU_DEP_1)
	v_mul_f32_e32 v26, v27, v14
	v_fma_f32 v28, -v13, v26, v27
	s_delay_alu instid0(VALU_DEP_1) | instskip(NEXT) | instid1(VALU_DEP_1)
	v_fmac_f32_e32 v26, v28, v14
	v_fma_f32 v13, -v13, v26, v27
	s_delay_alu instid0(VALU_DEP_1) | instskip(NEXT) | instid1(VALU_DEP_1)
	v_div_fmas_f32 v13, v13, v14, v26
	v_div_fixup_f32 v4, v13, v11, v4
	s_delay_alu instid0(VALU_DEP_1) | instskip(NEXT) | instid1(VALU_DEP_1)
	v_fma_f32 v4, v4, v4, 1.0
	v_mul_f32_e32 v13, 0x4f800000, v4
	v_cmp_gt_f32_e32 vcc_lo, 0xf800000, v4
	s_delay_alu instid0(VALU_DEP_2) | instskip(NEXT) | instid1(VALU_DEP_1)
	v_cndmask_b32_e32 v4, v4, v13, vcc_lo
	v_sqrt_f32_e32 v13, v4
	s_waitcnt_depctr 0xfff
	v_add_nc_u32_e32 v14, -1, v13
	v_add_nc_u32_e32 v26, 1, v13
	s_delay_alu instid0(VALU_DEP_2) | instskip(NEXT) | instid1(VALU_DEP_2)
	v_fma_f32 v27, -v14, v13, v4
	v_fma_f32 v28, -v26, v13, v4
	s_delay_alu instid0(VALU_DEP_2) | instskip(NEXT) | instid1(VALU_DEP_1)
	v_cmp_ge_f32_e64 s4, 0, v27
	v_cndmask_b32_e64 v13, v13, v14, s4
	s_delay_alu instid0(VALU_DEP_3) | instskip(NEXT) | instid1(VALU_DEP_1)
	v_cmp_lt_f32_e64 s4, 0, v28
	v_cndmask_b32_e64 v13, v13, v26, s4
	s_delay_alu instid0(VALU_DEP_1) | instskip(NEXT) | instid1(VALU_DEP_1)
	v_mul_f32_e32 v14, 0x37800000, v13
	v_cndmask_b32_e32 v13, v13, v14, vcc_lo
	v_cmp_class_f32_e64 vcc_lo, v4, 0x260
	s_delay_alu instid0(VALU_DEP_2) | instskip(NEXT) | instid1(VALU_DEP_1)
	v_cndmask_b32_e32 v4, v13, v4, vcc_lo
	v_mul_f32_e32 v13, v11, v4
.LBB34_32:                              ;   in Loop: Header=BB34_9 Depth=3
	s_or_b32 exec_lo, exec_lo, s49
                                        ; implicit-def: $vgpr4
                                        ; implicit-def: $vgpr11
	s_and_not1_saveexec_b32 s48, s48
	s_cbranch_execz .LBB34_29
.LBB34_33:                              ;   in Loop: Header=BB34_9 Depth=3
	v_div_scale_f32 v13, null, v4, v4, v11
	v_div_scale_f32 v27, vcc_lo, v11, v4, v11
	s_delay_alu instid0(VALU_DEP_2) | instskip(SKIP_2) | instid1(VALU_DEP_1)
	v_rcp_f32_e32 v14, v13
	s_waitcnt_depctr 0xfff
	v_fma_f32 v26, -v13, v14, 1.0
	v_fmac_f32_e32 v14, v26, v14
	s_delay_alu instid0(VALU_DEP_1) | instskip(NEXT) | instid1(VALU_DEP_1)
	v_mul_f32_e32 v26, v27, v14
	v_fma_f32 v28, -v13, v26, v27
	s_delay_alu instid0(VALU_DEP_1) | instskip(NEXT) | instid1(VALU_DEP_1)
	v_fmac_f32_e32 v26, v28, v14
	v_fma_f32 v13, -v13, v26, v27
	s_delay_alu instid0(VALU_DEP_1) | instskip(NEXT) | instid1(VALU_DEP_1)
	v_div_fmas_f32 v13, v13, v14, v26
	v_div_fixup_f32 v11, v13, v4, v11
	s_delay_alu instid0(VALU_DEP_1) | instskip(NEXT) | instid1(VALU_DEP_1)
	v_fma_f32 v11, v11, v11, 1.0
	v_mul_f32_e32 v13, 0x4f800000, v11
	v_cmp_gt_f32_e32 vcc_lo, 0xf800000, v11
	s_delay_alu instid0(VALU_DEP_2) | instskip(NEXT) | instid1(VALU_DEP_1)
	v_cndmask_b32_e32 v11, v11, v13, vcc_lo
	v_sqrt_f32_e32 v13, v11
	s_waitcnt_depctr 0xfff
	v_add_nc_u32_e32 v14, -1, v13
	v_add_nc_u32_e32 v26, 1, v13
	s_delay_alu instid0(VALU_DEP_2) | instskip(NEXT) | instid1(VALU_DEP_2)
	v_fma_f32 v27, -v14, v13, v11
	v_fma_f32 v28, -v26, v13, v11
	s_delay_alu instid0(VALU_DEP_2) | instskip(NEXT) | instid1(VALU_DEP_1)
	v_cmp_ge_f32_e64 s4, 0, v27
	v_cndmask_b32_e64 v13, v13, v14, s4
	s_delay_alu instid0(VALU_DEP_3) | instskip(NEXT) | instid1(VALU_DEP_1)
	v_cmp_lt_f32_e64 s4, 0, v28
	v_cndmask_b32_e64 v13, v13, v26, s4
	s_delay_alu instid0(VALU_DEP_1) | instskip(NEXT) | instid1(VALU_DEP_1)
	v_mul_f32_e32 v14, 0x37800000, v13
	v_cndmask_b32_e32 v13, v13, v14, vcc_lo
	v_cmp_class_f32_e64 vcc_lo, v11, 0x260
	s_delay_alu instid0(VALU_DEP_2) | instskip(NEXT) | instid1(VALU_DEP_1)
	v_cndmask_b32_e32 v11, v13, v11, vcc_lo
	v_mul_f32_e32 v13, v4, v11
	s_or_b32 exec_lo, exec_lo, s48
	s_delay_alu instid0(VALU_DEP_1) | instskip(NEXT) | instid1(VALU_DEP_1)
	v_cmp_class_f32_e64 s48, v13, 0x1f8
	s_and_saveexec_b32 s4, s48
	s_cbranch_execz .LBB34_8
.LBB34_34:                              ;   in Loop: Header=BB34_9 Depth=3
	s_mov_b32 s48, 0
                                        ; implicit-def: $vgpr13_vgpr14
	s_and_saveexec_b32 s49, s3
	s_delay_alu instid0(SALU_CYCLE_1)
	s_xor_b32 s3, exec_lo, s49
	s_cbranch_execnz .LBB34_37
; %bb.35:                               ;   in Loop: Header=BB34_9 Depth=3
	s_and_not1_saveexec_b32 s3, s3
	s_cbranch_execnz .LBB34_50
.LBB34_36:                              ;   in Loop: Header=BB34_9 Depth=3
	s_or_b32 exec_lo, exec_lo, s3
	s_delay_alu instid0(SALU_CYCLE_1)
	s_and_b32 exec_lo, exec_lo, s48
	s_cbranch_execz .LBB34_8
	s_branch .LBB34_59
.LBB34_37:                              ;   in Loop: Header=BB34_9 Depth=3
	s_mov_b32 s49, exec_lo
                                        ; implicit-def: $vgpr13_vgpr14
	v_cmpx_ge_i32_e64 v2, v6
	s_xor_b32 s49, exec_lo, s49
; %bb.38:                               ;   in Loop: Header=BB34_9 Depth=3
	v_lshlrev_b64 v[6:7], 3, v[6:7]
	s_mov_b32 s48, exec_lo
                                        ; implicit-def: $vgpr12
                                        ; implicit-def: $vgpr25
                                        ; implicit-def: $vgpr10
	s_delay_alu instid0(VALU_DEP_1) | instskip(NEXT) | instid1(VALU_DEP_2)
	v_add_co_u32 v13, vcc_lo, s38, v6
	v_add_co_ci_u32_e32 v14, vcc_lo, s39, v7, vcc_lo
; %bb.39:                               ;   in Loop: Header=BB34_9 Depth=3
	s_and_not1_saveexec_b32 s49, s49
	s_cbranch_execz .LBB34_49
; %bb.40:                               ;   in Loop: Header=BB34_9 Depth=3
	s_mov_b32 s51, s48
	s_mov_b32 s50, exec_lo
                                        ; implicit-def: $vgpr13_vgpr14
	v_cmpx_lt_i32_e64 v12, v25
	s_cbranch_execz .LBB34_48
; %bb.41:                               ;   in Loop: Header=BB34_9 Depth=3
	s_mov_b32 s52, 0
                                        ; implicit-def: $sgpr51
                                        ; implicit-def: $sgpr54
                                        ; implicit-def: $sgpr53
	s_set_inst_prefetch_distance 0x1
	s_branch .LBB34_43
	.p2align	6
.LBB34_42:                              ;   in Loop: Header=BB34_43 Depth=4
	s_or_b32 exec_lo, exec_lo, s55
	s_delay_alu instid0(SALU_CYCLE_1) | instskip(NEXT) | instid1(SALU_CYCLE_1)
	s_and_b32 s55, exec_lo, s54
	s_or_b32 s52, s55, s52
	s_and_not1_b32 s51, s51, exec_lo
	s_and_b32 s55, s53, exec_lo
	s_delay_alu instid0(SALU_CYCLE_1)
	s_or_b32 s51, s51, s55
	s_and_not1_b32 exec_lo, exec_lo, s52
	s_cbranch_execz .LBB34_45
.LBB34_43:                              ;   Parent Loop BB34_3 Depth=1
                                        ;     Parent Loop BB34_5 Depth=2
                                        ;       Parent Loop BB34_9 Depth=3
                                        ; =>      This Inner Loop Header: Depth=4
	v_add_nc_u32_e32 v6, v10, v12
	s_or_b32 s53, s53, exec_lo
	s_or_b32 s54, s54, exec_lo
	s_mov_b32 s55, exec_lo
	s_delay_alu instid0(VALU_DEP_1) | instskip(NEXT) | instid1(VALU_DEP_1)
	v_ashrrev_i32_e32 v7, 31, v6
	v_lshlrev_b64 v[13:14], 2, v[6:7]
	s_delay_alu instid0(VALU_DEP_1) | instskip(NEXT) | instid1(VALU_DEP_2)
	v_add_co_u32 v13, vcc_lo, s12, v13
	v_add_co_ci_u32_e32 v14, vcc_lo, s13, v14, vcc_lo
	global_load_b32 v0, v[13:14], off
	s_waitcnt vmcnt(0)
	v_subrev_nc_u32_e32 v0, s43, v0
	s_delay_alu instid0(VALU_DEP_1)
	v_cmpx_ne_u32_e64 v0, v2
	s_cbranch_execz .LBB34_42
; %bb.44:                               ;   in Loop: Header=BB34_43 Depth=4
	v_add_nc_u32_e32 v12, 1, v12
	s_and_not1_b32 s54, s54, exec_lo
	s_and_not1_b32 s53, s53, exec_lo
	s_delay_alu instid0(VALU_DEP_1) | instskip(SKIP_1) | instid1(SALU_CYCLE_1)
	v_cmp_ge_i32_e32 vcc_lo, v12, v25
	s_and_b32 s56, vcc_lo, exec_lo
	s_or_b32 s54, s54, s56
	s_branch .LBB34_42
.LBB34_45:                              ;   in Loop: Header=BB34_9 Depth=3
	s_set_inst_prefetch_distance 0x2
	s_or_b32 exec_lo, exec_lo, s52
	s_mov_b32 s52, s48
                                        ; implicit-def: $vgpr13_vgpr14
	s_and_saveexec_b32 s53, s51
	s_delay_alu instid0(SALU_CYCLE_1)
	s_xor_b32 s51, exec_lo, s53
; %bb.46:                               ;   in Loop: Header=BB34_9 Depth=3
	v_lshlrev_b64 v[6:7], 3, v[6:7]
	s_or_b32 s52, s48, exec_lo
	s_delay_alu instid0(VALU_DEP_1) | instskip(NEXT) | instid1(VALU_DEP_2)
	v_add_co_u32 v13, vcc_lo, s34, v6
	v_add_co_ci_u32_e32 v14, vcc_lo, s35, v7, vcc_lo
; %bb.47:                               ;   in Loop: Header=BB34_9 Depth=3
	s_or_b32 exec_lo, exec_lo, s51
	s_delay_alu instid0(SALU_CYCLE_1) | instskip(SKIP_1) | instid1(SALU_CYCLE_1)
	s_and_not1_b32 s51, s48, exec_lo
	s_and_b32 s52, s52, exec_lo
	s_or_b32 s51, s51, s52
.LBB34_48:                              ;   in Loop: Header=BB34_9 Depth=3
	s_or_b32 exec_lo, exec_lo, s50
	s_delay_alu instid0(SALU_CYCLE_1) | instskip(SKIP_1) | instid1(SALU_CYCLE_1)
	s_and_not1_b32 s48, s48, exec_lo
	s_and_b32 s50, s51, exec_lo
	s_or_b32 s48, s48, s50
.LBB34_49:                              ;   in Loop: Header=BB34_9 Depth=3
	s_or_b32 exec_lo, exec_lo, s49
	s_delay_alu instid0(SALU_CYCLE_1)
	s_and_b32 s48, s48, exec_lo
                                        ; implicit-def: $vgpr6_vgpr7
	s_and_not1_saveexec_b32 s3, s3
	s_cbranch_execz .LBB34_36
.LBB34_50:                              ;   in Loop: Header=BB34_9 Depth=3
	s_mov_b32 s50, s48
	s_mov_b32 s49, exec_lo
                                        ; implicit-def: $vgpr13_vgpr14
	v_cmpx_lt_i32_e64 v0, v20
	s_cbranch_execz .LBB34_58
; %bb.51:                               ;   in Loop: Header=BB34_9 Depth=3
	s_mov_b32 s51, 0
                                        ; implicit-def: $sgpr50
                                        ; implicit-def: $sgpr53
                                        ; implicit-def: $sgpr52
	s_set_inst_prefetch_distance 0x1
	s_branch .LBB34_53
	.p2align	6
.LBB34_52:                              ;   in Loop: Header=BB34_53 Depth=4
	s_or_b32 exec_lo, exec_lo, s54
	s_delay_alu instid0(SALU_CYCLE_1) | instskip(NEXT) | instid1(SALU_CYCLE_1)
	s_and_b32 s54, exec_lo, s53
	s_or_b32 s51, s54, s51
	s_and_not1_b32 s50, s50, exec_lo
	s_and_b32 s54, s52, exec_lo
	s_delay_alu instid0(SALU_CYCLE_1)
	s_or_b32 s50, s50, s54
	s_and_not1_b32 exec_lo, exec_lo, s51
	s_cbranch_execz .LBB34_55
.LBB34_53:                              ;   Parent Loop BB34_3 Depth=1
                                        ;     Parent Loop BB34_5 Depth=2
                                        ;       Parent Loop BB34_9 Depth=3
                                        ; =>      This Inner Loop Header: Depth=4
	v_add_nc_u32_e32 v10, v5, v0
	s_or_b32 s52, s52, exec_lo
	s_or_b32 s53, s53, exec_lo
	s_mov_b32 s54, exec_lo
	s_delay_alu instid0(VALU_DEP_1) | instskip(NEXT) | instid1(VALU_DEP_1)
	v_ashrrev_i32_e32 v11, 31, v10
	v_lshlrev_b64 v[12:13], 2, v[10:11]
	s_delay_alu instid0(VALU_DEP_1) | instskip(NEXT) | instid1(VALU_DEP_2)
	v_add_co_u32 v12, vcc_lo, s20, v12
	v_add_co_ci_u32_e32 v13, vcc_lo, s21, v13, vcc_lo
	global_load_b32 v4, v[12:13], off
	s_waitcnt vmcnt(0)
	v_subrev_nc_u32_e32 v4, s42, v4
	s_delay_alu instid0(VALU_DEP_1)
	v_cmpx_ne_u32_e64 v4, v6
	s_cbranch_execz .LBB34_52
; %bb.54:                               ;   in Loop: Header=BB34_53 Depth=4
	v_add_nc_u32_e32 v0, 1, v0
	s_and_not1_b32 s53, s53, exec_lo
	s_and_not1_b32 s52, s52, exec_lo
	s_delay_alu instid0(VALU_DEP_1) | instskip(SKIP_1) | instid1(SALU_CYCLE_1)
	v_cmp_ge_i32_e32 vcc_lo, v0, v20
	s_and_b32 s55, vcc_lo, exec_lo
	s_or_b32 s53, s53, s55
	s_branch .LBB34_52
.LBB34_55:                              ;   in Loop: Header=BB34_9 Depth=3
	s_set_inst_prefetch_distance 0x2
	s_or_b32 exec_lo, exec_lo, s51
	s_mov_b32 s51, s48
                                        ; implicit-def: $vgpr13_vgpr14
	s_and_saveexec_b32 s52, s50
	s_delay_alu instid0(SALU_CYCLE_1)
	s_xor_b32 s50, exec_lo, s52
; %bb.56:                               ;   in Loop: Header=BB34_9 Depth=3
	v_lshlrev_b64 v[6:7], 3, v[10:11]
	s_or_b32 s51, s48, exec_lo
	s_delay_alu instid0(VALU_DEP_1) | instskip(NEXT) | instid1(VALU_DEP_2)
	v_add_co_u32 v13, vcc_lo, s40, v6
	v_add_co_ci_u32_e32 v14, vcc_lo, s41, v7, vcc_lo
; %bb.57:                               ;   in Loop: Header=BB34_9 Depth=3
	s_or_b32 exec_lo, exec_lo, s50
	s_delay_alu instid0(SALU_CYCLE_1) | instskip(SKIP_1) | instid1(SALU_CYCLE_1)
	s_and_not1_b32 s50, s48, exec_lo
	s_and_b32 s51, s51, exec_lo
	s_or_b32 s50, s50, s51
.LBB34_58:                              ;   in Loop: Header=BB34_9 Depth=3
	s_or_b32 exec_lo, exec_lo, s49
	s_delay_alu instid0(SALU_CYCLE_1) | instskip(SKIP_1) | instid1(SALU_CYCLE_1)
	s_and_not1_b32 s48, s48, exec_lo
	s_and_b32 s49, s50, exec_lo
	s_or_b32 s48, s48, s49
	s_or_b32 exec_lo, exec_lo, s3
	s_delay_alu instid0(SALU_CYCLE_1)
	s_and_b32 exec_lo, exec_lo, s48
	s_cbranch_execz .LBB34_8
.LBB34_59:                              ;   in Loop: Header=BB34_9 Depth=3
	global_store_b64 v[13:14], v[8:9], off
	s_branch .LBB34_8
.LBB34_60:                              ;   in Loop: Header=BB34_3 Depth=1
	s_and_saveexec_b32 s3, s0
	s_cbranch_execz .LBB34_2
; %bb.61:                               ;   in Loop: Header=BB34_3 Depth=1
	v_mov_b32_e32 v2, v15
	s_mov_b32 s4, 0
	s_branch .LBB34_63
.LBB34_62:                              ;   in Loop: Header=BB34_63 Depth=2
	s_or_b32 exec_lo, exec_lo, s45
	v_add_nc_u32_e32 v2, 16, v2
	s_delay_alu instid0(VALU_DEP_1) | instskip(SKIP_1) | instid1(SALU_CYCLE_1)
	v_cmp_le_u32_e32 vcc_lo, s44, v2
	s_or_b32 s4, vcc_lo, s4
	s_and_not1_b32 exec_lo, exec_lo, s4
	s_cbranch_execz .LBB34_2
.LBB34_63:                              ;   Parent Loop BB34_3 Depth=1
                                        ; =>  This Loop Header: Depth=2
                                        ;       Child Loop BB34_66 Depth 3
                                        ;       Child Loop BB34_69 Depth 3
	s_mov_b32 s45, exec_lo
	s_delay_alu instid0(VALU_DEP_1)
	v_cmpx_gt_i32_e64 s7, v2
	s_cbranch_execz .LBB34_62
; %bb.64:                               ;   in Loop: Header=BB34_63 Depth=2
	v_ashrrev_i32_e32 v3, 31, v2
	s_mov_b32 s46, exec_lo
	s_delay_alu instid0(VALU_DEP_1) | instskip(NEXT) | instid1(VALU_DEP_1)
	v_lshlrev_b64 v[4:5], 2, v[2:3]
	v_add_co_u32 v6, vcc_lo, s16, v4
	s_delay_alu instid0(VALU_DEP_2)
	v_add_co_ci_u32_e32 v7, vcc_lo, s17, v5, vcc_lo
	v_add_co_u32 v8, vcc_lo, s18, v4
	v_add_co_ci_u32_e32 v9, vcc_lo, s19, v5, vcc_lo
	global_load_b32 v0, v[6:7], off
	global_load_b32 v7, v[8:9], off
	s_waitcnt vmcnt(1)
	v_add_nc_u32_e32 v6, v17, v0
	s_waitcnt vmcnt(0)
	v_subrev_nc_u32_e32 v0, s42, v7
	s_delay_alu instid0(VALU_DEP_1)
	v_cmpx_lt_i32_e64 v6, v0
	s_cbranch_execz .LBB34_67
; %bb.65:                               ;   in Loop: Header=BB34_63 Depth=2
	v_ashrrev_i32_e32 v7, 31, v6
	s_mov_b32 s47, 0
	s_delay_alu instid0(VALU_DEP_1) | instskip(NEXT) | instid1(VALU_DEP_1)
	v_lshlrev_b64 v[9:10], 3, v[6:7]
	v_add_co_u32 v7, vcc_lo, s40, v9
	s_delay_alu instid0(VALU_DEP_2)
	v_add_co_ci_u32_e32 v8, vcc_lo, s41, v10, vcc_lo
	v_add_co_u32 v9, vcc_lo, s22, v9
	v_add_co_ci_u32_e32 v10, vcc_lo, s23, v10, vcc_lo
	.p2align	6
.LBB34_66:                              ;   Parent Loop BB34_3 Depth=1
                                        ;     Parent Loop BB34_63 Depth=2
                                        ; =>    This Inner Loop Header: Depth=3
	global_load_b64 v[11:12], v[7:8], off
	v_add_nc_u32_e32 v6, 64, v6
	v_add_co_u32 v7, vcc_lo, 0x200, v7
	v_add_co_ci_u32_e32 v8, vcc_lo, 0, v8, vcc_lo
	s_delay_alu instid0(VALU_DEP_3) | instskip(SKIP_4) | instid1(VALU_DEP_1)
	v_cmp_ge_i32_e32 vcc_lo, v6, v0
	s_or_b32 s47, vcc_lo, s47
	s_waitcnt vmcnt(0)
	global_store_b64 v[9:10], v[11:12], off
	v_add_co_u32 v9, s2, 0x200, v9
	v_add_co_ci_u32_e64 v10, s2, 0, v10, s2
	s_and_not1_b32 exec_lo, exec_lo, s47
	s_cbranch_execnz .LBB34_66
.LBB34_67:                              ;   in Loop: Header=BB34_63 Depth=2
	s_or_b32 exec_lo, exec_lo, s46
	v_add_co_u32 v6, vcc_lo, s8, v4
	v_add_co_ci_u32_e32 v7, vcc_lo, s9, v5, vcc_lo
	v_add_co_u32 v4, vcc_lo, s10, v4
	v_add_co_ci_u32_e32 v5, vcc_lo, s11, v5, vcc_lo
	s_mov_b32 s46, exec_lo
	global_load_b32 v0, v[6:7], off
	global_load_b32 v5, v[4:5], off
	s_waitcnt vmcnt(1)
	v_add_nc_u32_e32 v4, v18, v0
	s_waitcnt vmcnt(0)
	v_subrev_nc_u32_e32 v0, s43, v5
	s_delay_alu instid0(VALU_DEP_1)
	v_cmpx_lt_i32_e64 v4, v0
	s_cbranch_execz .LBB34_70
; %bb.68:                               ;   in Loop: Header=BB34_63 Depth=2
	v_ashrrev_i32_e32 v5, 31, v4
	s_mov_b32 s47, 0
	s_delay_alu instid0(VALU_DEP_1) | instskip(NEXT) | instid1(VALU_DEP_1)
	v_lshlrev_b64 v[7:8], 3, v[4:5]
	v_add_co_u32 v5, vcc_lo, s34, v7
	s_delay_alu instid0(VALU_DEP_2)
	v_add_co_ci_u32_e32 v6, vcc_lo, s35, v8, vcc_lo
	v_add_co_u32 v7, vcc_lo, s14, v7
	v_add_co_ci_u32_e32 v8, vcc_lo, s15, v8, vcc_lo
	.p2align	6
.LBB34_69:                              ;   Parent Loop BB34_3 Depth=1
                                        ;     Parent Loop BB34_63 Depth=2
                                        ; =>    This Inner Loop Header: Depth=3
	global_load_b64 v[9:10], v[5:6], off
	v_add_nc_u32_e32 v4, 64, v4
	v_add_co_u32 v5, vcc_lo, 0x200, v5
	v_add_co_ci_u32_e32 v6, vcc_lo, 0, v6, vcc_lo
	s_delay_alu instid0(VALU_DEP_3) | instskip(SKIP_4) | instid1(VALU_DEP_1)
	v_cmp_ge_i32_e32 vcc_lo, v4, v0
	s_or_b32 s47, vcc_lo, s47
	s_waitcnt vmcnt(0)
	global_store_b64 v[7:8], v[9:10], off
	v_add_co_u32 v7, s2, 0x200, v7
	v_add_co_ci_u32_e64 v8, s2, 0, v8, s2
	s_and_not1_b32 exec_lo, exec_lo, s47
	s_cbranch_execnz .LBB34_69
.LBB34_70:                              ;   in Loop: Header=BB34_63 Depth=2
	s_or_b32 exec_lo, exec_lo, s46
	s_delay_alu instid0(SALU_CYCLE_1)
	s_and_b32 exec_lo, exec_lo, s1
	s_cbranch_execz .LBB34_62
; %bb.71:                               ;   in Loop: Header=BB34_63 Depth=2
	v_lshlrev_b64 v[3:4], 3, v[2:3]
	s_delay_alu instid0(VALU_DEP_1) | instskip(NEXT) | instid1(VALU_DEP_2)
	v_add_co_u32 v5, vcc_lo, s38, v3
	v_add_co_ci_u32_e32 v6, vcc_lo, s39, v4, vcc_lo
	v_add_co_u32 v3, vcc_lo, s36, v3
	v_add_co_ci_u32_e32 v4, vcc_lo, s37, v4, vcc_lo
	global_load_b64 v[5:6], v[5:6], off
	s_waitcnt vmcnt(0)
	global_store_b64 v[3:4], v[5:6], off
	s_branch .LBB34_62
.LBB34_72:
	s_nop 0
	s_sendmsg sendmsg(MSG_DEALLOC_VGPRS)
	s_endpgm
	.section	.rodata,"a",@progbits
	.p2align	6, 0x0
	.amdhsa_kernel _ZN9rocsparseL14kernel_freerunILi1024ELi64E21rocsparse_complex_numIfEiiEEvT3_S3_T2_PKS4_S6_PKS3_PKT1_21rocsparse_index_base_S6_S6_S8_PS9_SD_SC_S6_S6_S8_SD_SD_SC_SD_SD_
		.amdhsa_group_segment_fixed_size 0
		.amdhsa_private_segment_fixed_size 0
		.amdhsa_kernarg_size 168
		.amdhsa_user_sgpr_count 15
		.amdhsa_user_sgpr_dispatch_ptr 0
		.amdhsa_user_sgpr_queue_ptr 0
		.amdhsa_user_sgpr_kernarg_segment_ptr 1
		.amdhsa_user_sgpr_dispatch_id 0
		.amdhsa_user_sgpr_private_segment_size 0
		.amdhsa_wavefront_size32 1
		.amdhsa_uses_dynamic_stack 0
		.amdhsa_enable_private_segment 0
		.amdhsa_system_sgpr_workgroup_id_x 1
		.amdhsa_system_sgpr_workgroup_id_y 0
		.amdhsa_system_sgpr_workgroup_id_z 0
		.amdhsa_system_sgpr_workgroup_info 0
		.amdhsa_system_vgpr_workitem_id 0
		.amdhsa_next_free_vgpr 34
		.amdhsa_next_free_sgpr 57
		.amdhsa_reserve_vcc 1
		.amdhsa_float_round_mode_32 0
		.amdhsa_float_round_mode_16_64 0
		.amdhsa_float_denorm_mode_32 3
		.amdhsa_float_denorm_mode_16_64 3
		.amdhsa_dx10_clamp 1
		.amdhsa_ieee_mode 1
		.amdhsa_fp16_overflow 0
		.amdhsa_workgroup_processor_mode 1
		.amdhsa_memory_ordered 1
		.amdhsa_forward_progress 0
		.amdhsa_shared_vgpr_count 0
		.amdhsa_exception_fp_ieee_invalid_op 0
		.amdhsa_exception_fp_denorm_src 0
		.amdhsa_exception_fp_ieee_div_zero 0
		.amdhsa_exception_fp_ieee_overflow 0
		.amdhsa_exception_fp_ieee_underflow 0
		.amdhsa_exception_fp_ieee_inexact 0
		.amdhsa_exception_int_div_zero 0
	.end_amdhsa_kernel
	.section	.text._ZN9rocsparseL14kernel_freerunILi1024ELi64E21rocsparse_complex_numIfEiiEEvT3_S3_T2_PKS4_S6_PKS3_PKT1_21rocsparse_index_base_S6_S6_S8_PS9_SD_SC_S6_S6_S8_SD_SD_SC_SD_SD_,"axG",@progbits,_ZN9rocsparseL14kernel_freerunILi1024ELi64E21rocsparse_complex_numIfEiiEEvT3_S3_T2_PKS4_S6_PKS3_PKT1_21rocsparse_index_base_S6_S6_S8_PS9_SD_SC_S6_S6_S8_SD_SD_SC_SD_SD_,comdat
.Lfunc_end34:
	.size	_ZN9rocsparseL14kernel_freerunILi1024ELi64E21rocsparse_complex_numIfEiiEEvT3_S3_T2_PKS4_S6_PKS3_PKT1_21rocsparse_index_base_S6_S6_S8_PS9_SD_SC_S6_S6_S8_SD_SD_SC_SD_SD_, .Lfunc_end34-_ZN9rocsparseL14kernel_freerunILi1024ELi64E21rocsparse_complex_numIfEiiEEvT3_S3_T2_PKS4_S6_PKS3_PKT1_21rocsparse_index_base_S6_S6_S8_PS9_SD_SC_S6_S6_S8_SD_SD_SC_SD_SD_
                                        ; -- End function
	.section	.AMDGPU.csdata,"",@progbits
; Kernel info:
; codeLenInByte = 3824
; NumSgprs: 59
; NumVgprs: 34
; ScratchSize: 0
; MemoryBound: 0
; FloatMode: 240
; IeeeMode: 1
; LDSByteSize: 0 bytes/workgroup (compile time only)
; SGPRBlocks: 7
; VGPRBlocks: 4
; NumSGPRsForWavesPerEU: 59
; NumVGPRsForWavesPerEU: 34
; Occupancy: 16
; WaveLimiterHint : 1
; COMPUTE_PGM_RSRC2:SCRATCH_EN: 0
; COMPUTE_PGM_RSRC2:USER_SGPR: 15
; COMPUTE_PGM_RSRC2:TRAP_HANDLER: 0
; COMPUTE_PGM_RSRC2:TGID_X_EN: 1
; COMPUTE_PGM_RSRC2:TGID_Y_EN: 0
; COMPUTE_PGM_RSRC2:TGID_Z_EN: 0
; COMPUTE_PGM_RSRC2:TIDIG_COMP_CNT: 0
	.section	.text._ZN9rocsparseL6kernelILi1024ELi1E21rocsparse_complex_numIfEiiEEvbbbT3_PS3_NS_15floating_traitsIT1_E6data_tES3_T2_PKS9_SB_PKS3_PKS6_21rocsparse_index_base_SB_SB_SD_PS6_SH_SG_SB_SB_SD_SH_SH_SG_SH_SH_PS8_SI_PKS8_,"axG",@progbits,_ZN9rocsparseL6kernelILi1024ELi1E21rocsparse_complex_numIfEiiEEvbbbT3_PS3_NS_15floating_traitsIT1_E6data_tES3_T2_PKS9_SB_PKS3_PKS6_21rocsparse_index_base_SB_SB_SD_PS6_SH_SG_SB_SB_SD_SH_SH_SG_SH_SH_PS8_SI_PKS8_,comdat
	.globl	_ZN9rocsparseL6kernelILi1024ELi1E21rocsparse_complex_numIfEiiEEvbbbT3_PS3_NS_15floating_traitsIT1_E6data_tES3_T2_PKS9_SB_PKS3_PKS6_21rocsparse_index_base_SB_SB_SD_PS6_SH_SG_SB_SB_SD_SH_SH_SG_SH_SH_PS8_SI_PKS8_ ; -- Begin function _ZN9rocsparseL6kernelILi1024ELi1E21rocsparse_complex_numIfEiiEEvbbbT3_PS3_NS_15floating_traitsIT1_E6data_tES3_T2_PKS9_SB_PKS3_PKS6_21rocsparse_index_base_SB_SB_SD_PS6_SH_SG_SB_SB_SD_SH_SH_SG_SH_SH_PS8_SI_PKS8_
	.p2align	8
	.type	_ZN9rocsparseL6kernelILi1024ELi1E21rocsparse_complex_numIfEiiEEvbbbT3_PS3_NS_15floating_traitsIT1_E6data_tES3_T2_PKS9_SB_PKS3_PKS6_21rocsparse_index_base_SB_SB_SD_PS6_SH_SG_SB_SB_SD_SH_SH_SG_SH_SH_PS8_SI_PKS8_,@function
_ZN9rocsparseL6kernelILi1024ELi1E21rocsparse_complex_numIfEiiEEvbbbT3_PS3_NS_15floating_traitsIT1_E6data_tES3_T2_PKS9_SB_PKS3_PKS6_21rocsparse_index_base_SB_SB_SD_PS6_SH_SG_SB_SB_SD_SH_SH_SG_SH_SH_PS8_SI_PKS8_: ; @_ZN9rocsparseL6kernelILi1024ELi1E21rocsparse_complex_numIfEiiEEvbbbT3_PS3_NS_15floating_traitsIT1_E6data_tES3_T2_PKS9_SB_PKS3_PKS6_21rocsparse_index_base_SB_SB_SD_PS6_SH_SG_SB_SB_SD_SH_SH_SG_SH_SH_PS8_SI_PKS8_
; %bb.0:
	s_clause 0x3
	s_load_b32 s2, s[0:1], 0x0
	s_load_b64 s[16:17], s[0:1], 0x0
	s_load_b64 s[18:19], s[0:1], 0x10
	s_load_b128 s[28:31], s[0:1], 0xb8
	v_dual_mov_b32 v5, 0 :: v_dual_lshlrev_b32 v20, 2, v0
	v_dual_mov_b32 v2, 0 :: v_dual_mov_b32 v1, 0
	s_mov_b32 s59, 0
	ds_store_b32 v20, v5
	s_waitcnt lgkmcnt(0)
	s_barrier
	buffer_gl0_inv
	s_bitcmp1_b32 s2, 0
	s_cselect_b32 s57, -1, 0
	s_bitcmp1_b32 s2, 8
	s_cselect_b32 s56, -1, 0
	;; [unrolled: 2-line block ×3, first 2 shown]
	s_lshl_b32 s63, s15, 10
	s_cmp_gt_i32 s17, 0
	v_or_b32_e32 v3, s63, v0
	s_cselect_b32 s2, -1, 0
	s_delay_alu instid0(VALU_DEP_1) | instskip(SKIP_1) | instid1(SALU_CYCLE_1)
	v_cmp_gt_i32_e32 vcc_lo, s19, v3
	s_and_b32 s2, s2, vcc_lo
	s_and_saveexec_b32 s58, s2
	s_cbranch_execz .LBB35_183
; %bb.1:
	s_clause 0x1
	s_load_b256 s[20:27], s[0:1], 0x48
	s_load_b256 s[36:43], s[0:1], 0x20
	v_ashrrev_i32_e32 v4, 31, v3
	s_addk_i32 s63, 0x400
	v_cmp_gt_u32_e64 s2, 0x200, v0
	v_cmp_gt_u32_e64 s3, 0x100, v0
	;; [unrolled: 1-line block ×3, first 2 shown]
	v_lshlrev_b64 v[1:2], 2, v[3:4]
	v_cmp_gt_u32_e64 s5, 64, v0
	v_cmp_gt_u32_e64 s6, 32, v0
	;; [unrolled: 1-line block ×6, first 2 shown]
	v_cmp_eq_u32_e64 s11, 0, v0
	v_cmp_gt_u32_e64 s12, s63, v3
	s_and_b32 s15, s56, s33
	s_xor_b32 s64, s56, -1
	s_xor_b32 s65, s15, -1
	s_mov_b32 s66, 0
	s_waitcnt lgkmcnt(0)
	v_add_co_u32 v4, vcc_lo, s20, v1
	v_add_co_ci_u32_e32 v5, vcc_lo, s21, v2, vcc_lo
	v_add_co_u32 v6, vcc_lo, s22, v1
	v_add_co_ci_u32_e32 v7, vcc_lo, s23, v2, vcc_lo
	global_load_b32 v8, v[4:5], off
	v_add_co_u32 v4, vcc_lo, s36, v1
	v_add_co_ci_u32_e32 v5, vcc_lo, s37, v2, vcc_lo
	v_add_co_u32 v1, vcc_lo, s38, v1
	v_add_co_ci_u32_e32 v2, vcc_lo, s39, v2, vcc_lo
	global_load_b32 v7, v[6:7], off
	global_load_b32 v9, v[4:5], off
	;; [unrolled: 1-line block ×3, first 2 shown]
	s_clause 0x7
	s_load_b32 s60, s[0:1], 0x70
	s_load_b64 s[34:35], s[0:1], 0x68
	s_load_b64 s[52:53], s[0:1], 0xc8
	s_load_b128 s[36:39], s[0:1], 0xa8
	s_load_b256 s[44:51], s[0:1], 0x78
	s_load_b32 s61, s[0:1], 0x40
	s_load_b64 s[54:55], s[0:1], 0x98
	s_load_b32 s62, s[0:1], 0xa0
	v_dual_mov_b32 v6, 0 :: v_dual_mov_b32 v21, 0
	v_mov_b32_e32 v1, 0
	s_waitcnt vmcnt(3) lgkmcnt(0)
	v_subrev_nc_u32_e32 v4, s60, v8
	s_delay_alu instid0(VALU_DEP_1)
	v_ashrrev_i32_e32 v5, 31, v4
	s_waitcnt vmcnt(2)
	v_sub_nc_u32_e32 v22, v7, v8
	s_waitcnt vmcnt(1)
	v_subrev_nc_u32_e32 v23, s61, v9
	v_lshlrev_b64 v[7:8], 2, v[4:5]
	s_waitcnt vmcnt(0)
	v_cmp_lt_i32_e64 s13, v9, v2
	v_lshlrev_b64 v[9:10], 3, v[4:5]
	v_subrev_nc_u32_e32 v24, s61, v2
	v_mov_b32_e32 v2, 0
	v_cmp_lt_i32_e64 s14, 0, v22
	v_add_co_u32 v25, vcc_lo, s24, v7
	v_add_co_ci_u32_e32 v26, vcc_lo, s25, v8, vcc_lo
	v_add_co_u32 v27, vcc_lo, s26, v9
	v_add_co_ci_u32_e32 v28, vcc_lo, s27, v10, vcc_lo
	s_branch .LBB35_3
.LBB35_2:                               ;   in Loop: Header=BB35_3 Depth=1
	s_or_b32 exec_lo, exec_lo, s67
	s_delay_alu instid0(SALU_CYCLE_1) | instskip(NEXT) | instid1(SALU_CYCLE_1)
	s_and_b32 s15, exec_lo, s16
	s_or_b32 s59, s15, s59
	s_delay_alu instid0(SALU_CYCLE_1)
	s_and_not1_b32 exec_lo, exec_lo, s59
	s_cbranch_execz .LBB35_182
.LBB35_3:                               ; =>This Loop Header: Depth=1
                                        ;     Child Loop BB35_10 Depth 2
                                        ;       Child Loop BB35_14 Depth 3
                                        ;       Child Loop BB35_49 Depth 3
	;; [unrolled: 1-line block ×5, first 2 shown]
                                        ;     Child Loop BB35_163 Depth 2
                                        ;       Child Loop BB35_166 Depth 3
                                        ;       Child Loop BB35_169 Depth 3
	v_cndmask_b32_e64 v2, v2, 0, s56
	v_cndmask_b32_e64 v1, v1, 0, s33
	s_and_saveexec_b32 s67, s13
	s_cbranch_execnz .LBB35_7
; %bb.4:                                ;   in Loop: Header=BB35_3 Depth=1
	s_or_b32 exec_lo, exec_lo, s67
	s_delay_alu instid0(SALU_CYCLE_1)
	s_and_not1_b32 vcc_lo, exec_lo, s56
	s_cbranch_vccz .LBB35_118
.LBB35_5:                               ;   in Loop: Header=BB35_3 Depth=1
	s_and_not1_b32 vcc_lo, exec_lo, s33
	s_cbranch_vccz .LBB35_139
.LBB35_6:                               ;   in Loop: Header=BB35_3 Depth=1
	s_and_saveexec_b32 s16, s12
	s_cbranch_execnz .LBB35_160
	s_branch .LBB35_170
.LBB35_7:                               ;   in Loop: Header=BB35_3 Depth=1
	v_mov_b32_e32 v7, v23
	s_mov_b32 s68, 0
	s_branch .LBB35_10
.LBB35_8:                               ;   in Loop: Header=BB35_10 Depth=2
	s_or_b32 exec_lo, exec_lo, s15
.LBB35_9:                               ;   in Loop: Header=BB35_10 Depth=2
	s_delay_alu instid0(SALU_CYCLE_1) | instskip(SKIP_1) | instid1(VALU_DEP_1)
	s_or_b32 exec_lo, exec_lo, s16
	v_add_nc_u32_e32 v7, 1, v7
	v_cmp_ge_i32_e32 vcc_lo, v7, v24
	s_or_b32 s68, vcc_lo, s68
	s_delay_alu instid0(SALU_CYCLE_1)
	s_and_not1_b32 exec_lo, exec_lo, s68
	s_cbranch_execz .LBB35_117
.LBB35_10:                              ;   Parent Loop BB35_3 Depth=1
                                        ; =>  This Loop Header: Depth=2
                                        ;       Child Loop BB35_14 Depth 3
                                        ;       Child Loop BB35_49 Depth 3
	;; [unrolled: 1-line block ×5, first 2 shown]
	s_delay_alu instid0(VALU_DEP_1) | instskip(SKIP_2) | instid1(VALU_DEP_3)
	v_ashrrev_i32_e32 v8, 31, v7
	v_dual_mov_b32 v29, 0 :: v_dual_mov_b32 v30, 0
	v_mov_b32_e32 v15, 0
	v_lshlrev_b64 v[9:10], 2, v[7:8]
	s_delay_alu instid0(VALU_DEP_1) | instskip(NEXT) | instid1(VALU_DEP_2)
	v_add_co_u32 v9, vcc_lo, s40, v9
	v_add_co_ci_u32_e32 v10, vcc_lo, s41, v10, vcc_lo
	global_load_b32 v5, v[9:10], off
	s_waitcnt vmcnt(0)
	v_subrev_nc_u32_e32 v9, s61, v5
	v_mov_b32_e32 v5, 0
	s_delay_alu instid0(VALU_DEP_2) | instskip(NEXT) | instid1(VALU_DEP_1)
	v_ashrrev_i32_e32 v10, 31, v9
	v_lshlrev_b64 v[11:12], 2, v[9:10]
	s_delay_alu instid0(VALU_DEP_1) | instskip(NEXT) | instid1(VALU_DEP_2)
	v_add_co_u32 v13, vcc_lo, s44, v11
	v_add_co_ci_u32_e32 v14, vcc_lo, s45, v12, vcc_lo
	v_add_co_u32 v11, vcc_lo, s46, v11
	v_add_co_ci_u32_e32 v12, vcc_lo, s47, v12, vcc_lo
	global_load_b32 v14, v[13:14], off
	global_load_b32 v11, v[11:12], off
	s_waitcnt vmcnt(1)
	v_subrev_nc_u32_e32 v13, s62, v14
	s_waitcnt vmcnt(0)
	v_sub_nc_u32_e32 v31, v11, v14
	s_and_saveexec_b32 s16, s14
	s_cbranch_execz .LBB35_18
; %bb.11:                               ;   in Loop: Header=BB35_10 Depth=2
	v_ashrrev_i32_e32 v14, 31, v13
	v_dual_mov_b32 v15, 0 :: v_dual_mov_b32 v30, 0
	v_mov_b32_e32 v29, 0
	s_mov_b32 s69, 0
	s_delay_alu instid0(VALU_DEP_3) | instskip(SKIP_2) | instid1(VALU_DEP_3)
	v_lshlrev_b64 v[11:12], 2, v[13:14]
	v_lshlrev_b64 v[16:17], 3, v[13:14]
	v_mov_b32_e32 v5, v15
                                        ; implicit-def: $sgpr70
	v_add_co_u32 v11, vcc_lo, s48, v11
	s_delay_alu instid0(VALU_DEP_4) | instskip(NEXT) | instid1(VALU_DEP_4)
	v_add_co_ci_u32_e32 v12, vcc_lo, s49, v12, vcc_lo
	v_add_co_u32 v14, vcc_lo, s50, v16
	v_add_co_ci_u32_e32 v17, vcc_lo, s51, v17, vcc_lo
	s_branch .LBB35_14
.LBB35_12:                              ;   in Loop: Header=BB35_14 Depth=3
	s_or_b32 exec_lo, exec_lo, s15
	v_cmp_le_i32_e32 vcc_lo, v18, v19
	v_cmp_ge_i32_e64 s15, v18, v19
	v_add_co_ci_u32_e32 v5, vcc_lo, 0, v5, vcc_lo
	s_delay_alu instid0(VALU_DEP_2) | instskip(SKIP_1) | instid1(VALU_DEP_2)
	v_add_co_ci_u32_e64 v15, s15, 0, v15, s15
	s_and_not1_b32 s15, s70, exec_lo
	v_cmp_ge_i32_e32 vcc_lo, v5, v22
	s_and_b32 s70, vcc_lo, exec_lo
	s_delay_alu instid0(SALU_CYCLE_1)
	s_or_b32 s70, s15, s70
.LBB35_13:                              ;   in Loop: Header=BB35_14 Depth=3
	s_or_b32 exec_lo, exec_lo, s71
	s_delay_alu instid0(SALU_CYCLE_1) | instskip(NEXT) | instid1(SALU_CYCLE_1)
	s_and_b32 s15, exec_lo, s70
	s_or_b32 s69, s15, s69
	s_delay_alu instid0(SALU_CYCLE_1)
	s_and_not1_b32 exec_lo, exec_lo, s69
	s_cbranch_execz .LBB35_17
.LBB35_14:                              ;   Parent Loop BB35_3 Depth=1
                                        ;     Parent Loop BB35_10 Depth=2
                                        ; =>    This Inner Loop Header: Depth=3
	s_or_b32 s70, s70, exec_lo
	s_mov_b32 s71, exec_lo
	v_cmpx_lt_i32_e64 v15, v31
	s_cbranch_execz .LBB35_13
; %bb.15:                               ;   in Loop: Header=BB35_14 Depth=3
	v_mov_b32_e32 v16, v6
	v_lshlrev_b64 v[18:19], 2, v[5:6]
	s_mov_b32 s15, exec_lo
	s_delay_alu instid0(VALU_DEP_2) | instskip(NEXT) | instid1(VALU_DEP_2)
	v_lshlrev_b64 v[32:33], 2, v[15:16]
	v_add_co_u32 v18, vcc_lo, v25, v18
	s_delay_alu instid0(VALU_DEP_3) | instskip(NEXT) | instid1(VALU_DEP_3)
	v_add_co_ci_u32_e32 v19, vcc_lo, v26, v19, vcc_lo
	v_add_co_u32 v32, vcc_lo, v11, v32
	s_delay_alu instid0(VALU_DEP_4)
	v_add_co_ci_u32_e32 v33, vcc_lo, v12, v33, vcc_lo
	global_load_b32 v18, v[18:19], off
	global_load_b32 v19, v[32:33], off
	s_waitcnt vmcnt(1)
	v_subrev_nc_u32_e32 v18, s60, v18
	s_waitcnt vmcnt(0)
	v_subrev_nc_u32_e32 v19, s62, v19
	s_delay_alu instid0(VALU_DEP_1)
	v_cmpx_eq_u32_e64 v18, v19
	s_cbranch_execz .LBB35_12
; %bb.16:                               ;   in Loop: Header=BB35_14 Depth=3
	v_lshlrev_b64 v[32:33], 3, v[5:6]
	v_lshlrev_b64 v[34:35], 3, v[15:16]
	s_delay_alu instid0(VALU_DEP_2) | instskip(NEXT) | instid1(VALU_DEP_3)
	v_add_co_u32 v32, vcc_lo, v27, v32
	v_add_co_ci_u32_e32 v33, vcc_lo, v28, v33, vcc_lo
	s_delay_alu instid0(VALU_DEP_3) | instskip(NEXT) | instid1(VALU_DEP_4)
	v_add_co_u32 v34, vcc_lo, v14, v34
	v_add_co_ci_u32_e32 v35, vcc_lo, v17, v35, vcc_lo
	global_load_b64 v[32:33], v[32:33], off
	global_load_b64 v[34:35], v[34:35], off
	s_waitcnt vmcnt(0)
	v_fmac_f32_e32 v29, v32, v34
	v_fmac_f32_e32 v30, v33, v34
	s_delay_alu instid0(VALU_DEP_2) | instskip(NEXT) | instid1(VALU_DEP_2)
	v_fma_f32 v29, -v33, v35, v29
	v_fmac_f32_e32 v30, v32, v35
	s_branch .LBB35_12
.LBB35_17:                              ;   in Loop: Header=BB35_10 Depth=2
	s_or_b32 exec_lo, exec_lo, s69
.LBB35_18:                              ;   in Loop: Header=BB35_10 Depth=2
	s_delay_alu instid0(SALU_CYCLE_1) | instskip(SKIP_3) | instid1(VALU_DEP_2)
	s_or_b32 exec_lo, exec_lo, s16
	v_lshlrev_b64 v[11:12], 3, v[7:8]
	v_cmp_le_i32_e64 s15, v3, v9
	s_mov_b32 s69, exec_lo
	v_add_co_u32 v11, vcc_lo, s42, v11
	s_delay_alu instid0(VALU_DEP_3)
	v_add_co_ci_u32_e32 v12, vcc_lo, s43, v12, vcc_lo
	global_load_b64 v[11:12], v[11:12], off
	s_waitcnt vmcnt(0)
	v_dual_sub_f32 v16, v11, v29 :: v_dual_sub_f32 v17, v12, v30
	v_cmpx_gt_i32_e64 v3, v9
	s_cbranch_execz .LBB35_28
; %bb.19:                               ;   in Loop: Header=BB35_10 Depth=2
	v_lshlrev_b64 v[18:19], 3, v[9:10]
                                        ; implicit-def: $vgpr32
	s_mov_b32 s16, exec_lo
	s_delay_alu instid0(VALU_DEP_1) | instskip(NEXT) | instid1(VALU_DEP_2)
	v_add_co_u32 v18, vcc_lo, s36, v18
	v_add_co_ci_u32_e32 v19, vcc_lo, s37, v19, vcc_lo
	global_load_b64 v[18:19], v[18:19], off
	s_waitcnt vmcnt(0)
	v_cmp_gt_f32_e32 vcc_lo, 0, v18
	v_cndmask_b32_e64 v8, v18, -v18, vcc_lo
	v_cmp_gt_f32_e32 vcc_lo, 0, v19
	v_cndmask_b32_e64 v14, v19, -v19, vcc_lo
	s_delay_alu instid0(VALU_DEP_1)
	v_cmpx_ngt_f32_e32 v8, v14
	s_xor_b32 s70, exec_lo, s16
	s_cbranch_execz .LBB35_23
; %bb.20:                               ;   in Loop: Header=BB35_10 Depth=2
	v_mov_b32_e32 v32, 0
	s_mov_b32 s71, exec_lo
	v_cmpx_neq_f32_e32 0, v19
	s_cbranch_execz .LBB35_22
; %bb.21:                               ;   in Loop: Header=BB35_10 Depth=2
	v_div_scale_f32 v32, null, v14, v14, v8
	v_div_scale_f32 v35, vcc_lo, v8, v14, v8
	s_delay_alu instid0(VALU_DEP_2) | instskip(SKIP_2) | instid1(VALU_DEP_1)
	v_rcp_f32_e32 v33, v32
	s_waitcnt_depctr 0xfff
	v_fma_f32 v34, -v32, v33, 1.0
	v_fmac_f32_e32 v33, v34, v33
	s_delay_alu instid0(VALU_DEP_1) | instskip(NEXT) | instid1(VALU_DEP_1)
	v_mul_f32_e32 v34, v35, v33
	v_fma_f32 v36, -v32, v34, v35
	s_delay_alu instid0(VALU_DEP_1) | instskip(NEXT) | instid1(VALU_DEP_1)
	v_fmac_f32_e32 v34, v36, v33
	v_fma_f32 v32, -v32, v34, v35
	s_delay_alu instid0(VALU_DEP_1) | instskip(NEXT) | instid1(VALU_DEP_1)
	v_div_fmas_f32 v32, v32, v33, v34
	v_div_fixup_f32 v8, v32, v14, v8
	s_delay_alu instid0(VALU_DEP_1) | instskip(NEXT) | instid1(VALU_DEP_1)
	v_fma_f32 v8, v8, v8, 1.0
	v_mul_f32_e32 v32, 0x4f800000, v8
	v_cmp_gt_f32_e32 vcc_lo, 0xf800000, v8
	s_delay_alu instid0(VALU_DEP_2) | instskip(NEXT) | instid1(VALU_DEP_1)
	v_cndmask_b32_e32 v8, v8, v32, vcc_lo
	v_sqrt_f32_e32 v32, v8
	s_waitcnt_depctr 0xfff
	v_add_nc_u32_e32 v33, -1, v32
	v_add_nc_u32_e32 v34, 1, v32
	s_delay_alu instid0(VALU_DEP_2) | instskip(NEXT) | instid1(VALU_DEP_2)
	v_fma_f32 v35, -v33, v32, v8
	v_fma_f32 v36, -v34, v32, v8
	s_delay_alu instid0(VALU_DEP_2) | instskip(NEXT) | instid1(VALU_DEP_1)
	v_cmp_ge_f32_e64 s16, 0, v35
	v_cndmask_b32_e64 v32, v32, v33, s16
	s_delay_alu instid0(VALU_DEP_3) | instskip(NEXT) | instid1(VALU_DEP_1)
	v_cmp_lt_f32_e64 s16, 0, v36
	v_cndmask_b32_e64 v32, v32, v34, s16
	s_delay_alu instid0(VALU_DEP_1) | instskip(NEXT) | instid1(VALU_DEP_1)
	v_mul_f32_e32 v33, 0x37800000, v32
	v_cndmask_b32_e32 v32, v32, v33, vcc_lo
	v_cmp_class_f32_e64 vcc_lo, v8, 0x260
	s_delay_alu instid0(VALU_DEP_2) | instskip(NEXT) | instid1(VALU_DEP_1)
	v_cndmask_b32_e32 v8, v32, v8, vcc_lo
	v_mul_f32_e32 v32, v14, v8
.LBB35_22:                              ;   in Loop: Header=BB35_10 Depth=2
	s_or_b32 exec_lo, exec_lo, s71
                                        ; implicit-def: $vgpr8
                                        ; implicit-def: $vgpr14
.LBB35_23:                              ;   in Loop: Header=BB35_10 Depth=2
	s_and_not1_saveexec_b32 s70, s70
	s_cbranch_execz .LBB35_25
; %bb.24:                               ;   in Loop: Header=BB35_10 Depth=2
	v_div_scale_f32 v32, null, v8, v8, v14
	v_div_scale_f32 v35, vcc_lo, v14, v8, v14
	s_delay_alu instid0(VALU_DEP_2) | instskip(SKIP_2) | instid1(VALU_DEP_1)
	v_rcp_f32_e32 v33, v32
	s_waitcnt_depctr 0xfff
	v_fma_f32 v34, -v32, v33, 1.0
	v_fmac_f32_e32 v33, v34, v33
	s_delay_alu instid0(VALU_DEP_1) | instskip(NEXT) | instid1(VALU_DEP_1)
	v_mul_f32_e32 v34, v35, v33
	v_fma_f32 v36, -v32, v34, v35
	s_delay_alu instid0(VALU_DEP_1) | instskip(NEXT) | instid1(VALU_DEP_1)
	v_fmac_f32_e32 v34, v36, v33
	v_fma_f32 v32, -v32, v34, v35
	s_delay_alu instid0(VALU_DEP_1) | instskip(NEXT) | instid1(VALU_DEP_1)
	v_div_fmas_f32 v32, v32, v33, v34
	v_div_fixup_f32 v14, v32, v8, v14
	s_delay_alu instid0(VALU_DEP_1) | instskip(NEXT) | instid1(VALU_DEP_1)
	v_fma_f32 v14, v14, v14, 1.0
	v_mul_f32_e32 v32, 0x4f800000, v14
	v_cmp_gt_f32_e32 vcc_lo, 0xf800000, v14
	s_delay_alu instid0(VALU_DEP_2) | instskip(NEXT) | instid1(VALU_DEP_1)
	v_cndmask_b32_e32 v14, v14, v32, vcc_lo
	v_sqrt_f32_e32 v32, v14
	s_waitcnt_depctr 0xfff
	v_add_nc_u32_e32 v33, -1, v32
	v_add_nc_u32_e32 v34, 1, v32
	s_delay_alu instid0(VALU_DEP_2) | instskip(NEXT) | instid1(VALU_DEP_2)
	v_fma_f32 v35, -v33, v32, v14
	v_fma_f32 v36, -v34, v32, v14
	s_delay_alu instid0(VALU_DEP_2) | instskip(NEXT) | instid1(VALU_DEP_1)
	v_cmp_ge_f32_e64 s16, 0, v35
	v_cndmask_b32_e64 v32, v32, v33, s16
	s_delay_alu instid0(VALU_DEP_3) | instskip(NEXT) | instid1(VALU_DEP_1)
	v_cmp_lt_f32_e64 s16, 0, v36
	v_cndmask_b32_e64 v32, v32, v34, s16
	s_delay_alu instid0(VALU_DEP_1) | instskip(NEXT) | instid1(VALU_DEP_1)
	v_mul_f32_e32 v33, 0x37800000, v32
	v_cndmask_b32_e32 v32, v32, v33, vcc_lo
	v_cmp_class_f32_e64 vcc_lo, v14, 0x260
	s_delay_alu instid0(VALU_DEP_2) | instskip(NEXT) | instid1(VALU_DEP_1)
	v_cndmask_b32_e32 v14, v32, v14, vcc_lo
	v_mul_f32_e32 v32, v8, v14
.LBB35_25:                              ;   in Loop: Header=BB35_10 Depth=2
	s_or_b32 exec_lo, exec_lo, s70
	v_mov_b32_e32 v8, 0
	v_mov_b32_e32 v14, 0
	s_mov_b32 s16, exec_lo
	v_cmpx_lt_f32_e32 0, v32
	s_cbranch_execz .LBB35_27
; %bb.26:                               ;   in Loop: Header=BB35_10 Depth=2
	v_mul_f32_e32 v8, v19, v19
	s_delay_alu instid0(VALU_DEP_1) | instskip(NEXT) | instid1(VALU_DEP_1)
	v_fmac_f32_e32 v8, v18, v18
	v_div_scale_f32 v14, null, v8, v8, 1.0
	v_div_scale_f32 v34, vcc_lo, 1.0, v8, 1.0
	s_delay_alu instid0(VALU_DEP_2) | instskip(SKIP_2) | instid1(VALU_DEP_1)
	v_rcp_f32_e32 v32, v14
	s_waitcnt_depctr 0xfff
	v_fma_f32 v33, -v14, v32, 1.0
	v_fmac_f32_e32 v32, v33, v32
	s_delay_alu instid0(VALU_DEP_1) | instskip(NEXT) | instid1(VALU_DEP_1)
	v_mul_f32_e32 v33, v34, v32
	v_fma_f32 v35, -v14, v33, v34
	s_delay_alu instid0(VALU_DEP_1) | instskip(NEXT) | instid1(VALU_DEP_1)
	v_fmac_f32_e32 v33, v35, v32
	v_fma_f32 v14, -v14, v33, v34
	v_mul_f32_e32 v34, v17, v19
	v_mul_f32_e64 v19, v19, -v16
	s_delay_alu instid0(VALU_DEP_3) | instskip(NEXT) | instid1(VALU_DEP_3)
	v_div_fmas_f32 v14, v14, v32, v33
	v_fmac_f32_e32 v34, v16, v18
	s_delay_alu instid0(VALU_DEP_2) | instskip(NEXT) | instid1(VALU_DEP_1)
	v_div_fixup_f32 v8, v14, v8, 1.0
	v_dual_fmac_f32 v19, v17, v18 :: v_dual_mul_f32 v14, v34, v8
	s_delay_alu instid0(VALU_DEP_1)
	v_mul_f32_e32 v8, v19, v8
.LBB35_27:                              ;   in Loop: Header=BB35_10 Depth=2
	s_or_b32 exec_lo, exec_lo, s16
	s_delay_alu instid0(VALU_DEP_1)
	v_dual_mov_b32 v17, v8 :: v_dual_mov_b32 v16, v14
.LBB35_28:                              ;   in Loop: Header=BB35_10 Depth=2
	s_or_b32 exec_lo, exec_lo, s69
	s_delay_alu instid0(VALU_DEP_1) | instskip(SKIP_4) | instid1(VALU_DEP_1)
	v_cmp_gt_f32_e32 vcc_lo, 0, v16
                                        ; implicit-def: $vgpr18
	s_mov_b32 s16, exec_lo
	v_cndmask_b32_e64 v8, v16, -v16, vcc_lo
	v_cmp_gt_f32_e32 vcc_lo, 0, v17
	v_cndmask_b32_e64 v14, v17, -v17, vcc_lo
	v_cmpx_ngt_f32_e32 v8, v14
	s_xor_b32 s69, exec_lo, s16
	s_cbranch_execnz .LBB35_32
; %bb.29:                               ;   in Loop: Header=BB35_10 Depth=2
	s_and_not1_saveexec_b32 s69, s69
	s_cbranch_execnz .LBB35_35
.LBB35_30:                              ;   in Loop: Header=BB35_10 Depth=2
	s_or_b32 exec_lo, exec_lo, s69
	v_cmp_class_f32_e64 s16, v18, 0x1f8
	s_delay_alu instid0(VALU_DEP_1)
	s_and_saveexec_b32 s69, s16
	s_cbranch_execnz .LBB35_36
.LBB35_31:                              ;   in Loop: Header=BB35_10 Depth=2
	s_or_b32 exec_lo, exec_lo, s69
	s_and_b32 s15, s16, s33
	s_delay_alu instid0(SALU_CYCLE_1)
	s_and_saveexec_b32 s16, s15
	s_cbranch_execz .LBB35_9
	s_branch .LBB35_77
.LBB35_32:                              ;   in Loop: Header=BB35_10 Depth=2
	v_mov_b32_e32 v18, 0
	s_mov_b32 s70, exec_lo
	v_cmpx_neq_f32_e32 0, v17
	s_cbranch_execz .LBB35_34
; %bb.33:                               ;   in Loop: Header=BB35_10 Depth=2
	v_div_scale_f32 v18, null, v14, v14, v8
	v_div_scale_f32 v33, vcc_lo, v8, v14, v8
	s_delay_alu instid0(VALU_DEP_2) | instskip(SKIP_2) | instid1(VALU_DEP_1)
	v_rcp_f32_e32 v19, v18
	s_waitcnt_depctr 0xfff
	v_fma_f32 v32, -v18, v19, 1.0
	v_fmac_f32_e32 v19, v32, v19
	s_delay_alu instid0(VALU_DEP_1) | instskip(NEXT) | instid1(VALU_DEP_1)
	v_mul_f32_e32 v32, v33, v19
	v_fma_f32 v34, -v18, v32, v33
	s_delay_alu instid0(VALU_DEP_1) | instskip(NEXT) | instid1(VALU_DEP_1)
	v_fmac_f32_e32 v32, v34, v19
	v_fma_f32 v18, -v18, v32, v33
	s_delay_alu instid0(VALU_DEP_1) | instskip(NEXT) | instid1(VALU_DEP_1)
	v_div_fmas_f32 v18, v18, v19, v32
	v_div_fixup_f32 v8, v18, v14, v8
	s_delay_alu instid0(VALU_DEP_1) | instskip(NEXT) | instid1(VALU_DEP_1)
	v_fma_f32 v8, v8, v8, 1.0
	v_mul_f32_e32 v18, 0x4f800000, v8
	v_cmp_gt_f32_e32 vcc_lo, 0xf800000, v8
	s_delay_alu instid0(VALU_DEP_2) | instskip(NEXT) | instid1(VALU_DEP_1)
	v_cndmask_b32_e32 v8, v8, v18, vcc_lo
	v_sqrt_f32_e32 v18, v8
	s_waitcnt_depctr 0xfff
	v_add_nc_u32_e32 v19, -1, v18
	v_add_nc_u32_e32 v32, 1, v18
	s_delay_alu instid0(VALU_DEP_2) | instskip(NEXT) | instid1(VALU_DEP_2)
	v_fma_f32 v33, -v19, v18, v8
	v_fma_f32 v34, -v32, v18, v8
	s_delay_alu instid0(VALU_DEP_2) | instskip(NEXT) | instid1(VALU_DEP_1)
	v_cmp_ge_f32_e64 s16, 0, v33
	v_cndmask_b32_e64 v18, v18, v19, s16
	s_delay_alu instid0(VALU_DEP_3) | instskip(NEXT) | instid1(VALU_DEP_1)
	v_cmp_lt_f32_e64 s16, 0, v34
	v_cndmask_b32_e64 v18, v18, v32, s16
	s_delay_alu instid0(VALU_DEP_1) | instskip(NEXT) | instid1(VALU_DEP_1)
	v_mul_f32_e32 v19, 0x37800000, v18
	v_cndmask_b32_e32 v18, v18, v19, vcc_lo
	v_cmp_class_f32_e64 vcc_lo, v8, 0x260
	s_delay_alu instid0(VALU_DEP_2) | instskip(NEXT) | instid1(VALU_DEP_1)
	v_cndmask_b32_e32 v8, v18, v8, vcc_lo
	v_mul_f32_e32 v18, v14, v8
.LBB35_34:                              ;   in Loop: Header=BB35_10 Depth=2
	s_or_b32 exec_lo, exec_lo, s70
                                        ; implicit-def: $vgpr8
                                        ; implicit-def: $vgpr14
	s_and_not1_saveexec_b32 s69, s69
	s_cbranch_execz .LBB35_30
.LBB35_35:                              ;   in Loop: Header=BB35_10 Depth=2
	v_div_scale_f32 v18, null, v8, v8, v14
	v_div_scale_f32 v33, vcc_lo, v14, v8, v14
	s_delay_alu instid0(VALU_DEP_2) | instskip(SKIP_2) | instid1(VALU_DEP_1)
	v_rcp_f32_e32 v19, v18
	s_waitcnt_depctr 0xfff
	v_fma_f32 v32, -v18, v19, 1.0
	v_fmac_f32_e32 v19, v32, v19
	s_delay_alu instid0(VALU_DEP_1) | instskip(NEXT) | instid1(VALU_DEP_1)
	v_mul_f32_e32 v32, v33, v19
	v_fma_f32 v34, -v18, v32, v33
	s_delay_alu instid0(VALU_DEP_1) | instskip(NEXT) | instid1(VALU_DEP_1)
	v_fmac_f32_e32 v32, v34, v19
	v_fma_f32 v18, -v18, v32, v33
	s_delay_alu instid0(VALU_DEP_1) | instskip(NEXT) | instid1(VALU_DEP_1)
	v_div_fmas_f32 v18, v18, v19, v32
	v_div_fixup_f32 v14, v18, v8, v14
	s_delay_alu instid0(VALU_DEP_1) | instskip(NEXT) | instid1(VALU_DEP_1)
	v_fma_f32 v14, v14, v14, 1.0
	v_mul_f32_e32 v18, 0x4f800000, v14
	v_cmp_gt_f32_e32 vcc_lo, 0xf800000, v14
	s_delay_alu instid0(VALU_DEP_2) | instskip(NEXT) | instid1(VALU_DEP_1)
	v_cndmask_b32_e32 v14, v14, v18, vcc_lo
	v_sqrt_f32_e32 v18, v14
	s_waitcnt_depctr 0xfff
	v_add_nc_u32_e32 v19, -1, v18
	v_add_nc_u32_e32 v32, 1, v18
	s_delay_alu instid0(VALU_DEP_2) | instskip(NEXT) | instid1(VALU_DEP_2)
	v_fma_f32 v33, -v19, v18, v14
	v_fma_f32 v34, -v32, v18, v14
	s_delay_alu instid0(VALU_DEP_2) | instskip(NEXT) | instid1(VALU_DEP_1)
	v_cmp_ge_f32_e64 s16, 0, v33
	v_cndmask_b32_e64 v18, v18, v19, s16
	s_delay_alu instid0(VALU_DEP_3) | instskip(NEXT) | instid1(VALU_DEP_1)
	v_cmp_lt_f32_e64 s16, 0, v34
	v_cndmask_b32_e64 v18, v18, v32, s16
	s_delay_alu instid0(VALU_DEP_1) | instskip(NEXT) | instid1(VALU_DEP_1)
	v_mul_f32_e32 v19, 0x37800000, v18
	v_cndmask_b32_e32 v18, v18, v19, vcc_lo
	v_cmp_class_f32_e64 vcc_lo, v14, 0x260
	s_delay_alu instid0(VALU_DEP_2) | instskip(NEXT) | instid1(VALU_DEP_1)
	v_cndmask_b32_e32 v14, v18, v14, vcc_lo
	v_mul_f32_e32 v18, v8, v14
	s_or_b32 exec_lo, exec_lo, s69
	s_delay_alu instid0(VALU_DEP_1) | instskip(NEXT) | instid1(VALU_DEP_1)
	v_cmp_class_f32_e64 s16, v18, 0x1f8
	s_and_saveexec_b32 s69, s16
	s_cbranch_execz .LBB35_31
.LBB35_36:                              ;   in Loop: Header=BB35_10 Depth=2
	s_and_saveexec_b32 s70, s15
	s_delay_alu instid0(SALU_CYCLE_1)
	s_xor_b32 s70, exec_lo, s70
	s_cbranch_execz .LBB35_61
; %bb.37:                               ;   in Loop: Header=BB35_10 Depth=2
	s_mov_b32 s15, exec_lo
	v_cmpx_ge_i32_e64 v3, v9
	s_xor_b32 s71, exec_lo, s15
	s_cbranch_execz .LBB35_45
; %bb.38:                               ;   in Loop: Header=BB35_10 Depth=2
	v_lshlrev_b64 v[18:19], 3, v[9:10]
	s_delay_alu instid0(VALU_DEP_1) | instskip(NEXT) | instid1(VALU_DEP_2)
	v_add_co_u32 v32, vcc_lo, s38, v18
	v_add_co_ci_u32_e32 v33, vcc_lo, s39, v19, vcc_lo
	s_and_not1_b32 vcc_lo, exec_lo, s56
	global_store_b64 v[32:33], v[16:17], off
	s_cbranch_vccnz .LBB35_44
; %bb.39:                               ;   in Loop: Header=BB35_10 Depth=2
	v_add_co_u32 v18, vcc_lo, s36, v18
	v_add_co_ci_u32_e32 v19, vcc_lo, s37, v19, vcc_lo
	s_mov_b32 s15, exec_lo
	global_load_b64 v[18:19], v[18:19], off
	s_waitcnt vmcnt(0)
	v_dual_sub_f32 v8, v18, v16 :: v_dual_sub_f32 v17, v19, v17
                                        ; implicit-def: $vgpr16
	s_delay_alu instid0(VALU_DEP_1) | instskip(SKIP_1) | instid1(VALU_DEP_3)
	v_cmp_gt_f32_e32 vcc_lo, 0, v8
	v_cndmask_b32_e64 v8, v8, -v8, vcc_lo
	v_cmp_gt_f32_e32 vcc_lo, 0, v17
	v_cndmask_b32_e64 v14, v17, -v17, vcc_lo
	s_delay_alu instid0(VALU_DEP_1)
	v_cmpx_ngt_f32_e32 v8, v14
	s_xor_b32 s72, exec_lo, s15
	s_cbranch_execnz .LBB35_105
; %bb.40:                               ;   in Loop: Header=BB35_10 Depth=2
	s_and_not1_saveexec_b32 s72, s72
	s_cbranch_execnz .LBB35_108
.LBB35_41:                              ;   in Loop: Header=BB35_10 Depth=2
	s_or_b32 exec_lo, exec_lo, s72
	v_cmp_class_f32_e64 s72, v16, 0x1f8
	s_delay_alu instid0(VALU_DEP_1)
	s_and_saveexec_b32 s15, s72
.LBB35_42:                              ;   in Loop: Header=BB35_10 Depth=2
	v_cmp_lt_f32_e32 vcc_lo, v2, v16
	v_cndmask_b32_e32 v2, v2, v16, vcc_lo
.LBB35_43:                              ;   in Loop: Header=BB35_10 Depth=2
	s_or_b32 exec_lo, exec_lo, s15
.LBB35_44:                              ;   in Loop: Header=BB35_10 Depth=2
                                        ; implicit-def: $vgpr16
.LBB35_45:                              ;   in Loop: Header=BB35_10 Depth=2
	s_and_not1_saveexec_b32 s71, s71
	s_cbranch_execz .LBB35_60
; %bb.46:                               ;   in Loop: Header=BB35_10 Depth=2
	s_mov_b32 s72, exec_lo
	v_cmpx_lt_i32_e64 v15, v31
	s_cbranch_execz .LBB35_59
; %bb.47:                               ;   in Loop: Header=BB35_10 Depth=2
	v_mov_b32_e32 v8, v15
	s_mov_b32 s15, 0
                                        ; implicit-def: $sgpr73
                                        ; implicit-def: $sgpr75
                                        ; implicit-def: $sgpr74
	s_set_inst_prefetch_distance 0x1
	s_branch .LBB35_49
	.p2align	6
.LBB35_48:                              ;   in Loop: Header=BB35_49 Depth=3
	s_or_b32 exec_lo, exec_lo, s76
	s_delay_alu instid0(SALU_CYCLE_1) | instskip(NEXT) | instid1(SALU_CYCLE_1)
	s_and_b32 s76, exec_lo, s75
	s_or_b32 s15, s76, s15
	s_and_not1_b32 s73, s73, exec_lo
	s_and_b32 s76, s74, exec_lo
	s_delay_alu instid0(SALU_CYCLE_1)
	s_or_b32 s73, s73, s76
	s_and_not1_b32 exec_lo, exec_lo, s15
	s_cbranch_execz .LBB35_51
.LBB35_49:                              ;   Parent Loop BB35_3 Depth=1
                                        ;     Parent Loop BB35_10 Depth=2
                                        ; =>    This Inner Loop Header: Depth=3
	s_delay_alu instid0(VALU_DEP_1) | instskip(SKIP_3) | instid1(VALU_DEP_1)
	v_add_nc_u32_e32 v18, v13, v8
	s_or_b32 s74, s74, exec_lo
	s_or_b32 s75, s75, exec_lo
	s_mov_b32 s76, exec_lo
	v_ashrrev_i32_e32 v19, 31, v18
	s_delay_alu instid0(VALU_DEP_1) | instskip(NEXT) | instid1(VALU_DEP_1)
	v_lshlrev_b64 v[32:33], 2, v[18:19]
	v_add_co_u32 v32, vcc_lo, s48, v32
	s_delay_alu instid0(VALU_DEP_2) | instskip(SKIP_3) | instid1(VALU_DEP_1)
	v_add_co_ci_u32_e32 v33, vcc_lo, s49, v33, vcc_lo
	global_load_b32 v14, v[32:33], off
	s_waitcnt vmcnt(0)
	v_subrev_nc_u32_e32 v14, s62, v14
	v_cmpx_ne_u32_e64 v14, v3
	s_cbranch_execz .LBB35_48
; %bb.50:                               ;   in Loop: Header=BB35_49 Depth=3
	v_add_nc_u32_e32 v8, 1, v8
	s_and_not1_b32 s75, s75, exec_lo
	s_and_not1_b32 s74, s74, exec_lo
	s_delay_alu instid0(VALU_DEP_1) | instskip(SKIP_1) | instid1(SALU_CYCLE_1)
	v_cmp_ge_i32_e32 vcc_lo, v8, v31
	s_and_b32 s77, vcc_lo, exec_lo
	s_or_b32 s75, s75, s77
	s_branch .LBB35_48
.LBB35_51:                              ;   in Loop: Header=BB35_10 Depth=2
	s_set_inst_prefetch_distance 0x2
	s_or_b32 exec_lo, exec_lo, s15
	s_and_saveexec_b32 s15, s73
	s_delay_alu instid0(SALU_CYCLE_1)
	s_xor_b32 s73, exec_lo, s15
	s_cbranch_execz .LBB35_58
; %bb.52:                               ;   in Loop: Header=BB35_10 Depth=2
	v_lshlrev_b64 v[18:19], 3, v[18:19]
	s_delay_alu instid0(VALU_DEP_1) | instskip(NEXT) | instid1(VALU_DEP_2)
	v_add_co_u32 v32, vcc_lo, s54, v18
	v_add_co_ci_u32_e32 v33, vcc_lo, s55, v19, vcc_lo
	s_and_not1_b32 vcc_lo, exec_lo, s56
	global_store_b64 v[32:33], v[16:17], off
	s_cbranch_vccnz .LBB35_58
; %bb.53:                               ;   in Loop: Header=BB35_10 Depth=2
	v_add_co_u32 v18, vcc_lo, s50, v18
	v_add_co_ci_u32_e32 v19, vcc_lo, s51, v19, vcc_lo
	s_mov_b32 s15, exec_lo
	global_load_b64 v[18:19], v[18:19], off
	s_waitcnt vmcnt(0)
	v_dual_sub_f32 v8, v18, v16 :: v_dual_sub_f32 v17, v19, v17
                                        ; implicit-def: $vgpr16
	s_delay_alu instid0(VALU_DEP_1) | instskip(SKIP_1) | instid1(VALU_DEP_3)
	v_cmp_gt_f32_e32 vcc_lo, 0, v8
	v_cndmask_b32_e64 v8, v8, -v8, vcc_lo
	v_cmp_gt_f32_e32 vcc_lo, 0, v17
	v_cndmask_b32_e64 v14, v17, -v17, vcc_lo
	s_delay_alu instid0(VALU_DEP_1)
	v_cmpx_ngt_f32_e32 v8, v14
	s_xor_b32 s74, exec_lo, s15
	s_cbranch_execnz .LBB35_113
; %bb.54:                               ;   in Loop: Header=BB35_10 Depth=2
	s_and_not1_saveexec_b32 s74, s74
	s_cbranch_execnz .LBB35_116
.LBB35_55:                              ;   in Loop: Header=BB35_10 Depth=2
	s_or_b32 exec_lo, exec_lo, s74
	v_cmp_class_f32_e64 s74, v16, 0x1f8
	s_delay_alu instid0(VALU_DEP_1)
	s_and_saveexec_b32 s15, s74
.LBB35_56:                              ;   in Loop: Header=BB35_10 Depth=2
	v_cmp_lt_f32_e32 vcc_lo, v2, v16
	v_cndmask_b32_e32 v2, v2, v16, vcc_lo
.LBB35_57:                              ;   in Loop: Header=BB35_10 Depth=2
	s_or_b32 exec_lo, exec_lo, s15
.LBB35_58:                              ;   in Loop: Header=BB35_10 Depth=2
	s_delay_alu instid0(SALU_CYCLE_1)
	s_or_b32 exec_lo, exec_lo, s73
.LBB35_59:                              ;   in Loop: Header=BB35_10 Depth=2
	s_delay_alu instid0(SALU_CYCLE_1)
	s_or_b32 exec_lo, exec_lo, s72
.LBB35_60:                              ;   in Loop: Header=BB35_10 Depth=2
	s_delay_alu instid0(SALU_CYCLE_1)
	s_or_b32 exec_lo, exec_lo, s71
                                        ; implicit-def: $vgpr16
.LBB35_61:                              ;   in Loop: Header=BB35_10 Depth=2
	s_and_not1_saveexec_b32 s70, s70
	s_cbranch_execz .LBB35_76
; %bb.62:                               ;   in Loop: Header=BB35_10 Depth=2
	s_mov_b32 s71, exec_lo
	v_cmpx_lt_i32_e64 v5, v22
	s_cbranch_execz .LBB35_75
; %bb.63:                               ;   in Loop: Header=BB35_10 Depth=2
	v_mov_b32_e32 v8, v5
	s_mov_b32 s15, 0
                                        ; implicit-def: $sgpr72
                                        ; implicit-def: $sgpr74
                                        ; implicit-def: $sgpr73
	s_set_inst_prefetch_distance 0x1
	s_branch .LBB35_65
	.p2align	6
.LBB35_64:                              ;   in Loop: Header=BB35_65 Depth=3
	s_or_b32 exec_lo, exec_lo, s75
	s_delay_alu instid0(SALU_CYCLE_1) | instskip(NEXT) | instid1(SALU_CYCLE_1)
	s_and_b32 s75, exec_lo, s74
	s_or_b32 s15, s75, s15
	s_and_not1_b32 s72, s72, exec_lo
	s_and_b32 s75, s73, exec_lo
	s_delay_alu instid0(SALU_CYCLE_1)
	s_or_b32 s72, s72, s75
	s_and_not1_b32 exec_lo, exec_lo, s15
	s_cbranch_execz .LBB35_67
.LBB35_65:                              ;   Parent Loop BB35_3 Depth=1
                                        ;     Parent Loop BB35_10 Depth=2
                                        ; =>    This Inner Loop Header: Depth=3
	s_delay_alu instid0(VALU_DEP_1) | instskip(SKIP_3) | instid1(VALU_DEP_1)
	v_add_nc_u32_e32 v18, v4, v8
	s_or_b32 s73, s73, exec_lo
	s_or_b32 s74, s74, exec_lo
	s_mov_b32 s75, exec_lo
	v_ashrrev_i32_e32 v19, 31, v18
	s_delay_alu instid0(VALU_DEP_1) | instskip(NEXT) | instid1(VALU_DEP_1)
	v_lshlrev_b64 v[32:33], 2, v[18:19]
	v_add_co_u32 v32, vcc_lo, s24, v32
	s_delay_alu instid0(VALU_DEP_2) | instskip(SKIP_3) | instid1(VALU_DEP_1)
	v_add_co_ci_u32_e32 v33, vcc_lo, s25, v33, vcc_lo
	global_load_b32 v14, v[32:33], off
	s_waitcnt vmcnt(0)
	v_subrev_nc_u32_e32 v14, s60, v14
	v_cmpx_ne_u32_e64 v14, v9
	s_cbranch_execz .LBB35_64
; %bb.66:                               ;   in Loop: Header=BB35_65 Depth=3
	v_add_nc_u32_e32 v8, 1, v8
	s_and_not1_b32 s74, s74, exec_lo
	s_and_not1_b32 s73, s73, exec_lo
	s_delay_alu instid0(VALU_DEP_1) | instskip(SKIP_1) | instid1(SALU_CYCLE_1)
	v_cmp_ge_i32_e32 vcc_lo, v8, v22
	s_and_b32 s76, vcc_lo, exec_lo
	s_or_b32 s74, s74, s76
	s_branch .LBB35_64
.LBB35_67:                              ;   in Loop: Header=BB35_10 Depth=2
	s_set_inst_prefetch_distance 0x2
	s_or_b32 exec_lo, exec_lo, s15
	s_and_saveexec_b32 s15, s72
	s_delay_alu instid0(SALU_CYCLE_1)
	s_xor_b32 s72, exec_lo, s15
	s_cbranch_execz .LBB35_74
; %bb.68:                               ;   in Loop: Header=BB35_10 Depth=2
	v_lshlrev_b64 v[18:19], 3, v[18:19]
	s_delay_alu instid0(VALU_DEP_1) | instskip(NEXT) | instid1(VALU_DEP_2)
	v_add_co_u32 v32, vcc_lo, s34, v18
	v_add_co_ci_u32_e32 v33, vcc_lo, s35, v19, vcc_lo
	s_and_not1_b32 vcc_lo, exec_lo, s56
	global_store_b64 v[32:33], v[16:17], off
	s_cbranch_vccnz .LBB35_74
; %bb.69:                               ;   in Loop: Header=BB35_10 Depth=2
	v_add_co_u32 v18, vcc_lo, s26, v18
	v_add_co_ci_u32_e32 v19, vcc_lo, s27, v19, vcc_lo
	s_mov_b32 s15, exec_lo
	global_load_b64 v[18:19], v[18:19], off
	s_waitcnt vmcnt(0)
	v_dual_sub_f32 v8, v18, v16 :: v_dual_sub_f32 v17, v19, v17
                                        ; implicit-def: $vgpr16
	s_delay_alu instid0(VALU_DEP_1) | instskip(SKIP_1) | instid1(VALU_DEP_3)
	v_cmp_gt_f32_e32 vcc_lo, 0, v8
	v_cndmask_b32_e64 v8, v8, -v8, vcc_lo
	v_cmp_gt_f32_e32 vcc_lo, 0, v17
	v_cndmask_b32_e64 v14, v17, -v17, vcc_lo
	s_delay_alu instid0(VALU_DEP_1)
	v_cmpx_ngt_f32_e32 v8, v14
	s_xor_b32 s73, exec_lo, s15
	s_cbranch_execnz .LBB35_109
; %bb.70:                               ;   in Loop: Header=BB35_10 Depth=2
	s_and_not1_saveexec_b32 s73, s73
	s_cbranch_execnz .LBB35_112
.LBB35_71:                              ;   in Loop: Header=BB35_10 Depth=2
	s_or_b32 exec_lo, exec_lo, s73
	v_cmp_class_f32_e64 s73, v16, 0x1f8
	s_delay_alu instid0(VALU_DEP_1)
	s_and_saveexec_b32 s15, s73
.LBB35_72:                              ;   in Loop: Header=BB35_10 Depth=2
	v_cmp_lt_f32_e32 vcc_lo, v2, v16
	v_cndmask_b32_e32 v2, v2, v16, vcc_lo
.LBB35_73:                              ;   in Loop: Header=BB35_10 Depth=2
	s_or_b32 exec_lo, exec_lo, s15
.LBB35_74:                              ;   in Loop: Header=BB35_10 Depth=2
	s_delay_alu instid0(SALU_CYCLE_1)
	s_or_b32 exec_lo, exec_lo, s72
.LBB35_75:                              ;   in Loop: Header=BB35_10 Depth=2
	s_delay_alu instid0(SALU_CYCLE_1)
	s_or_b32 exec_lo, exec_lo, s71
.LBB35_76:                              ;   in Loop: Header=BB35_10 Depth=2
	s_delay_alu instid0(SALU_CYCLE_1) | instskip(NEXT) | instid1(SALU_CYCLE_1)
	s_or_b32 exec_lo, exec_lo, s70
	s_or_b32 exec_lo, exec_lo, s69
	s_and_b32 s15, s16, s33
	s_delay_alu instid0(SALU_CYCLE_1)
	s_and_saveexec_b32 s16, s15
	s_cbranch_execz .LBB35_9
.LBB35_77:                              ;   in Loop: Header=BB35_10 Depth=2
	s_mov_b32 s15, exec_lo
	v_cmpx_ge_i32_e64 v15, v31
	s_xor_b32 s15, exec_lo, s15
	s_cbranch_execnz .LBB35_84
; %bb.78:                               ;   in Loop: Header=BB35_10 Depth=2
	s_and_not1_saveexec_b32 s15, s15
	s_cbranch_execnz .LBB35_98
.LBB35_79:                              ;   in Loop: Header=BB35_10 Depth=2
	s_or_b32 exec_lo, exec_lo, s15
	s_delay_alu instid0(SALU_CYCLE_1)
	s_mov_b32 s15, exec_lo
	v_cmpx_eq_u32_e64 v3, v9
	s_cbranch_execz .LBB35_81
.LBB35_80:                              ;   in Loop: Header=BB35_10 Depth=2
	v_lshlrev_b64 v[8:9], 3, v[9:10]
	s_delay_alu instid0(VALU_DEP_1) | instskip(NEXT) | instid1(VALU_DEP_2)
	v_add_co_u32 v8, vcc_lo, s36, v8
	v_add_co_ci_u32_e32 v9, vcc_lo, s37, v9, vcc_lo
	global_load_b64 v[8:9], v[8:9], off
	s_waitcnt vmcnt(0)
	v_dual_add_f32 v29, v29, v8 :: v_dual_add_f32 v30, v30, v9
.LBB35_81:                              ;   in Loop: Header=BB35_10 Depth=2
	s_or_b32 exec_lo, exec_lo, s15
	s_delay_alu instid0(VALU_DEP_1) | instskip(SKIP_1) | instid1(VALU_DEP_1)
	v_dual_sub_f32 v5, v11, v29 :: v_dual_sub_f32 v10, v12, v30
                                        ; implicit-def: $vgpr9
	s_mov_b32 s15, exec_lo
	v_cmp_gt_f32_e32 vcc_lo, 0, v5
	v_cndmask_b32_e64 v5, v5, -v5, vcc_lo
	s_delay_alu instid0(VALU_DEP_3) | instskip(SKIP_1) | instid1(VALU_DEP_1)
	v_cmp_gt_f32_e32 vcc_lo, 0, v10
	v_cndmask_b32_e64 v8, v10, -v10, vcc_lo
	v_cmpx_ngt_f32_e32 v5, v8
	s_xor_b32 s69, exec_lo, s15
	s_cbranch_execnz .LBB35_89
; %bb.82:                               ;   in Loop: Header=BB35_10 Depth=2
	s_and_not1_saveexec_b32 s69, s69
	s_cbranch_execnz .LBB35_92
.LBB35_83:                              ;   in Loop: Header=BB35_10 Depth=2
	s_or_b32 exec_lo, exec_lo, s69
	v_cmp_class_f32_e64 s69, v9, 0x1f8
	s_delay_alu instid0(VALU_DEP_1)
	s_and_saveexec_b32 s15, s69
	s_cbranch_execz .LBB35_8
	s_branch .LBB35_93
.LBB35_84:                              ;   in Loop: Header=BB35_10 Depth=2
	s_mov_b32 s69, exec_lo
	v_cmpx_lt_i32_e64 v5, v22
	s_cbranch_execz .LBB35_97
; %bb.85:                               ;   in Loop: Header=BB35_10 Depth=2
	s_mov_b32 s71, 0
                                        ; implicit-def: $sgpr70
                                        ; implicit-def: $sgpr73
                                        ; implicit-def: $sgpr72
	s_set_inst_prefetch_distance 0x1
	s_branch .LBB35_87
	.p2align	6
.LBB35_86:                              ;   in Loop: Header=BB35_87 Depth=3
	s_or_b32 exec_lo, exec_lo, s74
	s_delay_alu instid0(SALU_CYCLE_1) | instskip(NEXT) | instid1(SALU_CYCLE_1)
	s_and_b32 s74, exec_lo, s73
	s_or_b32 s71, s74, s71
	s_and_not1_b32 s70, s70, exec_lo
	s_and_b32 s74, s72, exec_lo
	s_delay_alu instid0(SALU_CYCLE_1)
	s_or_b32 s70, s70, s74
	s_and_not1_b32 exec_lo, exec_lo, s71
	s_cbranch_execz .LBB35_94
.LBB35_87:                              ;   Parent Loop BB35_3 Depth=1
                                        ;     Parent Loop BB35_10 Depth=2
                                        ; =>    This Inner Loop Header: Depth=3
	v_add_nc_u32_e32 v13, v4, v5
	s_or_b32 s72, s72, exec_lo
	s_or_b32 s73, s73, exec_lo
	s_mov_b32 s74, exec_lo
	s_delay_alu instid0(VALU_DEP_1) | instskip(NEXT) | instid1(VALU_DEP_1)
	v_ashrrev_i32_e32 v14, 31, v13
	v_lshlrev_b64 v[15:16], 2, v[13:14]
	s_delay_alu instid0(VALU_DEP_1) | instskip(NEXT) | instid1(VALU_DEP_2)
	v_add_co_u32 v15, vcc_lo, s24, v15
	v_add_co_ci_u32_e32 v16, vcc_lo, s25, v16, vcc_lo
	global_load_b32 v8, v[15:16], off
	s_waitcnt vmcnt(0)
	v_subrev_nc_u32_e32 v8, s60, v8
	s_delay_alu instid0(VALU_DEP_1)
	v_cmpx_ne_u32_e64 v8, v9
	s_cbranch_execz .LBB35_86
; %bb.88:                               ;   in Loop: Header=BB35_87 Depth=3
	v_add_nc_u32_e32 v5, 1, v5
	s_and_not1_b32 s73, s73, exec_lo
	s_and_not1_b32 s72, s72, exec_lo
	s_delay_alu instid0(VALU_DEP_1) | instskip(SKIP_1) | instid1(SALU_CYCLE_1)
	v_cmp_ge_i32_e32 vcc_lo, v5, v22
	s_and_b32 s75, vcc_lo, exec_lo
	s_or_b32 s73, s73, s75
	s_branch .LBB35_86
.LBB35_89:                              ;   in Loop: Header=BB35_10 Depth=2
	v_mov_b32_e32 v9, 0
	s_mov_b32 s70, exec_lo
	v_cmpx_neq_f32_e32 0, v10
	s_cbranch_execz .LBB35_91
; %bb.90:                               ;   in Loop: Header=BB35_10 Depth=2
	v_div_scale_f32 v9, null, v8, v8, v5
	v_div_scale_f32 v12, vcc_lo, v5, v8, v5
	s_delay_alu instid0(VALU_DEP_2) | instskip(SKIP_2) | instid1(VALU_DEP_1)
	v_rcp_f32_e32 v10, v9
	s_waitcnt_depctr 0xfff
	v_fma_f32 v11, -v9, v10, 1.0
	v_fmac_f32_e32 v10, v11, v10
	s_delay_alu instid0(VALU_DEP_1) | instskip(NEXT) | instid1(VALU_DEP_1)
	v_mul_f32_e32 v11, v12, v10
	v_fma_f32 v13, -v9, v11, v12
	s_delay_alu instid0(VALU_DEP_1) | instskip(NEXT) | instid1(VALU_DEP_1)
	v_fmac_f32_e32 v11, v13, v10
	v_fma_f32 v9, -v9, v11, v12
	s_delay_alu instid0(VALU_DEP_1) | instskip(NEXT) | instid1(VALU_DEP_1)
	v_div_fmas_f32 v9, v9, v10, v11
	v_div_fixup_f32 v5, v9, v8, v5
	s_delay_alu instid0(VALU_DEP_1) | instskip(NEXT) | instid1(VALU_DEP_1)
	v_fma_f32 v5, v5, v5, 1.0
	v_mul_f32_e32 v9, 0x4f800000, v5
	v_cmp_gt_f32_e32 vcc_lo, 0xf800000, v5
	s_delay_alu instid0(VALU_DEP_2) | instskip(NEXT) | instid1(VALU_DEP_1)
	v_cndmask_b32_e32 v5, v5, v9, vcc_lo
	v_sqrt_f32_e32 v9, v5
	s_waitcnt_depctr 0xfff
	v_add_nc_u32_e32 v10, -1, v9
	v_add_nc_u32_e32 v11, 1, v9
	s_delay_alu instid0(VALU_DEP_2) | instskip(NEXT) | instid1(VALU_DEP_2)
	v_fma_f32 v12, -v10, v9, v5
	v_fma_f32 v13, -v11, v9, v5
	s_delay_alu instid0(VALU_DEP_2) | instskip(NEXT) | instid1(VALU_DEP_1)
	v_cmp_ge_f32_e64 s15, 0, v12
	v_cndmask_b32_e64 v9, v9, v10, s15
	s_delay_alu instid0(VALU_DEP_3) | instskip(NEXT) | instid1(VALU_DEP_1)
	v_cmp_lt_f32_e64 s15, 0, v13
	v_cndmask_b32_e64 v9, v9, v11, s15
	s_delay_alu instid0(VALU_DEP_1) | instskip(NEXT) | instid1(VALU_DEP_1)
	v_mul_f32_e32 v10, 0x37800000, v9
	v_cndmask_b32_e32 v9, v9, v10, vcc_lo
	v_cmp_class_f32_e64 vcc_lo, v5, 0x260
	s_delay_alu instid0(VALU_DEP_2) | instskip(NEXT) | instid1(VALU_DEP_1)
	v_cndmask_b32_e32 v5, v9, v5, vcc_lo
	v_mul_f32_e32 v9, v8, v5
.LBB35_91:                              ;   in Loop: Header=BB35_10 Depth=2
	s_or_b32 exec_lo, exec_lo, s70
                                        ; implicit-def: $vgpr5
                                        ; implicit-def: $vgpr8
	s_and_not1_saveexec_b32 s69, s69
	s_cbranch_execz .LBB35_83
.LBB35_92:                              ;   in Loop: Header=BB35_10 Depth=2
	v_div_scale_f32 v9, null, v5, v5, v8
	v_div_scale_f32 v12, vcc_lo, v8, v5, v8
	s_delay_alu instid0(VALU_DEP_2) | instskip(SKIP_2) | instid1(VALU_DEP_1)
	v_rcp_f32_e32 v10, v9
	s_waitcnt_depctr 0xfff
	v_fma_f32 v11, -v9, v10, 1.0
	v_fmac_f32_e32 v10, v11, v10
	s_delay_alu instid0(VALU_DEP_1) | instskip(NEXT) | instid1(VALU_DEP_1)
	v_mul_f32_e32 v11, v12, v10
	v_fma_f32 v13, -v9, v11, v12
	s_delay_alu instid0(VALU_DEP_1) | instskip(NEXT) | instid1(VALU_DEP_1)
	v_fmac_f32_e32 v11, v13, v10
	v_fma_f32 v9, -v9, v11, v12
	s_delay_alu instid0(VALU_DEP_1) | instskip(NEXT) | instid1(VALU_DEP_1)
	v_div_fmas_f32 v9, v9, v10, v11
	v_div_fixup_f32 v8, v9, v5, v8
	s_delay_alu instid0(VALU_DEP_1) | instskip(NEXT) | instid1(VALU_DEP_1)
	v_fma_f32 v8, v8, v8, 1.0
	v_mul_f32_e32 v9, 0x4f800000, v8
	v_cmp_gt_f32_e32 vcc_lo, 0xf800000, v8
	s_delay_alu instid0(VALU_DEP_2) | instskip(NEXT) | instid1(VALU_DEP_1)
	v_cndmask_b32_e32 v8, v8, v9, vcc_lo
	v_sqrt_f32_e32 v9, v8
	s_waitcnt_depctr 0xfff
	v_add_nc_u32_e32 v10, -1, v9
	v_add_nc_u32_e32 v11, 1, v9
	s_delay_alu instid0(VALU_DEP_2) | instskip(NEXT) | instid1(VALU_DEP_2)
	v_fma_f32 v12, -v10, v9, v8
	v_fma_f32 v13, -v11, v9, v8
	s_delay_alu instid0(VALU_DEP_2) | instskip(NEXT) | instid1(VALU_DEP_1)
	v_cmp_ge_f32_e64 s15, 0, v12
	v_cndmask_b32_e64 v9, v9, v10, s15
	s_delay_alu instid0(VALU_DEP_3) | instskip(NEXT) | instid1(VALU_DEP_1)
	v_cmp_lt_f32_e64 s15, 0, v13
	v_cndmask_b32_e64 v9, v9, v11, s15
	s_delay_alu instid0(VALU_DEP_1) | instskip(NEXT) | instid1(VALU_DEP_1)
	v_mul_f32_e32 v10, 0x37800000, v9
	v_cndmask_b32_e32 v9, v9, v10, vcc_lo
	v_cmp_class_f32_e64 vcc_lo, v8, 0x260
	s_delay_alu instid0(VALU_DEP_2) | instskip(NEXT) | instid1(VALU_DEP_1)
	v_cndmask_b32_e32 v8, v9, v8, vcc_lo
	v_mul_f32_e32 v9, v5, v8
	s_or_b32 exec_lo, exec_lo, s69
	s_delay_alu instid0(VALU_DEP_1) | instskip(NEXT) | instid1(VALU_DEP_1)
	v_cmp_class_f32_e64 s69, v9, 0x1f8
	s_and_saveexec_b32 s15, s69
	s_cbranch_execz .LBB35_8
.LBB35_93:                              ;   in Loop: Header=BB35_10 Depth=2
	v_cmp_lt_f32_e32 vcc_lo, v1, v9
	v_cndmask_b32_e32 v1, v1, v9, vcc_lo
	s_branch .LBB35_8
.LBB35_94:                              ;   in Loop: Header=BB35_10 Depth=2
	s_set_inst_prefetch_distance 0x2
	s_or_b32 exec_lo, exec_lo, s71
	s_and_saveexec_b32 s71, s70
	s_delay_alu instid0(SALU_CYCLE_1)
	s_xor_b32 s70, exec_lo, s71
	s_cbranch_execz .LBB35_96
; %bb.95:                               ;   in Loop: Header=BB35_10 Depth=2
	v_lshlrev_b64 v[13:14], 3, v[13:14]
	v_lshlrev_b64 v[15:16], 3, v[9:10]
	s_delay_alu instid0(VALU_DEP_2) | instskip(NEXT) | instid1(VALU_DEP_3)
	v_add_co_u32 v13, vcc_lo, s26, v13
	v_add_co_ci_u32_e32 v14, vcc_lo, s27, v14, vcc_lo
	s_delay_alu instid0(VALU_DEP_3) | instskip(NEXT) | instid1(VALU_DEP_4)
	v_add_co_u32 v15, vcc_lo, s36, v15
	v_add_co_ci_u32_e32 v16, vcc_lo, s37, v16, vcc_lo
	global_load_b64 v[13:14], v[13:14], off
	global_load_b64 v[15:16], v[15:16], off
	s_waitcnt vmcnt(0)
	v_mul_f32_e64 v5, v16, -v14
	s_delay_alu instid0(VALU_DEP_1) | instskip(NEXT) | instid1(VALU_DEP_1)
	v_dual_mul_f32 v8, v16, v13 :: v_dual_fmac_f32 v5, v13, v15
	v_dual_fmac_f32 v8, v14, v15 :: v_dual_add_f32 v29, v29, v5
	s_delay_alu instid0(VALU_DEP_1)
	v_add_f32_e32 v30, v30, v8
.LBB35_96:                              ;   in Loop: Header=BB35_10 Depth=2
	s_or_b32 exec_lo, exec_lo, s70
.LBB35_97:                              ;   in Loop: Header=BB35_10 Depth=2
	s_delay_alu instid0(SALU_CYCLE_1)
	s_or_b32 exec_lo, exec_lo, s69
                                        ; implicit-def: $vgpr15
                                        ; implicit-def: $vgpr13
                                        ; implicit-def: $vgpr31
	s_and_not1_saveexec_b32 s15, s15
	s_cbranch_execz .LBB35_79
.LBB35_98:                              ;   in Loop: Header=BB35_10 Depth=2
	s_mov_b32 s70, 0
                                        ; implicit-def: $sgpr69
                                        ; implicit-def: $sgpr72
                                        ; implicit-def: $sgpr71
	s_set_inst_prefetch_distance 0x1
	s_branch .LBB35_100
	.p2align	6
.LBB35_99:                              ;   in Loop: Header=BB35_100 Depth=3
	s_or_b32 exec_lo, exec_lo, s73
	s_delay_alu instid0(SALU_CYCLE_1) | instskip(NEXT) | instid1(SALU_CYCLE_1)
	s_and_b32 s73, exec_lo, s72
	s_or_b32 s70, s73, s70
	s_and_not1_b32 s69, s69, exec_lo
	s_and_b32 s73, s71, exec_lo
	s_delay_alu instid0(SALU_CYCLE_1)
	s_or_b32 s69, s69, s73
	s_and_not1_b32 exec_lo, exec_lo, s70
	s_cbranch_execz .LBB35_102
.LBB35_100:                             ;   Parent Loop BB35_3 Depth=1
                                        ;     Parent Loop BB35_10 Depth=2
                                        ; =>    This Inner Loop Header: Depth=3
	v_add_nc_u32_e32 v16, v13, v15
	s_or_b32 s71, s71, exec_lo
	s_or_b32 s72, s72, exec_lo
	s_mov_b32 s73, exec_lo
	s_delay_alu instid0(VALU_DEP_1) | instskip(NEXT) | instid1(VALU_DEP_1)
	v_ashrrev_i32_e32 v17, 31, v16
	v_lshlrev_b64 v[18:19], 2, v[16:17]
	s_delay_alu instid0(VALU_DEP_1) | instskip(NEXT) | instid1(VALU_DEP_2)
	v_add_co_u32 v18, vcc_lo, s48, v18
	v_add_co_ci_u32_e32 v19, vcc_lo, s49, v19, vcc_lo
	global_load_b32 v5, v[18:19], off
	s_waitcnt vmcnt(0)
	v_subrev_nc_u32_e32 v5, s62, v5
	s_delay_alu instid0(VALU_DEP_1)
	v_cmpx_ne_u32_e64 v5, v3
	s_cbranch_execz .LBB35_99
; %bb.101:                              ;   in Loop: Header=BB35_100 Depth=3
	v_add_nc_u32_e32 v15, 1, v15
	s_and_not1_b32 s72, s72, exec_lo
	s_and_not1_b32 s71, s71, exec_lo
	s_delay_alu instid0(VALU_DEP_1) | instskip(SKIP_1) | instid1(SALU_CYCLE_1)
	v_cmp_ge_i32_e32 vcc_lo, v15, v31
	s_and_b32 s74, vcc_lo, exec_lo
	s_or_b32 s72, s72, s74
	s_branch .LBB35_99
.LBB35_102:                             ;   in Loop: Header=BB35_10 Depth=2
	s_set_inst_prefetch_distance 0x2
	s_or_b32 exec_lo, exec_lo, s70
	s_and_saveexec_b32 s70, s69
	s_delay_alu instid0(SALU_CYCLE_1)
	s_xor_b32 s69, exec_lo, s70
	s_cbranch_execz .LBB35_104
; %bb.103:                              ;   in Loop: Header=BB35_10 Depth=2
	v_lshlrev_b64 v[13:14], 3, v[16:17]
	s_delay_alu instid0(VALU_DEP_1) | instskip(NEXT) | instid1(VALU_DEP_2)
	v_add_co_u32 v13, vcc_lo, s50, v13
	v_add_co_ci_u32_e32 v14, vcc_lo, s51, v14, vcc_lo
	global_load_b64 v[13:14], v[13:14], off
	s_waitcnt vmcnt(0)
	v_dual_add_f32 v29, v29, v13 :: v_dual_add_f32 v30, v30, v14
.LBB35_104:                             ;   in Loop: Header=BB35_10 Depth=2
	s_or_b32 exec_lo, exec_lo, s69
	s_delay_alu instid0(SALU_CYCLE_1) | instskip(NEXT) | instid1(SALU_CYCLE_1)
	s_or_b32 exec_lo, exec_lo, s15
	s_mov_b32 s15, exec_lo
	v_cmpx_eq_u32_e64 v3, v9
	s_cbranch_execnz .LBB35_80
	s_branch .LBB35_81
.LBB35_105:                             ;   in Loop: Header=BB35_10 Depth=2
	v_mov_b32_e32 v16, 0
	s_mov_b32 s73, exec_lo
	v_cmpx_neq_f32_e32 0, v17
	s_cbranch_execz .LBB35_107
; %bb.106:                              ;   in Loop: Header=BB35_10 Depth=2
	v_div_scale_f32 v16, null, v14, v14, v8
	v_div_scale_f32 v19, vcc_lo, v8, v14, v8
	s_delay_alu instid0(VALU_DEP_2) | instskip(SKIP_2) | instid1(VALU_DEP_1)
	v_rcp_f32_e32 v17, v16
	s_waitcnt_depctr 0xfff
	v_fma_f32 v18, -v16, v17, 1.0
	v_fmac_f32_e32 v17, v18, v17
	s_delay_alu instid0(VALU_DEP_1) | instskip(NEXT) | instid1(VALU_DEP_1)
	v_mul_f32_e32 v18, v19, v17
	v_fma_f32 v32, -v16, v18, v19
	s_delay_alu instid0(VALU_DEP_1) | instskip(NEXT) | instid1(VALU_DEP_1)
	v_fmac_f32_e32 v18, v32, v17
	v_fma_f32 v16, -v16, v18, v19
	s_delay_alu instid0(VALU_DEP_1) | instskip(NEXT) | instid1(VALU_DEP_1)
	v_div_fmas_f32 v16, v16, v17, v18
	v_div_fixup_f32 v8, v16, v14, v8
	s_delay_alu instid0(VALU_DEP_1) | instskip(NEXT) | instid1(VALU_DEP_1)
	v_fma_f32 v8, v8, v8, 1.0
	v_mul_f32_e32 v16, 0x4f800000, v8
	v_cmp_gt_f32_e32 vcc_lo, 0xf800000, v8
	s_delay_alu instid0(VALU_DEP_2) | instskip(NEXT) | instid1(VALU_DEP_1)
	v_cndmask_b32_e32 v8, v8, v16, vcc_lo
	v_sqrt_f32_e32 v16, v8
	s_waitcnt_depctr 0xfff
	v_add_nc_u32_e32 v17, -1, v16
	v_add_nc_u32_e32 v18, 1, v16
	s_delay_alu instid0(VALU_DEP_2) | instskip(NEXT) | instid1(VALU_DEP_2)
	v_fma_f32 v19, -v17, v16, v8
	v_fma_f32 v32, -v18, v16, v8
	s_delay_alu instid0(VALU_DEP_2) | instskip(NEXT) | instid1(VALU_DEP_1)
	v_cmp_ge_f32_e64 s15, 0, v19
	v_cndmask_b32_e64 v16, v16, v17, s15
	s_delay_alu instid0(VALU_DEP_3) | instskip(NEXT) | instid1(VALU_DEP_1)
	v_cmp_lt_f32_e64 s15, 0, v32
	v_cndmask_b32_e64 v16, v16, v18, s15
	s_delay_alu instid0(VALU_DEP_1) | instskip(NEXT) | instid1(VALU_DEP_1)
	v_mul_f32_e32 v17, 0x37800000, v16
	v_cndmask_b32_e32 v16, v16, v17, vcc_lo
	v_cmp_class_f32_e64 vcc_lo, v8, 0x260
	s_delay_alu instid0(VALU_DEP_2) | instskip(NEXT) | instid1(VALU_DEP_1)
	v_cndmask_b32_e32 v8, v16, v8, vcc_lo
	v_mul_f32_e32 v16, v14, v8
.LBB35_107:                             ;   in Loop: Header=BB35_10 Depth=2
	s_or_b32 exec_lo, exec_lo, s73
                                        ; implicit-def: $vgpr8
                                        ; implicit-def: $vgpr14
	s_and_not1_saveexec_b32 s72, s72
	s_cbranch_execz .LBB35_41
.LBB35_108:                             ;   in Loop: Header=BB35_10 Depth=2
	v_div_scale_f32 v16, null, v8, v8, v14
	v_div_scale_f32 v19, vcc_lo, v14, v8, v14
	s_delay_alu instid0(VALU_DEP_2) | instskip(SKIP_2) | instid1(VALU_DEP_1)
	v_rcp_f32_e32 v17, v16
	s_waitcnt_depctr 0xfff
	v_fma_f32 v18, -v16, v17, 1.0
	v_fmac_f32_e32 v17, v18, v17
	s_delay_alu instid0(VALU_DEP_1) | instskip(NEXT) | instid1(VALU_DEP_1)
	v_mul_f32_e32 v18, v19, v17
	v_fma_f32 v32, -v16, v18, v19
	s_delay_alu instid0(VALU_DEP_1) | instskip(NEXT) | instid1(VALU_DEP_1)
	v_fmac_f32_e32 v18, v32, v17
	v_fma_f32 v16, -v16, v18, v19
	s_delay_alu instid0(VALU_DEP_1) | instskip(NEXT) | instid1(VALU_DEP_1)
	v_div_fmas_f32 v16, v16, v17, v18
	v_div_fixup_f32 v14, v16, v8, v14
	s_delay_alu instid0(VALU_DEP_1) | instskip(NEXT) | instid1(VALU_DEP_1)
	v_fma_f32 v14, v14, v14, 1.0
	v_mul_f32_e32 v16, 0x4f800000, v14
	v_cmp_gt_f32_e32 vcc_lo, 0xf800000, v14
	s_delay_alu instid0(VALU_DEP_2) | instskip(NEXT) | instid1(VALU_DEP_1)
	v_cndmask_b32_e32 v14, v14, v16, vcc_lo
	v_sqrt_f32_e32 v16, v14
	s_waitcnt_depctr 0xfff
	v_add_nc_u32_e32 v17, -1, v16
	v_add_nc_u32_e32 v18, 1, v16
	s_delay_alu instid0(VALU_DEP_2) | instskip(NEXT) | instid1(VALU_DEP_2)
	v_fma_f32 v19, -v17, v16, v14
	v_fma_f32 v32, -v18, v16, v14
	s_delay_alu instid0(VALU_DEP_2) | instskip(NEXT) | instid1(VALU_DEP_1)
	v_cmp_ge_f32_e64 s15, 0, v19
	v_cndmask_b32_e64 v16, v16, v17, s15
	s_delay_alu instid0(VALU_DEP_3) | instskip(NEXT) | instid1(VALU_DEP_1)
	v_cmp_lt_f32_e64 s15, 0, v32
	v_cndmask_b32_e64 v16, v16, v18, s15
	s_delay_alu instid0(VALU_DEP_1) | instskip(NEXT) | instid1(VALU_DEP_1)
	v_mul_f32_e32 v17, 0x37800000, v16
	v_cndmask_b32_e32 v16, v16, v17, vcc_lo
	v_cmp_class_f32_e64 vcc_lo, v14, 0x260
	s_delay_alu instid0(VALU_DEP_2) | instskip(NEXT) | instid1(VALU_DEP_1)
	v_cndmask_b32_e32 v14, v16, v14, vcc_lo
	v_mul_f32_e32 v16, v8, v14
	s_or_b32 exec_lo, exec_lo, s72
	s_delay_alu instid0(VALU_DEP_1) | instskip(NEXT) | instid1(VALU_DEP_1)
	v_cmp_class_f32_e64 s72, v16, 0x1f8
	s_and_saveexec_b32 s15, s72
	s_cbranch_execnz .LBB35_42
	s_branch .LBB35_43
.LBB35_109:                             ;   in Loop: Header=BB35_10 Depth=2
	v_mov_b32_e32 v16, 0
	s_mov_b32 s74, exec_lo
	v_cmpx_neq_f32_e32 0, v17
	s_cbranch_execz .LBB35_111
; %bb.110:                              ;   in Loop: Header=BB35_10 Depth=2
	v_div_scale_f32 v16, null, v14, v14, v8
	v_div_scale_f32 v19, vcc_lo, v8, v14, v8
	s_delay_alu instid0(VALU_DEP_2) | instskip(SKIP_2) | instid1(VALU_DEP_1)
	v_rcp_f32_e32 v17, v16
	s_waitcnt_depctr 0xfff
	v_fma_f32 v18, -v16, v17, 1.0
	v_fmac_f32_e32 v17, v18, v17
	s_delay_alu instid0(VALU_DEP_1) | instskip(NEXT) | instid1(VALU_DEP_1)
	v_mul_f32_e32 v18, v19, v17
	v_fma_f32 v32, -v16, v18, v19
	s_delay_alu instid0(VALU_DEP_1) | instskip(NEXT) | instid1(VALU_DEP_1)
	v_fmac_f32_e32 v18, v32, v17
	v_fma_f32 v16, -v16, v18, v19
	s_delay_alu instid0(VALU_DEP_1) | instskip(NEXT) | instid1(VALU_DEP_1)
	v_div_fmas_f32 v16, v16, v17, v18
	v_div_fixup_f32 v8, v16, v14, v8
	s_delay_alu instid0(VALU_DEP_1) | instskip(NEXT) | instid1(VALU_DEP_1)
	v_fma_f32 v8, v8, v8, 1.0
	v_mul_f32_e32 v16, 0x4f800000, v8
	v_cmp_gt_f32_e32 vcc_lo, 0xf800000, v8
	s_delay_alu instid0(VALU_DEP_2) | instskip(NEXT) | instid1(VALU_DEP_1)
	v_cndmask_b32_e32 v8, v8, v16, vcc_lo
	v_sqrt_f32_e32 v16, v8
	s_waitcnt_depctr 0xfff
	v_add_nc_u32_e32 v17, -1, v16
	v_add_nc_u32_e32 v18, 1, v16
	s_delay_alu instid0(VALU_DEP_2) | instskip(NEXT) | instid1(VALU_DEP_2)
	v_fma_f32 v19, -v17, v16, v8
	v_fma_f32 v32, -v18, v16, v8
	s_delay_alu instid0(VALU_DEP_2) | instskip(NEXT) | instid1(VALU_DEP_1)
	v_cmp_ge_f32_e64 s15, 0, v19
	v_cndmask_b32_e64 v16, v16, v17, s15
	s_delay_alu instid0(VALU_DEP_3) | instskip(NEXT) | instid1(VALU_DEP_1)
	v_cmp_lt_f32_e64 s15, 0, v32
	v_cndmask_b32_e64 v16, v16, v18, s15
	s_delay_alu instid0(VALU_DEP_1) | instskip(NEXT) | instid1(VALU_DEP_1)
	v_mul_f32_e32 v17, 0x37800000, v16
	v_cndmask_b32_e32 v16, v16, v17, vcc_lo
	v_cmp_class_f32_e64 vcc_lo, v8, 0x260
	s_delay_alu instid0(VALU_DEP_2) | instskip(NEXT) | instid1(VALU_DEP_1)
	v_cndmask_b32_e32 v8, v16, v8, vcc_lo
	v_mul_f32_e32 v16, v14, v8
.LBB35_111:                             ;   in Loop: Header=BB35_10 Depth=2
	s_or_b32 exec_lo, exec_lo, s74
                                        ; implicit-def: $vgpr8
                                        ; implicit-def: $vgpr14
	s_and_not1_saveexec_b32 s73, s73
	s_cbranch_execz .LBB35_71
.LBB35_112:                             ;   in Loop: Header=BB35_10 Depth=2
	v_div_scale_f32 v16, null, v8, v8, v14
	v_div_scale_f32 v19, vcc_lo, v14, v8, v14
	s_delay_alu instid0(VALU_DEP_2) | instskip(SKIP_2) | instid1(VALU_DEP_1)
	v_rcp_f32_e32 v17, v16
	s_waitcnt_depctr 0xfff
	v_fma_f32 v18, -v16, v17, 1.0
	v_fmac_f32_e32 v17, v18, v17
	s_delay_alu instid0(VALU_DEP_1) | instskip(NEXT) | instid1(VALU_DEP_1)
	v_mul_f32_e32 v18, v19, v17
	v_fma_f32 v32, -v16, v18, v19
	s_delay_alu instid0(VALU_DEP_1) | instskip(NEXT) | instid1(VALU_DEP_1)
	v_fmac_f32_e32 v18, v32, v17
	v_fma_f32 v16, -v16, v18, v19
	s_delay_alu instid0(VALU_DEP_1) | instskip(NEXT) | instid1(VALU_DEP_1)
	v_div_fmas_f32 v16, v16, v17, v18
	v_div_fixup_f32 v14, v16, v8, v14
	s_delay_alu instid0(VALU_DEP_1) | instskip(NEXT) | instid1(VALU_DEP_1)
	v_fma_f32 v14, v14, v14, 1.0
	v_mul_f32_e32 v16, 0x4f800000, v14
	v_cmp_gt_f32_e32 vcc_lo, 0xf800000, v14
	s_delay_alu instid0(VALU_DEP_2) | instskip(NEXT) | instid1(VALU_DEP_1)
	v_cndmask_b32_e32 v14, v14, v16, vcc_lo
	v_sqrt_f32_e32 v16, v14
	s_waitcnt_depctr 0xfff
	v_add_nc_u32_e32 v17, -1, v16
	v_add_nc_u32_e32 v18, 1, v16
	s_delay_alu instid0(VALU_DEP_2) | instskip(NEXT) | instid1(VALU_DEP_2)
	v_fma_f32 v19, -v17, v16, v14
	v_fma_f32 v32, -v18, v16, v14
	s_delay_alu instid0(VALU_DEP_2) | instskip(NEXT) | instid1(VALU_DEP_1)
	v_cmp_ge_f32_e64 s15, 0, v19
	v_cndmask_b32_e64 v16, v16, v17, s15
	s_delay_alu instid0(VALU_DEP_3) | instskip(NEXT) | instid1(VALU_DEP_1)
	v_cmp_lt_f32_e64 s15, 0, v32
	v_cndmask_b32_e64 v16, v16, v18, s15
	s_delay_alu instid0(VALU_DEP_1) | instskip(NEXT) | instid1(VALU_DEP_1)
	v_mul_f32_e32 v17, 0x37800000, v16
	v_cndmask_b32_e32 v16, v16, v17, vcc_lo
	v_cmp_class_f32_e64 vcc_lo, v14, 0x260
	s_delay_alu instid0(VALU_DEP_2) | instskip(NEXT) | instid1(VALU_DEP_1)
	v_cndmask_b32_e32 v14, v16, v14, vcc_lo
	v_mul_f32_e32 v16, v8, v14
	s_or_b32 exec_lo, exec_lo, s73
	s_delay_alu instid0(VALU_DEP_1) | instskip(NEXT) | instid1(VALU_DEP_1)
	v_cmp_class_f32_e64 s73, v16, 0x1f8
	s_and_saveexec_b32 s15, s73
	s_cbranch_execnz .LBB35_72
	s_branch .LBB35_73
.LBB35_113:                             ;   in Loop: Header=BB35_10 Depth=2
	v_mov_b32_e32 v16, 0
	s_mov_b32 s75, exec_lo
	v_cmpx_neq_f32_e32 0, v17
	s_cbranch_execz .LBB35_115
; %bb.114:                              ;   in Loop: Header=BB35_10 Depth=2
	v_div_scale_f32 v16, null, v14, v14, v8
	v_div_scale_f32 v19, vcc_lo, v8, v14, v8
	s_delay_alu instid0(VALU_DEP_2) | instskip(SKIP_2) | instid1(VALU_DEP_1)
	v_rcp_f32_e32 v17, v16
	s_waitcnt_depctr 0xfff
	v_fma_f32 v18, -v16, v17, 1.0
	v_fmac_f32_e32 v17, v18, v17
	s_delay_alu instid0(VALU_DEP_1) | instskip(NEXT) | instid1(VALU_DEP_1)
	v_mul_f32_e32 v18, v19, v17
	v_fma_f32 v32, -v16, v18, v19
	s_delay_alu instid0(VALU_DEP_1) | instskip(NEXT) | instid1(VALU_DEP_1)
	v_fmac_f32_e32 v18, v32, v17
	v_fma_f32 v16, -v16, v18, v19
	s_delay_alu instid0(VALU_DEP_1) | instskip(NEXT) | instid1(VALU_DEP_1)
	v_div_fmas_f32 v16, v16, v17, v18
	v_div_fixup_f32 v8, v16, v14, v8
	s_delay_alu instid0(VALU_DEP_1) | instskip(NEXT) | instid1(VALU_DEP_1)
	v_fma_f32 v8, v8, v8, 1.0
	v_mul_f32_e32 v16, 0x4f800000, v8
	v_cmp_gt_f32_e32 vcc_lo, 0xf800000, v8
	s_delay_alu instid0(VALU_DEP_2) | instskip(NEXT) | instid1(VALU_DEP_1)
	v_cndmask_b32_e32 v8, v8, v16, vcc_lo
	v_sqrt_f32_e32 v16, v8
	s_waitcnt_depctr 0xfff
	v_add_nc_u32_e32 v17, -1, v16
	v_add_nc_u32_e32 v18, 1, v16
	s_delay_alu instid0(VALU_DEP_2) | instskip(NEXT) | instid1(VALU_DEP_2)
	v_fma_f32 v19, -v17, v16, v8
	v_fma_f32 v32, -v18, v16, v8
	s_delay_alu instid0(VALU_DEP_2) | instskip(NEXT) | instid1(VALU_DEP_1)
	v_cmp_ge_f32_e64 s15, 0, v19
	v_cndmask_b32_e64 v16, v16, v17, s15
	s_delay_alu instid0(VALU_DEP_3) | instskip(NEXT) | instid1(VALU_DEP_1)
	v_cmp_lt_f32_e64 s15, 0, v32
	v_cndmask_b32_e64 v16, v16, v18, s15
	s_delay_alu instid0(VALU_DEP_1) | instskip(NEXT) | instid1(VALU_DEP_1)
	v_mul_f32_e32 v17, 0x37800000, v16
	v_cndmask_b32_e32 v16, v16, v17, vcc_lo
	v_cmp_class_f32_e64 vcc_lo, v8, 0x260
	s_delay_alu instid0(VALU_DEP_2) | instskip(NEXT) | instid1(VALU_DEP_1)
	v_cndmask_b32_e32 v8, v16, v8, vcc_lo
	v_mul_f32_e32 v16, v14, v8
.LBB35_115:                             ;   in Loop: Header=BB35_10 Depth=2
	s_or_b32 exec_lo, exec_lo, s75
                                        ; implicit-def: $vgpr8
                                        ; implicit-def: $vgpr14
	s_and_not1_saveexec_b32 s74, s74
	s_cbranch_execz .LBB35_55
.LBB35_116:                             ;   in Loop: Header=BB35_10 Depth=2
	v_div_scale_f32 v16, null, v8, v8, v14
	v_div_scale_f32 v19, vcc_lo, v14, v8, v14
	s_delay_alu instid0(VALU_DEP_2) | instskip(SKIP_2) | instid1(VALU_DEP_1)
	v_rcp_f32_e32 v17, v16
	s_waitcnt_depctr 0xfff
	v_fma_f32 v18, -v16, v17, 1.0
	v_fmac_f32_e32 v17, v18, v17
	s_delay_alu instid0(VALU_DEP_1) | instskip(NEXT) | instid1(VALU_DEP_1)
	v_mul_f32_e32 v18, v19, v17
	v_fma_f32 v32, -v16, v18, v19
	s_delay_alu instid0(VALU_DEP_1) | instskip(NEXT) | instid1(VALU_DEP_1)
	v_fmac_f32_e32 v18, v32, v17
	v_fma_f32 v16, -v16, v18, v19
	s_delay_alu instid0(VALU_DEP_1) | instskip(NEXT) | instid1(VALU_DEP_1)
	v_div_fmas_f32 v16, v16, v17, v18
	v_div_fixup_f32 v14, v16, v8, v14
	s_delay_alu instid0(VALU_DEP_1) | instskip(NEXT) | instid1(VALU_DEP_1)
	v_fma_f32 v14, v14, v14, 1.0
	v_mul_f32_e32 v16, 0x4f800000, v14
	v_cmp_gt_f32_e32 vcc_lo, 0xf800000, v14
	s_delay_alu instid0(VALU_DEP_2) | instskip(NEXT) | instid1(VALU_DEP_1)
	v_cndmask_b32_e32 v14, v14, v16, vcc_lo
	v_sqrt_f32_e32 v16, v14
	s_waitcnt_depctr 0xfff
	v_add_nc_u32_e32 v17, -1, v16
	v_add_nc_u32_e32 v18, 1, v16
	s_delay_alu instid0(VALU_DEP_2) | instskip(NEXT) | instid1(VALU_DEP_2)
	v_fma_f32 v19, -v17, v16, v14
	v_fma_f32 v32, -v18, v16, v14
	s_delay_alu instid0(VALU_DEP_2) | instskip(NEXT) | instid1(VALU_DEP_1)
	v_cmp_ge_f32_e64 s15, 0, v19
	v_cndmask_b32_e64 v16, v16, v17, s15
	s_delay_alu instid0(VALU_DEP_3) | instskip(NEXT) | instid1(VALU_DEP_1)
	v_cmp_lt_f32_e64 s15, 0, v32
	v_cndmask_b32_e64 v16, v16, v18, s15
	s_delay_alu instid0(VALU_DEP_1) | instskip(NEXT) | instid1(VALU_DEP_1)
	v_mul_f32_e32 v17, 0x37800000, v16
	v_cndmask_b32_e32 v16, v16, v17, vcc_lo
	v_cmp_class_f32_e64 vcc_lo, v14, 0x260
	s_delay_alu instid0(VALU_DEP_2) | instskip(NEXT) | instid1(VALU_DEP_1)
	v_cndmask_b32_e32 v14, v16, v14, vcc_lo
	v_mul_f32_e32 v16, v8, v14
	s_or_b32 exec_lo, exec_lo, s74
	s_delay_alu instid0(VALU_DEP_1) | instskip(NEXT) | instid1(VALU_DEP_1)
	v_cmp_class_f32_e64 s74, v16, 0x1f8
	s_and_saveexec_b32 s15, s74
	s_cbranch_execnz .LBB35_56
	s_branch .LBB35_57
.LBB35_117:                             ;   in Loop: Header=BB35_3 Depth=1
	s_or_b32 exec_lo, exec_lo, s68
	s_delay_alu instid0(SALU_CYCLE_1) | instskip(NEXT) | instid1(SALU_CYCLE_1)
	s_or_b32 exec_lo, exec_lo, s67
	s_and_not1_b32 vcc_lo, exec_lo, s56
	s_cbranch_vccnz .LBB35_5
.LBB35_118:                             ;   in Loop: Header=BB35_3 Depth=1
	ds_store_b32 v20, v2
	s_waitcnt lgkmcnt(0)
	s_waitcnt_vscnt null, 0x0
	s_barrier
	buffer_gl0_inv
	s_and_saveexec_b32 s15, s2
	s_cbranch_execz .LBB35_120
; %bb.119:                              ;   in Loop: Header=BB35_3 Depth=1
	ds_load_2addr_stride64_b32 v[7:8], v20 offset1:8
	s_waitcnt lgkmcnt(0)
	v_cmp_lt_f32_e32 vcc_lo, v7, v8
	v_cndmask_b32_e32 v2, v7, v8, vcc_lo
	ds_store_b32 v20, v2
.LBB35_120:                             ;   in Loop: Header=BB35_3 Depth=1
	s_or_b32 exec_lo, exec_lo, s15
	s_waitcnt lgkmcnt(0)
	s_barrier
	buffer_gl0_inv
	s_and_saveexec_b32 s15, s3
	s_cbranch_execz .LBB35_122
; %bb.121:                              ;   in Loop: Header=BB35_3 Depth=1
	ds_load_2addr_stride64_b32 v[7:8], v20 offset1:4
	s_waitcnt lgkmcnt(0)
	v_cmp_lt_f32_e32 vcc_lo, v7, v8
	v_cndmask_b32_e32 v2, v7, v8, vcc_lo
	ds_store_b32 v20, v2
.LBB35_122:                             ;   in Loop: Header=BB35_3 Depth=1
	s_or_b32 exec_lo, exec_lo, s15
	s_waitcnt lgkmcnt(0)
	s_barrier
	buffer_gl0_inv
	s_and_saveexec_b32 s15, s4
	s_cbranch_execz .LBB35_124
; %bb.123:                              ;   in Loop: Header=BB35_3 Depth=1
	ds_load_2addr_stride64_b32 v[7:8], v20 offset1:2
	s_waitcnt lgkmcnt(0)
	v_cmp_lt_f32_e32 vcc_lo, v7, v8
	v_cndmask_b32_e32 v2, v7, v8, vcc_lo
	ds_store_b32 v20, v2
.LBB35_124:                             ;   in Loop: Header=BB35_3 Depth=1
	s_or_b32 exec_lo, exec_lo, s15
	s_waitcnt lgkmcnt(0)
	s_barrier
	buffer_gl0_inv
	s_and_saveexec_b32 s15, s5
	s_cbranch_execz .LBB35_126
; %bb.125:                              ;   in Loop: Header=BB35_3 Depth=1
	ds_load_2addr_stride64_b32 v[7:8], v20 offset1:1
	s_waitcnt lgkmcnt(0)
	v_cmp_lt_f32_e32 vcc_lo, v7, v8
	v_cndmask_b32_e32 v2, v7, v8, vcc_lo
	ds_store_b32 v20, v2
.LBB35_126:                             ;   in Loop: Header=BB35_3 Depth=1
	s_or_b32 exec_lo, exec_lo, s15
	s_waitcnt lgkmcnt(0)
	s_barrier
	buffer_gl0_inv
	s_and_saveexec_b32 s15, s6
	s_cbranch_execz .LBB35_128
; %bb.127:                              ;   in Loop: Header=BB35_3 Depth=1
	ds_load_2addr_b32 v[7:8], v20 offset1:32
	s_waitcnt lgkmcnt(0)
	v_cmp_lt_f32_e32 vcc_lo, v7, v8
	v_cndmask_b32_e32 v2, v7, v8, vcc_lo
	ds_store_b32 v20, v2
.LBB35_128:                             ;   in Loop: Header=BB35_3 Depth=1
	s_or_b32 exec_lo, exec_lo, s15
	s_waitcnt lgkmcnt(0)
	s_barrier
	buffer_gl0_inv
	s_and_saveexec_b32 s15, s7
	s_cbranch_execz .LBB35_130
; %bb.129:                              ;   in Loop: Header=BB35_3 Depth=1
	ds_load_2addr_b32 v[7:8], v20 offset1:16
	s_waitcnt lgkmcnt(0)
	v_cmp_lt_f32_e32 vcc_lo, v7, v8
	v_cndmask_b32_e32 v2, v7, v8, vcc_lo
	ds_store_b32 v20, v2
.LBB35_130:                             ;   in Loop: Header=BB35_3 Depth=1
	s_or_b32 exec_lo, exec_lo, s15
	s_waitcnt lgkmcnt(0)
	;; [unrolled: 13-line block ×5, first 2 shown]
	s_barrier
	buffer_gl0_inv
	s_and_saveexec_b32 s15, s11
	s_cbranch_execz .LBB35_138
; %bb.137:                              ;   in Loop: Header=BB35_3 Depth=1
	ds_load_b64 v[7:8], v21
	s_waitcnt lgkmcnt(0)
	v_cmp_lt_f32_e32 vcc_lo, v7, v8
	v_cndmask_b32_e32 v2, v7, v8, vcc_lo
	ds_store_b32 v21, v2
.LBB35_138:                             ;   in Loop: Header=BB35_3 Depth=1
	s_or_b32 exec_lo, exec_lo, s15
	s_waitcnt lgkmcnt(0)
	s_barrier
	buffer_gl0_inv
	ds_load_b32 v2, v21
	s_load_b32 s15, s[52:53], 0x0
	s_waitcnt lgkmcnt(0)
	v_div_scale_f32 v5, null, s15, s15, v2
	s_delay_alu instid0(VALU_DEP_1) | instskip(SKIP_2) | instid1(VALU_DEP_1)
	v_rcp_f32_e32 v7, v5
	s_waitcnt_depctr 0xfff
	v_fma_f32 v8, -v5, v7, 1.0
	v_fmac_f32_e32 v7, v8, v7
	v_div_scale_f32 v8, vcc_lo, v2, s15, v2
	s_delay_alu instid0(VALU_DEP_1) | instskip(NEXT) | instid1(VALU_DEP_1)
	v_mul_f32_e32 v9, v8, v7
	v_fma_f32 v10, -v5, v9, v8
	s_delay_alu instid0(VALU_DEP_1) | instskip(NEXT) | instid1(VALU_DEP_1)
	v_fmac_f32_e32 v9, v10, v7
	v_fma_f32 v5, -v5, v9, v8
	s_delay_alu instid0(VALU_DEP_1) | instskip(NEXT) | instid1(VALU_DEP_1)
	v_div_fmas_f32 v5, v5, v7, v9
	v_div_fixup_f32 v2, v5, s15, v2
	s_and_not1_b32 vcc_lo, exec_lo, s33
	s_cbranch_vccnz .LBB35_6
.LBB35_139:                             ;   in Loop: Header=BB35_3 Depth=1
	ds_store_b32 v20, v1
	s_waitcnt lgkmcnt(0)
	s_waitcnt_vscnt null, 0x0
	s_barrier
	buffer_gl0_inv
	s_and_saveexec_b32 s15, s2
	s_cbranch_execz .LBB35_141
; %bb.140:                              ;   in Loop: Header=BB35_3 Depth=1
	ds_load_2addr_stride64_b32 v[7:8], v20 offset1:8
	s_waitcnt lgkmcnt(0)
	v_cmp_lt_f32_e32 vcc_lo, v7, v8
	v_cndmask_b32_e32 v1, v7, v8, vcc_lo
	ds_store_b32 v20, v1
.LBB35_141:                             ;   in Loop: Header=BB35_3 Depth=1
	s_or_b32 exec_lo, exec_lo, s15
	s_waitcnt lgkmcnt(0)
	s_barrier
	buffer_gl0_inv
	s_and_saveexec_b32 s15, s3
	s_cbranch_execz .LBB35_143
; %bb.142:                              ;   in Loop: Header=BB35_3 Depth=1
	ds_load_2addr_stride64_b32 v[7:8], v20 offset1:4
	s_waitcnt lgkmcnt(0)
	v_cmp_lt_f32_e32 vcc_lo, v7, v8
	v_cndmask_b32_e32 v1, v7, v8, vcc_lo
	ds_store_b32 v20, v1
.LBB35_143:                             ;   in Loop: Header=BB35_3 Depth=1
	s_or_b32 exec_lo, exec_lo, s15
	s_waitcnt lgkmcnt(0)
	;; [unrolled: 13-line block ×4, first 2 shown]
	s_barrier
	buffer_gl0_inv
	s_and_saveexec_b32 s15, s6
	s_cbranch_execz .LBB35_149
; %bb.148:                              ;   in Loop: Header=BB35_3 Depth=1
	ds_load_2addr_b32 v[7:8], v20 offset1:32
	s_waitcnt lgkmcnt(0)
	v_cmp_lt_f32_e32 vcc_lo, v7, v8
	v_cndmask_b32_e32 v1, v7, v8, vcc_lo
	ds_store_b32 v20, v1
.LBB35_149:                             ;   in Loop: Header=BB35_3 Depth=1
	s_or_b32 exec_lo, exec_lo, s15
	s_waitcnt lgkmcnt(0)
	s_barrier
	buffer_gl0_inv
	s_and_saveexec_b32 s15, s7
	s_cbranch_execz .LBB35_151
; %bb.150:                              ;   in Loop: Header=BB35_3 Depth=1
	ds_load_2addr_b32 v[7:8], v20 offset1:16
	s_waitcnt lgkmcnt(0)
	v_cmp_lt_f32_e32 vcc_lo, v7, v8
	v_cndmask_b32_e32 v1, v7, v8, vcc_lo
	ds_store_b32 v20, v1
.LBB35_151:                             ;   in Loop: Header=BB35_3 Depth=1
	s_or_b32 exec_lo, exec_lo, s15
	s_waitcnt lgkmcnt(0)
	;; [unrolled: 13-line block ×5, first 2 shown]
	s_barrier
	buffer_gl0_inv
	s_and_saveexec_b32 s15, s11
	s_cbranch_execz .LBB35_159
; %bb.158:                              ;   in Loop: Header=BB35_3 Depth=1
	ds_load_b64 v[7:8], v21
	s_waitcnt lgkmcnt(0)
	v_cmp_lt_f32_e32 vcc_lo, v7, v8
	v_cndmask_b32_e32 v1, v7, v8, vcc_lo
	ds_store_b32 v21, v1
.LBB35_159:                             ;   in Loop: Header=BB35_3 Depth=1
	s_or_b32 exec_lo, exec_lo, s15
	s_waitcnt lgkmcnt(0)
	s_barrier
	buffer_gl0_inv
	ds_load_b32 v1, v21
	s_load_b32 s15, s[52:53], 0x0
	s_waitcnt lgkmcnt(0)
	v_div_scale_f32 v5, null, s15, s15, v1
	s_delay_alu instid0(VALU_DEP_1) | instskip(SKIP_2) | instid1(VALU_DEP_1)
	v_rcp_f32_e32 v7, v5
	s_waitcnt_depctr 0xfff
	v_fma_f32 v8, -v5, v7, 1.0
	v_fmac_f32_e32 v7, v8, v7
	v_div_scale_f32 v8, vcc_lo, v1, s15, v1
	s_delay_alu instid0(VALU_DEP_1) | instskip(NEXT) | instid1(VALU_DEP_1)
	v_mul_f32_e32 v9, v8, v7
	v_fma_f32 v10, -v5, v9, v8
	s_delay_alu instid0(VALU_DEP_1) | instskip(NEXT) | instid1(VALU_DEP_1)
	v_fmac_f32_e32 v9, v10, v7
	v_fma_f32 v5, -v5, v9, v8
	s_delay_alu instid0(VALU_DEP_1) | instskip(NEXT) | instid1(VALU_DEP_1)
	v_div_fmas_f32 v5, v5, v7, v9
	v_div_fixup_f32 v1, v5, s15, v1
	s_and_saveexec_b32 s16, s12
	s_cbranch_execz .LBB35_170
.LBB35_160:                             ;   in Loop: Header=BB35_3 Depth=1
	v_mov_b32_e32 v7, v3
	s_mov_b32 s67, 0
	s_branch .LBB35_163
.LBB35_161:                             ;   in Loop: Header=BB35_163 Depth=2
	s_or_b32 exec_lo, exec_lo, s69
	v_lshlrev_b64 v[8:9], 3, v[7:8]
	s_delay_alu instid0(VALU_DEP_1) | instskip(NEXT) | instid1(VALU_DEP_2)
	v_add_co_u32 v10, vcc_lo, s38, v8
	v_add_co_ci_u32_e32 v11, vcc_lo, s39, v9, vcc_lo
	v_add_co_u32 v8, vcc_lo, s36, v8
	v_add_co_ci_u32_e32 v9, vcc_lo, s37, v9, vcc_lo
	global_load_b64 v[10:11], v[10:11], off
	s_waitcnt vmcnt(0)
	global_store_b64 v[8:9], v[10:11], off
.LBB35_162:                             ;   in Loop: Header=BB35_163 Depth=2
	s_or_b32 exec_lo, exec_lo, s68
	v_add_nc_u32_e32 v7, 0x400, v7
	s_delay_alu instid0(VALU_DEP_1) | instskip(SKIP_1) | instid1(SALU_CYCLE_1)
	v_cmp_le_u32_e32 vcc_lo, s63, v7
	s_or_b32 s67, vcc_lo, s67
	s_and_not1_b32 exec_lo, exec_lo, s67
	s_cbranch_execz .LBB35_170
.LBB35_163:                             ;   Parent Loop BB35_3 Depth=1
                                        ; =>  This Loop Header: Depth=2
                                        ;       Child Loop BB35_166 Depth 3
                                        ;       Child Loop BB35_169 Depth 3
	s_mov_b32 s68, exec_lo
	s_delay_alu instid0(VALU_DEP_1)
	v_cmpx_gt_i32_e64 s19, v7
	s_cbranch_execz .LBB35_162
; %bb.164:                              ;   in Loop: Header=BB35_163 Depth=2
	v_ashrrev_i32_e32 v8, 31, v7
	s_mov_b32 s69, exec_lo
	s_delay_alu instid0(VALU_DEP_1) | instskip(NEXT) | instid1(VALU_DEP_1)
	v_lshlrev_b64 v[9:10], 2, v[7:8]
	v_add_co_u32 v11, vcc_lo, s20, v9
	s_delay_alu instid0(VALU_DEP_2)
	v_add_co_ci_u32_e32 v12, vcc_lo, s21, v10, vcc_lo
	v_add_co_u32 v13, vcc_lo, s22, v9
	v_add_co_ci_u32_e32 v14, vcc_lo, s23, v10, vcc_lo
	global_load_b32 v11, v[11:12], off
	global_load_b32 v5, v[13:14], off
	s_waitcnt vmcnt(0)
	v_cmpx_lt_i32_e64 v11, v5
	s_cbranch_execz .LBB35_167
; %bb.165:                              ;   in Loop: Header=BB35_163 Depth=2
	v_subrev_nc_u32_e32 v11, s60, v11
	v_subrev_nc_u32_e32 v5, s60, v5
	s_mov_b32 s70, 0
	s_delay_alu instid0(VALU_DEP_2) | instskip(NEXT) | instid1(VALU_DEP_1)
	v_ashrrev_i32_e32 v12, 31, v11
	v_lshlrev_b64 v[14:15], 3, v[11:12]
	s_delay_alu instid0(VALU_DEP_1) | instskip(NEXT) | instid1(VALU_DEP_2)
	v_add_co_u32 v12, vcc_lo, s34, v14
	v_add_co_ci_u32_e32 v13, vcc_lo, s35, v15, vcc_lo
	v_add_co_u32 v14, vcc_lo, s26, v14
	v_add_co_ci_u32_e32 v15, vcc_lo, s27, v15, vcc_lo
.LBB35_166:                             ;   Parent Loop BB35_3 Depth=1
                                        ;     Parent Loop BB35_163 Depth=2
                                        ; =>    This Inner Loop Header: Depth=3
	global_load_b64 v[16:17], v[12:13], off
	v_add_nc_u32_e32 v11, 1, v11
	v_add_co_u32 v12, vcc_lo, v12, 8
	v_add_co_ci_u32_e32 v13, vcc_lo, 0, v13, vcc_lo
	s_delay_alu instid0(VALU_DEP_3) | instskip(SKIP_4) | instid1(VALU_DEP_1)
	v_cmp_ge_i32_e32 vcc_lo, v11, v5
	s_or_b32 s70, vcc_lo, s70
	s_waitcnt vmcnt(0)
	global_store_b64 v[14:15], v[16:17], off
	v_add_co_u32 v14, s15, v14, 8
	v_add_co_ci_u32_e64 v15, s15, 0, v15, s15
	s_and_not1_b32 exec_lo, exec_lo, s70
	s_cbranch_execnz .LBB35_166
.LBB35_167:                             ;   in Loop: Header=BB35_163 Depth=2
	s_or_b32 exec_lo, exec_lo, s69
	v_add_co_u32 v11, vcc_lo, s44, v9
	v_add_co_ci_u32_e32 v12, vcc_lo, s45, v10, vcc_lo
	v_add_co_u32 v13, vcc_lo, s46, v9
	v_add_co_ci_u32_e32 v14, vcc_lo, s47, v10, vcc_lo
	s_mov_b32 s69, exec_lo
	global_load_b32 v9, v[11:12], off
	global_load_b32 v5, v[13:14], off
	s_waitcnt vmcnt(0)
	v_cmpx_lt_i32_e64 v9, v5
	s_cbranch_execz .LBB35_161
; %bb.168:                              ;   in Loop: Header=BB35_163 Depth=2
	v_subrev_nc_u32_e32 v9, s62, v9
	v_subrev_nc_u32_e32 v5, s62, v5
	s_mov_b32 s70, 0
	s_delay_alu instid0(VALU_DEP_2) | instskip(NEXT) | instid1(VALU_DEP_1)
	v_ashrrev_i32_e32 v10, 31, v9
	v_lshlrev_b64 v[12:13], 3, v[9:10]
	s_delay_alu instid0(VALU_DEP_1) | instskip(NEXT) | instid1(VALU_DEP_2)
	v_add_co_u32 v10, vcc_lo, s54, v12
	v_add_co_ci_u32_e32 v11, vcc_lo, s55, v13, vcc_lo
	v_add_co_u32 v12, vcc_lo, s50, v12
	v_add_co_ci_u32_e32 v13, vcc_lo, s51, v13, vcc_lo
	.p2align	6
.LBB35_169:                             ;   Parent Loop BB35_3 Depth=1
                                        ;     Parent Loop BB35_163 Depth=2
                                        ; =>    This Inner Loop Header: Depth=3
	global_load_b64 v[14:15], v[10:11], off
	v_add_nc_u32_e32 v9, 1, v9
	v_add_co_u32 v10, vcc_lo, v10, 8
	v_add_co_ci_u32_e32 v11, vcc_lo, 0, v11, vcc_lo
	s_delay_alu instid0(VALU_DEP_3) | instskip(SKIP_4) | instid1(VALU_DEP_1)
	v_cmp_ge_i32_e32 vcc_lo, v9, v5
	s_or_b32 s70, vcc_lo, s70
	s_waitcnt vmcnt(0)
	global_store_b64 v[12:13], v[14:15], off
	v_add_co_u32 v12, s15, v12, 8
	v_add_co_ci_u32_e64 v13, s15, 0, v13, s15
	s_and_not1_b32 exec_lo, exec_lo, s70
	s_cbranch_execnz .LBB35_169
	s_branch .LBB35_161
.LBB35_170:                             ;   in Loop: Header=BB35_3 Depth=1
	s_or_b32 exec_lo, exec_lo, s16
	s_delay_alu instid0(SALU_CYCLE_1)
	s_and_b32 vcc_lo, exec_lo, s57
	s_mov_b32 s16, -1
	s_cbranch_vccz .LBB35_180
; %bb.171:                              ;   in Loop: Header=BB35_3 Depth=1
	s_and_b32 vcc_lo, exec_lo, s65
	s_mov_b32 s15, -1
                                        ; implicit-def: $sgpr67
	s_cbranch_vccz .LBB35_177
; %bb.172:                              ;   in Loop: Header=BB35_3 Depth=1
	s_and_b32 vcc_lo, exec_lo, s64
                                        ; implicit-def: $sgpr67
	s_cbranch_vccz .LBB35_174
; %bb.173:                              ;   in Loop: Header=BB35_3 Depth=1
	v_cmp_ge_f32_e32 vcc_lo, s18, v1
	s_mov_b32 s15, 0
	s_and_b32 s67, vcc_lo, exec_lo
.LBB35_174:                             ;   in Loop: Header=BB35_3 Depth=1
	s_and_not1_b32 vcc_lo, exec_lo, s15
	s_cbranch_vccnz .LBB35_176
; %bb.175:                              ;   in Loop: Header=BB35_3 Depth=1
	v_cmp_ge_f32_e32 vcc_lo, s18, v2
	s_and_not1_b32 s15, s67, exec_lo
	s_and_b32 s67, vcc_lo, exec_lo
	s_delay_alu instid0(SALU_CYCLE_1)
	s_or_b32 s67, s15, s67
.LBB35_176:                             ;   in Loop: Header=BB35_3 Depth=1
	s_mov_b32 s15, 0
.LBB35_177:                             ;   in Loop: Header=BB35_3 Depth=1
	s_delay_alu instid0(SALU_CYCLE_1)
	s_and_not1_b32 vcc_lo, exec_lo, s15
	s_cbranch_vccnz .LBB35_179
; %bb.178:                              ;   in Loop: Header=BB35_3 Depth=1
	v_cmp_ge_f32_e32 vcc_lo, s18, v2
	v_cmp_ge_f32_e64 s15, s18, v1
	s_and_not1_b32 s67, s67, exec_lo
	s_delay_alu instid0(VALU_DEP_1) | instskip(NEXT) | instid1(SALU_CYCLE_1)
	s_and_b32 s15, vcc_lo, s15
	s_and_b32 s15, s15, exec_lo
	s_delay_alu instid0(SALU_CYCLE_1)
	s_or_b32 s67, s67, s15
.LBB35_179:                             ;   in Loop: Header=BB35_3 Depth=1
	s_delay_alu instid0(SALU_CYCLE_1)
	s_xor_b32 s15, s67, -1
	v_mov_b32_e32 v5, s66
	s_and_saveexec_b32 s67, s15
	s_cbranch_execz .LBB35_2
	s_branch .LBB35_181
.LBB35_180:                             ;   in Loop: Header=BB35_3 Depth=1
	s_mov_b32 s15, -1
	v_mov_b32_e32 v5, s66
	s_and_saveexec_b32 s67, s15
	s_cbranch_execz .LBB35_2
.LBB35_181:                             ;   in Loop: Header=BB35_3 Depth=1
	s_add_i32 s66, s66, 1
	v_mov_b32_e32 v5, s17
	s_cmp_eq_u32 s66, s17
	s_cselect_b32 s15, -1, 0
	s_delay_alu instid0(SALU_CYCLE_1)
	s_or_not1_b32 s16, s15, exec_lo
	s_branch .LBB35_2
.LBB35_182:
	s_or_b32 exec_lo, exec_lo, s59
.LBB35_183:
	s_delay_alu instid0(SALU_CYCLE_1) | instskip(NEXT) | instid1(SALU_CYCLE_1)
	s_or_b32 exec_lo, exec_lo, s58
	s_and_not1_b32 vcc_lo, exec_lo, s57
	s_cbranch_vccnz .LBB35_208
; %bb.184:
	v_or_b32_e32 v3, 0x1000, v20
	s_mov_b32 s2, exec_lo
	ds_store_b32 v20, v5 offset:4096
	s_waitcnt lgkmcnt(0)
	s_waitcnt_vscnt null, 0x0
	s_barrier
	buffer_gl0_inv
	v_cmpx_gt_u32_e32 0x200, v0
	s_cbranch_execz .LBB35_186
; %bb.185:
	ds_load_2addr_stride64_b32 v[4:5], v3 offset1:8
	s_waitcnt lgkmcnt(0)
	v_max_i32_e32 v4, v4, v5
	ds_store_b32 v3, v4
.LBB35_186:
	s_or_b32 exec_lo, exec_lo, s2
	s_delay_alu instid0(SALU_CYCLE_1)
	s_mov_b32 s2, exec_lo
	s_waitcnt lgkmcnt(0)
	s_barrier
	buffer_gl0_inv
	v_cmpx_gt_u32_e32 0x100, v0
	s_cbranch_execz .LBB35_188
; %bb.187:
	ds_load_2addr_stride64_b32 v[4:5], v3 offset1:4
	s_waitcnt lgkmcnt(0)
	v_max_i32_e32 v4, v4, v5
	ds_store_b32 v3, v4
.LBB35_188:
	s_or_b32 exec_lo, exec_lo, s2
	s_delay_alu instid0(SALU_CYCLE_1)
	s_mov_b32 s2, exec_lo
	s_waitcnt lgkmcnt(0)
	;; [unrolled: 14-line block ×4, first 2 shown]
	s_barrier
	buffer_gl0_inv
	v_cmpx_gt_u32_e32 32, v0
	s_cbranch_execz .LBB35_194
; %bb.193:
	ds_load_2addr_b32 v[4:5], v3 offset1:32
	s_waitcnt lgkmcnt(0)
	v_max_i32_e32 v4, v4, v5
	ds_store_b32 v3, v4
.LBB35_194:
	s_or_b32 exec_lo, exec_lo, s2
	s_delay_alu instid0(SALU_CYCLE_1)
	s_mov_b32 s2, exec_lo
	s_waitcnt lgkmcnt(0)
	s_barrier
	buffer_gl0_inv
	v_cmpx_gt_u32_e32 16, v0
	s_cbranch_execz .LBB35_196
; %bb.195:
	ds_load_2addr_b32 v[4:5], v3 offset1:16
	s_waitcnt lgkmcnt(0)
	v_max_i32_e32 v4, v4, v5
	ds_store_b32 v3, v4
.LBB35_196:
	s_or_b32 exec_lo, exec_lo, s2
	s_delay_alu instid0(SALU_CYCLE_1)
	s_mov_b32 s2, exec_lo
	s_waitcnt lgkmcnt(0)
	;; [unrolled: 14-line block ×4, first 2 shown]
	s_barrier
	buffer_gl0_inv
	v_cmpx_gt_u32_e32 2, v0
	s_cbranch_execz .LBB35_202
; %bb.201:
	ds_load_2addr_b32 v[4:5], v3 offset1:2
	s_waitcnt lgkmcnt(0)
	v_max_i32_e32 v4, v4, v5
	ds_store_b32 v3, v4
.LBB35_202:
	s_or_b32 exec_lo, exec_lo, s2
	v_cmp_eq_u32_e32 vcc_lo, 0, v0
	s_waitcnt lgkmcnt(0)
	s_barrier
	buffer_gl0_inv
	s_and_saveexec_b32 s2, vcc_lo
	s_cbranch_execz .LBB35_204
; %bb.203:
	v_mov_b32_e32 v5, 0
	ds_load_b64 v[3:4], v5 offset:4096
	s_waitcnt lgkmcnt(0)
	v_max_i32_e32 v3, v3, v4
	ds_store_b32 v5, v3 offset:4096
.LBB35_204:
	s_or_b32 exec_lo, exec_lo, s2
	s_waitcnt lgkmcnt(0)
	s_barrier
	buffer_gl0_inv
	s_and_saveexec_b32 s2, vcc_lo
	s_cbranch_execz .LBB35_207
; %bb.205:
	v_mbcnt_lo_u32_b32 v3, exec_lo, 0
	s_delay_alu instid0(VALU_DEP_1)
	v_cmp_eq_u32_e32 vcc_lo, 0, v3
	s_and_b32 exec_lo, exec_lo, vcc_lo
	s_cbranch_execz .LBB35_207
; %bb.206:
	v_mov_b32_e32 v3, 0
	s_load_b64 s[0:1], s[0:1], 0x8
	ds_load_b32 v4, v3 offset:4096
	s_waitcnt lgkmcnt(0)
	v_add_nc_u32_e32 v4, 1, v4
	global_atomic_max_i32 v3, v4, s[0:1]
.LBB35_207:
	s_or_b32 exec_lo, exec_lo, s2
.LBB35_208:
	v_cmp_eq_u32_e32 vcc_lo, 0, v0
	s_mov_b32 s2, 0
	s_and_b32 s0, vcc_lo, s56
	s_delay_alu instid0(SALU_CYCLE_1)
	s_and_saveexec_b32 s3, s0
	s_cbranch_execz .LBB35_213
; %bb.209:
	v_mov_b32_e32 v0, 0
	v_cmp_eq_f32_e64 s0, 0, v2
                                        ; implicit-def: $sgpr4
                                        ; implicit-def: $sgpr5
	global_load_b32 v3, v0, s[28:29] glc
	s_waitcnt vmcnt(0)
	v_cmp_eq_u32_e64 s6, 0x80000000, v3
	s_set_inst_prefetch_distance 0x1
	s_branch .LBB35_211
	.p2align	6
.LBB35_210:                             ;   in Loop: Header=BB35_211 Depth=1
	s_or_b32 exec_lo, exec_lo, s7
	s_delay_alu instid0(SALU_CYCLE_1) | instskip(NEXT) | instid1(SALU_CYCLE_1)
	s_and_b32 s1, exec_lo, s4
	s_or_b32 s2, s1, s2
	s_and_not1_b32 s1, s6, exec_lo
	s_and_b32 s6, s5, exec_lo
	s_delay_alu instid0(SALU_CYCLE_1)
	s_or_b32 s6, s1, s6
	s_and_not1_b32 exec_lo, exec_lo, s2
	s_cbranch_execz .LBB35_213
.LBB35_211:                             ; =>This Inner Loop Header: Depth=1
	v_cmp_lt_f32_e64 s1, v3, v2
	s_delay_alu instid0(VALU_DEP_2) | instskip(SKIP_2) | instid1(VALU_DEP_1)
	s_and_b32 s7, s0, s6
	s_and_not1_b32 s5, s5, exec_lo
	s_or_b32 s4, s4, exec_lo
	s_or_b32 s1, s1, s7
	s_delay_alu instid0(SALU_CYCLE_1)
	s_and_saveexec_b32 s7, s1
	s_cbranch_execz .LBB35_210
; %bb.212:                              ;   in Loop: Header=BB35_211 Depth=1
	global_atomic_cmpswap_b32 v4, v0, v[2:3], s[28:29] glc
	s_and_not1_b32 s5, s5, exec_lo
	s_and_not1_b32 s4, s4, exec_lo
	s_waitcnt vmcnt(0)
	v_cmp_eq_u32_e64 s1, v4, v3
	s_delay_alu instid0(VALU_DEP_1) | instskip(SKIP_1) | instid1(SALU_CYCLE_1)
	v_cndmask_b32_e64 v3, v4, v3, s1
	s_and_b32 s1, s1, exec_lo
	s_or_b32 s4, s4, s1
	s_delay_alu instid0(VALU_DEP_1) | instskip(SKIP_1) | instid1(VALU_DEP_2)
	v_cmp_class_f32_e64 s6, v3, 32
	v_mov_b32_e32 v3, v4
	s_and_b32 s6, s6, exec_lo
	s_delay_alu instid0(SALU_CYCLE_1)
	s_or_b32 s5, s5, s6
                                        ; implicit-def: $sgpr6
	s_branch .LBB35_210
.LBB35_213:
	s_set_inst_prefetch_distance 0x2
	s_or_b32 exec_lo, exec_lo, s3
	s_and_b32 s0, vcc_lo, s33
	s_delay_alu instid0(SALU_CYCLE_1)
	s_and_saveexec_b32 s1, s0
	s_cbranch_execz .LBB35_218
; %bb.214:
	v_mov_b32_e32 v0, 0
	v_cmp_eq_f32_e32 vcc_lo, 0, v1
	s_mov_b32 s1, 0
                                        ; implicit-def: $sgpr2
                                        ; implicit-def: $sgpr3
	global_load_b32 v2, v0, s[30:31] glc
	s_waitcnt vmcnt(0)
	v_cmp_eq_u32_e64 s4, 0x80000000, v2
	s_set_inst_prefetch_distance 0x1
	s_branch .LBB35_216
	.p2align	6
.LBB35_215:                             ;   in Loop: Header=BB35_216 Depth=1
	s_or_b32 exec_lo, exec_lo, s5
	s_delay_alu instid0(SALU_CYCLE_1) | instskip(NEXT) | instid1(SALU_CYCLE_1)
	s_and_b32 s0, exec_lo, s2
	s_or_b32 s1, s0, s1
	s_and_not1_b32 s0, s4, exec_lo
	s_and_b32 s4, s3, exec_lo
	s_delay_alu instid0(SALU_CYCLE_1)
	s_or_b32 s4, s0, s4
	s_and_not1_b32 exec_lo, exec_lo, s1
	s_cbranch_execz .LBB35_218
.LBB35_216:                             ; =>This Inner Loop Header: Depth=1
	v_cmp_lt_f32_e64 s0, v2, v1
	s_delay_alu instid0(VALU_DEP_2) | instskip(SKIP_2) | instid1(VALU_DEP_1)
	s_and_b32 s5, vcc_lo, s4
	s_and_not1_b32 s3, s3, exec_lo
	s_or_b32 s2, s2, exec_lo
	s_or_b32 s0, s0, s5
	s_delay_alu instid0(SALU_CYCLE_1)
	s_and_saveexec_b32 s5, s0
	s_cbranch_execz .LBB35_215
; %bb.217:                              ;   in Loop: Header=BB35_216 Depth=1
	global_atomic_cmpswap_b32 v3, v0, v[1:2], s[30:31] glc
	s_and_not1_b32 s3, s3, exec_lo
	s_and_not1_b32 s2, s2, exec_lo
	s_waitcnt vmcnt(0)
	v_cmp_eq_u32_e64 s0, v3, v2
	s_delay_alu instid0(VALU_DEP_1) | instskip(SKIP_1) | instid1(SALU_CYCLE_1)
	v_cndmask_b32_e64 v2, v3, v2, s0
	s_and_b32 s0, s0, exec_lo
	s_or_b32 s2, s2, s0
	s_delay_alu instid0(VALU_DEP_1) | instskip(SKIP_1) | instid1(VALU_DEP_2)
	v_cmp_class_f32_e64 s4, v2, 32
	v_mov_b32_e32 v2, v3
	s_and_b32 s4, s4, exec_lo
	s_delay_alu instid0(SALU_CYCLE_1)
	s_or_b32 s3, s3, s4
                                        ; implicit-def: $sgpr4
	s_branch .LBB35_215
.LBB35_218:
	s_set_inst_prefetch_distance 0x2
	s_nop 0
	s_sendmsg sendmsg(MSG_DEALLOC_VGPRS)
	s_endpgm
	.section	.rodata,"a",@progbits
	.p2align	6, 0x0
	.amdhsa_kernel _ZN9rocsparseL6kernelILi1024ELi1E21rocsparse_complex_numIfEiiEEvbbbT3_PS3_NS_15floating_traitsIT1_E6data_tES3_T2_PKS9_SB_PKS3_PKS6_21rocsparse_index_base_SB_SB_SD_PS6_SH_SG_SB_SB_SD_SH_SH_SG_SH_SH_PS8_SI_PKS8_
		.amdhsa_group_segment_fixed_size 8192
		.amdhsa_private_segment_fixed_size 0
		.amdhsa_kernarg_size 208
		.amdhsa_user_sgpr_count 15
		.amdhsa_user_sgpr_dispatch_ptr 0
		.amdhsa_user_sgpr_queue_ptr 0
		.amdhsa_user_sgpr_kernarg_segment_ptr 1
		.amdhsa_user_sgpr_dispatch_id 0
		.amdhsa_user_sgpr_private_segment_size 0
		.amdhsa_wavefront_size32 1
		.amdhsa_uses_dynamic_stack 0
		.amdhsa_enable_private_segment 0
		.amdhsa_system_sgpr_workgroup_id_x 1
		.amdhsa_system_sgpr_workgroup_id_y 0
		.amdhsa_system_sgpr_workgroup_id_z 0
		.amdhsa_system_sgpr_workgroup_info 0
		.amdhsa_system_vgpr_workitem_id 0
		.amdhsa_next_free_vgpr 37
		.amdhsa_next_free_sgpr 78
		.amdhsa_reserve_vcc 1
		.amdhsa_float_round_mode_32 0
		.amdhsa_float_round_mode_16_64 0
		.amdhsa_float_denorm_mode_32 3
		.amdhsa_float_denorm_mode_16_64 3
		.amdhsa_dx10_clamp 1
		.amdhsa_ieee_mode 1
		.amdhsa_fp16_overflow 0
		.amdhsa_workgroup_processor_mode 1
		.amdhsa_memory_ordered 1
		.amdhsa_forward_progress 0
		.amdhsa_shared_vgpr_count 0
		.amdhsa_exception_fp_ieee_invalid_op 0
		.amdhsa_exception_fp_denorm_src 0
		.amdhsa_exception_fp_ieee_div_zero 0
		.amdhsa_exception_fp_ieee_overflow 0
		.amdhsa_exception_fp_ieee_underflow 0
		.amdhsa_exception_fp_ieee_inexact 0
		.amdhsa_exception_int_div_zero 0
	.end_amdhsa_kernel
	.section	.text._ZN9rocsparseL6kernelILi1024ELi1E21rocsparse_complex_numIfEiiEEvbbbT3_PS3_NS_15floating_traitsIT1_E6data_tES3_T2_PKS9_SB_PKS3_PKS6_21rocsparse_index_base_SB_SB_SD_PS6_SH_SG_SB_SB_SD_SH_SH_SG_SH_SH_PS8_SI_PKS8_,"axG",@progbits,_ZN9rocsparseL6kernelILi1024ELi1E21rocsparse_complex_numIfEiiEEvbbbT3_PS3_NS_15floating_traitsIT1_E6data_tES3_T2_PKS9_SB_PKS3_PKS6_21rocsparse_index_base_SB_SB_SD_PS6_SH_SG_SB_SB_SD_SH_SH_SG_SH_SH_PS8_SI_PKS8_,comdat
.Lfunc_end35:
	.size	_ZN9rocsparseL6kernelILi1024ELi1E21rocsparse_complex_numIfEiiEEvbbbT3_PS3_NS_15floating_traitsIT1_E6data_tES3_T2_PKS9_SB_PKS3_PKS6_21rocsparse_index_base_SB_SB_SD_PS6_SH_SG_SB_SB_SD_SH_SH_SG_SH_SH_PS8_SI_PKS8_, .Lfunc_end35-_ZN9rocsparseL6kernelILi1024ELi1E21rocsparse_complex_numIfEiiEEvbbbT3_PS3_NS_15floating_traitsIT1_E6data_tES3_T2_PKS9_SB_PKS3_PKS6_21rocsparse_index_base_SB_SB_SD_PS6_SH_SG_SB_SB_SD_SH_SH_SG_SH_SH_PS8_SI_PKS8_
                                        ; -- End function
	.section	.AMDGPU.csdata,"",@progbits
; Kernel info:
; codeLenInByte = 10120
; NumSgprs: 80
; NumVgprs: 37
; ScratchSize: 0
; MemoryBound: 0
; FloatMode: 240
; IeeeMode: 1
; LDSByteSize: 8192 bytes/workgroup (compile time only)
; SGPRBlocks: 9
; VGPRBlocks: 4
; NumSGPRsForWavesPerEU: 80
; NumVGPRsForWavesPerEU: 37
; Occupancy: 16
; WaveLimiterHint : 1
; COMPUTE_PGM_RSRC2:SCRATCH_EN: 0
; COMPUTE_PGM_RSRC2:USER_SGPR: 15
; COMPUTE_PGM_RSRC2:TRAP_HANDLER: 0
; COMPUTE_PGM_RSRC2:TGID_X_EN: 1
; COMPUTE_PGM_RSRC2:TGID_Y_EN: 0
; COMPUTE_PGM_RSRC2:TGID_Z_EN: 0
; COMPUTE_PGM_RSRC2:TIDIG_COMP_CNT: 0
	.section	.text._ZN9rocsparseL6kernelILi1024ELi2E21rocsparse_complex_numIfEiiEEvbbbT3_PS3_NS_15floating_traitsIT1_E6data_tES3_T2_PKS9_SB_PKS3_PKS6_21rocsparse_index_base_SB_SB_SD_PS6_SH_SG_SB_SB_SD_SH_SH_SG_SH_SH_PS8_SI_PKS8_,"axG",@progbits,_ZN9rocsparseL6kernelILi1024ELi2E21rocsparse_complex_numIfEiiEEvbbbT3_PS3_NS_15floating_traitsIT1_E6data_tES3_T2_PKS9_SB_PKS3_PKS6_21rocsparse_index_base_SB_SB_SD_PS6_SH_SG_SB_SB_SD_SH_SH_SG_SH_SH_PS8_SI_PKS8_,comdat
	.globl	_ZN9rocsparseL6kernelILi1024ELi2E21rocsparse_complex_numIfEiiEEvbbbT3_PS3_NS_15floating_traitsIT1_E6data_tES3_T2_PKS9_SB_PKS3_PKS6_21rocsparse_index_base_SB_SB_SD_PS6_SH_SG_SB_SB_SD_SH_SH_SG_SH_SH_PS8_SI_PKS8_ ; -- Begin function _ZN9rocsparseL6kernelILi1024ELi2E21rocsparse_complex_numIfEiiEEvbbbT3_PS3_NS_15floating_traitsIT1_E6data_tES3_T2_PKS9_SB_PKS3_PKS6_21rocsparse_index_base_SB_SB_SD_PS6_SH_SG_SB_SB_SD_SH_SH_SG_SH_SH_PS8_SI_PKS8_
	.p2align	8
	.type	_ZN9rocsparseL6kernelILi1024ELi2E21rocsparse_complex_numIfEiiEEvbbbT3_PS3_NS_15floating_traitsIT1_E6data_tES3_T2_PKS9_SB_PKS3_PKS6_21rocsparse_index_base_SB_SB_SD_PS6_SH_SG_SB_SB_SD_SH_SH_SG_SH_SH_PS8_SI_PKS8_,@function
_ZN9rocsparseL6kernelILi1024ELi2E21rocsparse_complex_numIfEiiEEvbbbT3_PS3_NS_15floating_traitsIT1_E6data_tES3_T2_PKS9_SB_PKS3_PKS6_21rocsparse_index_base_SB_SB_SD_PS6_SH_SG_SB_SB_SD_SH_SH_SG_SH_SH_PS8_SI_PKS8_: ; @_ZN9rocsparseL6kernelILi1024ELi2E21rocsparse_complex_numIfEiiEEvbbbT3_PS3_NS_15floating_traitsIT1_E6data_tES3_T2_PKS9_SB_PKS3_PKS6_21rocsparse_index_base_SB_SB_SD_PS6_SH_SG_SB_SB_SD_SH_SH_SG_SH_SH_PS8_SI_PKS8_
; %bb.0:
	s_clause 0x3
	s_load_b32 s2, s[0:1], 0x0
	s_load_b64 s[16:17], s[0:1], 0x0
	s_load_b64 s[18:19], s[0:1], 0x10
	s_load_b128 s[28:31], s[0:1], 0xb8
	v_lshrrev_b32_e32 v21, 1, v0
	v_dual_mov_b32 v3, 0 :: v_dual_lshlrev_b32 v20, 2, v0
	v_mbcnt_lo_u32_b32 v22, -1, 0
	v_dual_mov_b32 v2, 0 :: v_dual_mov_b32 v1, 0
	v_and_b32_e32 v23, 1, v0
	s_mov_b32 s63, 0
	ds_store_b32 v20, v3
	s_waitcnt lgkmcnt(0)
	s_barrier
	buffer_gl0_inv
	s_bitcmp1_b32 s2, 0
	s_cselect_b32 s61, -1, 0
	s_bitcmp1_b32 s2, 8
	s_cselect_b32 s60, -1, 0
	;; [unrolled: 2-line block ×3, first 2 shown]
	s_lshl_b32 s67, s15, 10
	s_cmp_gt_i32 s17, 0
	v_or_b32_e32 v24, s67, v21
	s_cselect_b32 s2, -1, 0
	s_delay_alu instid0(VALU_DEP_1) | instskip(SKIP_1) | instid1(SALU_CYCLE_1)
	v_cmp_gt_i32_e32 vcc_lo, s19, v24
	s_and_b32 s2, s2, vcc_lo
	s_and_saveexec_b32 s62, s2
	s_cbranch_execz .LBB36_188
; %bb.1:
	s_clause 0x9
	s_load_b32 s64, s[0:1], 0x40
	s_load_b64 s[34:35], s[0:1], 0xc8
	s_load_b128 s[52:55], s[0:1], 0xa8
	s_load_b64 s[56:57], s[0:1], 0x68
	s_load_b32 s65, s[0:1], 0x70
	s_load_b64 s[58:59], s[0:1], 0x98
	s_load_b32 s66, s[0:1], 0xa0
	s_load_b256 s[20:27], s[0:1], 0x78
	s_load_b256 s[36:43], s[0:1], 0x48
	s_load_b256 s[44:51], s[0:1], 0x20
	s_addk_i32 s67, 0x400
	v_cmp_eq_u32_e64 s2, 0, v23
	v_cmp_ne_u32_e64 s3, 0, v23
	v_dual_mov_b32 v4, 0 :: v_dual_lshlrev_b32 v25, 2, v21
	v_cmp_gt_u32_e64 s4, 0x100, v0
	v_cmp_gt_u32_e64 s5, 0x80, v0
	;; [unrolled: 1-line block ×6, first 2 shown]
	s_waitcnt lgkmcnt(0)
	v_subrev_nc_u32_e32 v26, s64, v23
	v_cmp_gt_u32_e64 s10, 8, v0
	v_cmp_gt_u32_e64 s11, 4, v0
	;; [unrolled: 1-line block ×3, first 2 shown]
	v_cmp_eq_u32_e64 s13, 0, v0
	v_subrev_nc_u32_e32 v27, s65, v23
	v_subrev_nc_u32_e32 v28, s66, v23
	v_dual_mov_b32 v29, 0 :: v_dual_mov_b32 v2, 0
	v_mov_b32_e32 v1, 0
	s_and_b32 s14, s60, s33
	s_xor_b32 s68, s60, -1
	s_xor_b32 s69, s14, -1
	s_mov_b32 s70, 0
	s_branch .LBB36_3
.LBB36_2:                               ;   in Loop: Header=BB36_3 Depth=1
	s_or_b32 exec_lo, exec_lo, s16
	s_delay_alu instid0(SALU_CYCLE_1) | instskip(NEXT) | instid1(SALU_CYCLE_1)
	s_and_b32 s14, exec_lo, s15
	s_or_b32 s63, s14, s63
	s_delay_alu instid0(SALU_CYCLE_1)
	s_and_not1_b32 exec_lo, exec_lo, s63
	s_cbranch_execz .LBB36_187
.LBB36_3:                               ; =>This Loop Header: Depth=1
                                        ;     Child Loop BB36_7 Depth 2
                                        ;       Child Loop BB36_12 Depth 3
                                        ;         Child Loop BB36_16 Depth 4
                                        ;         Child Loop BB36_51 Depth 4
	;; [unrolled: 1-line block ×5, first 2 shown]
                                        ;     Child Loop BB36_166 Depth 2
                                        ;       Child Loop BB36_169 Depth 3
                                        ;       Child Loop BB36_172 Depth 3
	v_cndmask_b32_e64 v2, v2, 0, s60
	v_cndmask_b32_e64 v1, v1, 0, s33
	s_mov_b32 s71, -1
	s_mov_b32 s14, 0
	s_branch .LBB36_7
.LBB36_4:                               ;   in Loop: Header=BB36_7 Depth=2
	s_or_b32 exec_lo, exec_lo, s74
.LBB36_5:                               ;   in Loop: Header=BB36_7 Depth=2
	s_delay_alu instid0(SALU_CYCLE_1)
	s_or_b32 exec_lo, exec_lo, s73
.LBB36_6:                               ;   in Loop: Header=BB36_7 Depth=2
	s_delay_alu instid0(SALU_CYCLE_1)
	s_or_b32 exec_lo, exec_lo, s72
	s_xor_b32 s15, s71, -1
	s_movk_i32 s14, 0x200
	s_and_b32 vcc_lo, exec_lo, s15
	s_mov_b32 s71, 0
	s_cbranch_vccnz .LBB36_119
.LBB36_7:                               ;   Parent Loop BB36_3 Depth=1
                                        ; =>  This Loop Header: Depth=2
                                        ;       Child Loop BB36_12 Depth 3
                                        ;         Child Loop BB36_16 Depth 4
                                        ;         Child Loop BB36_51 Depth 4
	;; [unrolled: 1-line block ×5, first 2 shown]
	v_or_b32_e32 v5, s14, v24
	s_mov_b32 s72, exec_lo
	s_delay_alu instid0(VALU_DEP_1)
	v_cmpx_gt_i32_e64 s19, v5
	s_cbranch_execz .LBB36_6
; %bb.8:                                ;   in Loop: Header=BB36_7 Depth=2
	v_ashrrev_i32_e32 v6, 31, v5
	s_mov_b32 s73, exec_lo
	s_delay_alu instid0(VALU_DEP_1) | instskip(NEXT) | instid1(VALU_DEP_1)
	v_lshlrev_b64 v[7:8], 2, v[5:6]
	v_add_co_u32 v9, vcc_lo, s44, v7
	s_delay_alu instid0(VALU_DEP_2)
	v_add_co_ci_u32_e32 v10, vcc_lo, s45, v8, vcc_lo
	v_add_co_u32 v11, vcc_lo, s46, v7
	v_add_co_ci_u32_e32 v12, vcc_lo, s47, v8, vcc_lo
	global_load_b32 v3, v[9:10], off
	global_load_b32 v9, v[11:12], off
	s_waitcnt vmcnt(1)
	v_add_nc_u32_e32 v6, v26, v3
	s_waitcnt vmcnt(0)
	v_subrev_nc_u32_e32 v30, s64, v9
	s_delay_alu instid0(VALU_DEP_1)
	v_cmpx_lt_i32_e64 v6, v30
	s_cbranch_execz .LBB36_5
; %bb.9:                                ;   in Loop: Header=BB36_7 Depth=2
	v_add_co_u32 v9, vcc_lo, s36, v7
	v_add_co_ci_u32_e32 v10, vcc_lo, s37, v8, vcc_lo
	v_add_co_u32 v7, vcc_lo, s38, v7
	v_add_co_ci_u32_e32 v8, vcc_lo, s39, v8, vcc_lo
	global_load_b32 v3, v[9:10], off
	s_mov_b32 s74, 0
	global_load_b32 v7, v[7:8], off
	s_waitcnt vmcnt(1)
	v_subrev_nc_u32_e32 v8, s65, v3
	s_waitcnt vmcnt(0)
	v_sub_nc_u32_e32 v31, v7, v3
	s_delay_alu instid0(VALU_DEP_2) | instskip(NEXT) | instid1(VALU_DEP_2)
	v_ashrrev_i32_e32 v9, 31, v8
	v_cmp_lt_i32_e64 s14, 0, v31
	s_delay_alu instid0(VALU_DEP_2) | instskip(SKIP_1) | instid1(VALU_DEP_2)
	v_lshlrev_b64 v[10:11], 2, v[8:9]
	v_lshlrev_b64 v[12:13], 3, v[8:9]
	v_add_co_u32 v32, vcc_lo, s40, v10
	s_delay_alu instid0(VALU_DEP_3) | instskip(NEXT) | instid1(VALU_DEP_3)
	v_add_co_ci_u32_e32 v33, vcc_lo, s41, v11, vcc_lo
	v_add_co_u32 v34, vcc_lo, s42, v12
	s_delay_alu instid0(VALU_DEP_4)
	v_add_co_ci_u32_e32 v35, vcc_lo, s43, v13, vcc_lo
	s_branch .LBB36_12
.LBB36_10:                              ;   in Loop: Header=BB36_12 Depth=3
	s_or_b32 exec_lo, exec_lo, s15
.LBB36_11:                              ;   in Loop: Header=BB36_12 Depth=3
	s_delay_alu instid0(SALU_CYCLE_1) | instskip(SKIP_1) | instid1(VALU_DEP_1)
	s_or_b32 exec_lo, exec_lo, s16
	v_add_nc_u32_e32 v6, 2, v6
	v_cmp_ge_i32_e32 vcc_lo, v6, v30
	s_or_b32 s74, vcc_lo, s74
	s_delay_alu instid0(SALU_CYCLE_1)
	s_and_not1_b32 exec_lo, exec_lo, s74
	s_cbranch_execz .LBB36_4
.LBB36_12:                              ;   Parent Loop BB36_3 Depth=1
                                        ;     Parent Loop BB36_7 Depth=2
                                        ; =>    This Loop Header: Depth=3
                                        ;         Child Loop BB36_16 Depth 4
                                        ;         Child Loop BB36_51 Depth 4
	;; [unrolled: 1-line block ×5, first 2 shown]
	v_ashrrev_i32_e32 v7, 31, v6
	v_dual_mov_b32 v36, 0 :: v_dual_mov_b32 v37, 0
	v_mov_b32_e32 v15, 0
	s_delay_alu instid0(VALU_DEP_3) | instskip(NEXT) | instid1(VALU_DEP_1)
	v_lshlrev_b64 v[9:10], 2, v[6:7]
	v_add_co_u32 v9, vcc_lo, s48, v9
	s_delay_alu instid0(VALU_DEP_2) | instskip(SKIP_4) | instid1(VALU_DEP_2)
	v_add_co_ci_u32_e32 v10, vcc_lo, s49, v10, vcc_lo
	global_load_b32 v3, v[9:10], off
	s_waitcnt vmcnt(0)
	v_subrev_nc_u32_e32 v9, s64, v3
	v_mov_b32_e32 v3, 0
	v_ashrrev_i32_e32 v10, 31, v9
	s_delay_alu instid0(VALU_DEP_1) | instskip(NEXT) | instid1(VALU_DEP_1)
	v_lshlrev_b64 v[11:12], 2, v[9:10]
	v_add_co_u32 v13, vcc_lo, s20, v11
	s_delay_alu instid0(VALU_DEP_2)
	v_add_co_ci_u32_e32 v14, vcc_lo, s21, v12, vcc_lo
	v_add_co_u32 v11, vcc_lo, s22, v11
	v_add_co_ci_u32_e32 v12, vcc_lo, s23, v12, vcc_lo
	global_load_b32 v14, v[13:14], off
	global_load_b32 v11, v[11:12], off
	s_waitcnt vmcnt(1)
	v_subrev_nc_u32_e32 v13, s66, v14
	s_waitcnt vmcnt(0)
	v_sub_nc_u32_e32 v38, v11, v14
	s_and_saveexec_b32 s16, s14
	s_cbranch_execz .LBB36_20
; %bb.13:                               ;   in Loop: Header=BB36_12 Depth=3
	v_ashrrev_i32_e32 v14, 31, v13
	v_dual_mov_b32 v15, 0 :: v_dual_mov_b32 v36, 0
	v_mov_b32_e32 v37, 0
	s_mov_b32 s75, 0
	s_delay_alu instid0(VALU_DEP_3) | instskip(SKIP_2) | instid1(VALU_DEP_3)
	v_lshlrev_b64 v[11:12], 2, v[13:14]
	v_lshlrev_b64 v[16:17], 3, v[13:14]
	v_mov_b32_e32 v3, v15
                                        ; implicit-def: $sgpr76
	v_add_co_u32 v11, vcc_lo, s24, v11
	s_delay_alu instid0(VALU_DEP_4) | instskip(NEXT) | instid1(VALU_DEP_4)
	v_add_co_ci_u32_e32 v12, vcc_lo, s25, v12, vcc_lo
	v_add_co_u32 v14, vcc_lo, s26, v16
	v_add_co_ci_u32_e32 v17, vcc_lo, s27, v17, vcc_lo
	s_branch .LBB36_16
.LBB36_14:                              ;   in Loop: Header=BB36_16 Depth=4
	s_or_b32 exec_lo, exec_lo, s15
	v_cmp_le_i32_e32 vcc_lo, v18, v19
	v_cmp_ge_i32_e64 s15, v18, v19
	v_add_co_ci_u32_e32 v3, vcc_lo, 0, v3, vcc_lo
	s_delay_alu instid0(VALU_DEP_2) | instskip(SKIP_1) | instid1(VALU_DEP_2)
	v_add_co_ci_u32_e64 v15, s15, 0, v15, s15
	s_and_not1_b32 s15, s76, exec_lo
	v_cmp_ge_i32_e32 vcc_lo, v3, v31
	s_and_b32 s76, vcc_lo, exec_lo
	s_delay_alu instid0(SALU_CYCLE_1)
	s_or_b32 s76, s15, s76
.LBB36_15:                              ;   in Loop: Header=BB36_16 Depth=4
	s_or_b32 exec_lo, exec_lo, s77
	s_delay_alu instid0(SALU_CYCLE_1) | instskip(NEXT) | instid1(SALU_CYCLE_1)
	s_and_b32 s15, exec_lo, s76
	s_or_b32 s75, s15, s75
	s_delay_alu instid0(SALU_CYCLE_1)
	s_and_not1_b32 exec_lo, exec_lo, s75
	s_cbranch_execz .LBB36_19
.LBB36_16:                              ;   Parent Loop BB36_3 Depth=1
                                        ;     Parent Loop BB36_7 Depth=2
                                        ;       Parent Loop BB36_12 Depth=3
                                        ; =>      This Inner Loop Header: Depth=4
	s_or_b32 s76, s76, exec_lo
	s_mov_b32 s77, exec_lo
	v_cmpx_lt_i32_e64 v15, v38
	s_cbranch_execz .LBB36_15
; %bb.17:                               ;   in Loop: Header=BB36_16 Depth=4
	v_mov_b32_e32 v16, v4
	v_lshlrev_b64 v[18:19], 2, v[3:4]
	s_mov_b32 s15, exec_lo
	s_delay_alu instid0(VALU_DEP_2) | instskip(NEXT) | instid1(VALU_DEP_2)
	v_lshlrev_b64 v[39:40], 2, v[15:16]
	v_add_co_u32 v18, vcc_lo, v32, v18
	s_delay_alu instid0(VALU_DEP_3) | instskip(NEXT) | instid1(VALU_DEP_3)
	v_add_co_ci_u32_e32 v19, vcc_lo, v33, v19, vcc_lo
	v_add_co_u32 v39, vcc_lo, v11, v39
	s_delay_alu instid0(VALU_DEP_4)
	v_add_co_ci_u32_e32 v40, vcc_lo, v12, v40, vcc_lo
	global_load_b32 v18, v[18:19], off
	global_load_b32 v19, v[39:40], off
	s_waitcnt vmcnt(1)
	v_subrev_nc_u32_e32 v18, s65, v18
	s_waitcnt vmcnt(0)
	v_subrev_nc_u32_e32 v19, s66, v19
	s_delay_alu instid0(VALU_DEP_1)
	v_cmpx_eq_u32_e64 v18, v19
	s_cbranch_execz .LBB36_14
; %bb.18:                               ;   in Loop: Header=BB36_16 Depth=4
	v_lshlrev_b64 v[39:40], 3, v[3:4]
	v_lshlrev_b64 v[41:42], 3, v[15:16]
	s_delay_alu instid0(VALU_DEP_2) | instskip(NEXT) | instid1(VALU_DEP_3)
	v_add_co_u32 v39, vcc_lo, v34, v39
	v_add_co_ci_u32_e32 v40, vcc_lo, v35, v40, vcc_lo
	s_delay_alu instid0(VALU_DEP_3) | instskip(NEXT) | instid1(VALU_DEP_4)
	v_add_co_u32 v41, vcc_lo, v14, v41
	v_add_co_ci_u32_e32 v42, vcc_lo, v17, v42, vcc_lo
	global_load_b64 v[39:40], v[39:40], off
	global_load_b64 v[41:42], v[41:42], off
	s_waitcnt vmcnt(0)
	v_fmac_f32_e32 v36, v39, v41
	v_fmac_f32_e32 v37, v40, v41
	s_delay_alu instid0(VALU_DEP_2) | instskip(NEXT) | instid1(VALU_DEP_2)
	v_fma_f32 v36, -v40, v42, v36
	v_fmac_f32_e32 v37, v39, v42
	s_branch .LBB36_14
.LBB36_19:                              ;   in Loop: Header=BB36_12 Depth=3
	s_or_b32 exec_lo, exec_lo, s75
.LBB36_20:                              ;   in Loop: Header=BB36_12 Depth=3
	s_delay_alu instid0(SALU_CYCLE_1) | instskip(SKIP_3) | instid1(VALU_DEP_2)
	s_or_b32 exec_lo, exec_lo, s16
	v_lshlrev_b64 v[11:12], 3, v[6:7]
	v_cmp_le_i32_e64 s15, v5, v9
	s_mov_b32 s75, exec_lo
	v_add_co_u32 v11, vcc_lo, s50, v11
	s_delay_alu instid0(VALU_DEP_3)
	v_add_co_ci_u32_e32 v12, vcc_lo, s51, v12, vcc_lo
	global_load_b64 v[11:12], v[11:12], off
	s_waitcnt vmcnt(0)
	v_dual_sub_f32 v16, v11, v36 :: v_dual_sub_f32 v17, v12, v37
	v_cmpx_gt_i32_e64 v5, v9
	s_cbranch_execz .LBB36_30
; %bb.21:                               ;   in Loop: Header=BB36_12 Depth=3
	v_lshlrev_b64 v[18:19], 3, v[9:10]
                                        ; implicit-def: $vgpr39
	s_mov_b32 s16, exec_lo
	s_delay_alu instid0(VALU_DEP_1) | instskip(NEXT) | instid1(VALU_DEP_2)
	v_add_co_u32 v18, vcc_lo, s52, v18
	v_add_co_ci_u32_e32 v19, vcc_lo, s53, v19, vcc_lo
	global_load_b64 v[18:19], v[18:19], off
	s_waitcnt vmcnt(0)
	v_cmp_gt_f32_e32 vcc_lo, 0, v18
	v_cndmask_b32_e64 v7, v18, -v18, vcc_lo
	v_cmp_gt_f32_e32 vcc_lo, 0, v19
	v_cndmask_b32_e64 v14, v19, -v19, vcc_lo
	s_delay_alu instid0(VALU_DEP_1)
	v_cmpx_ngt_f32_e32 v7, v14
	s_xor_b32 s76, exec_lo, s16
	s_cbranch_execz .LBB36_25
; %bb.22:                               ;   in Loop: Header=BB36_12 Depth=3
	v_mov_b32_e32 v39, 0
	s_mov_b32 s77, exec_lo
	v_cmpx_neq_f32_e32 0, v19
	s_cbranch_execz .LBB36_24
; %bb.23:                               ;   in Loop: Header=BB36_12 Depth=3
	v_div_scale_f32 v39, null, v14, v14, v7
	v_div_scale_f32 v42, vcc_lo, v7, v14, v7
	s_delay_alu instid0(VALU_DEP_2) | instskip(SKIP_2) | instid1(VALU_DEP_1)
	v_rcp_f32_e32 v40, v39
	s_waitcnt_depctr 0xfff
	v_fma_f32 v41, -v39, v40, 1.0
	v_fmac_f32_e32 v40, v41, v40
	s_delay_alu instid0(VALU_DEP_1) | instskip(NEXT) | instid1(VALU_DEP_1)
	v_mul_f32_e32 v41, v42, v40
	v_fma_f32 v43, -v39, v41, v42
	s_delay_alu instid0(VALU_DEP_1) | instskip(NEXT) | instid1(VALU_DEP_1)
	v_fmac_f32_e32 v41, v43, v40
	v_fma_f32 v39, -v39, v41, v42
	s_delay_alu instid0(VALU_DEP_1) | instskip(NEXT) | instid1(VALU_DEP_1)
	v_div_fmas_f32 v39, v39, v40, v41
	v_div_fixup_f32 v7, v39, v14, v7
	s_delay_alu instid0(VALU_DEP_1) | instskip(NEXT) | instid1(VALU_DEP_1)
	v_fma_f32 v7, v7, v7, 1.0
	v_mul_f32_e32 v39, 0x4f800000, v7
	v_cmp_gt_f32_e32 vcc_lo, 0xf800000, v7
	s_delay_alu instid0(VALU_DEP_2) | instskip(NEXT) | instid1(VALU_DEP_1)
	v_cndmask_b32_e32 v7, v7, v39, vcc_lo
	v_sqrt_f32_e32 v39, v7
	s_waitcnt_depctr 0xfff
	v_add_nc_u32_e32 v40, -1, v39
	v_add_nc_u32_e32 v41, 1, v39
	s_delay_alu instid0(VALU_DEP_2) | instskip(NEXT) | instid1(VALU_DEP_2)
	v_fma_f32 v42, -v40, v39, v7
	v_fma_f32 v43, -v41, v39, v7
	s_delay_alu instid0(VALU_DEP_2) | instskip(NEXT) | instid1(VALU_DEP_1)
	v_cmp_ge_f32_e64 s16, 0, v42
	v_cndmask_b32_e64 v39, v39, v40, s16
	s_delay_alu instid0(VALU_DEP_3) | instskip(NEXT) | instid1(VALU_DEP_1)
	v_cmp_lt_f32_e64 s16, 0, v43
	v_cndmask_b32_e64 v39, v39, v41, s16
	s_delay_alu instid0(VALU_DEP_1) | instskip(NEXT) | instid1(VALU_DEP_1)
	v_mul_f32_e32 v40, 0x37800000, v39
	v_cndmask_b32_e32 v39, v39, v40, vcc_lo
	v_cmp_class_f32_e64 vcc_lo, v7, 0x260
	s_delay_alu instid0(VALU_DEP_2) | instskip(NEXT) | instid1(VALU_DEP_1)
	v_cndmask_b32_e32 v7, v39, v7, vcc_lo
	v_mul_f32_e32 v39, v14, v7
.LBB36_24:                              ;   in Loop: Header=BB36_12 Depth=3
	s_or_b32 exec_lo, exec_lo, s77
                                        ; implicit-def: $vgpr7
                                        ; implicit-def: $vgpr14
.LBB36_25:                              ;   in Loop: Header=BB36_12 Depth=3
	s_and_not1_saveexec_b32 s76, s76
	s_cbranch_execz .LBB36_27
; %bb.26:                               ;   in Loop: Header=BB36_12 Depth=3
	v_div_scale_f32 v39, null, v7, v7, v14
	v_div_scale_f32 v42, vcc_lo, v14, v7, v14
	s_delay_alu instid0(VALU_DEP_2) | instskip(SKIP_2) | instid1(VALU_DEP_1)
	v_rcp_f32_e32 v40, v39
	s_waitcnt_depctr 0xfff
	v_fma_f32 v41, -v39, v40, 1.0
	v_fmac_f32_e32 v40, v41, v40
	s_delay_alu instid0(VALU_DEP_1) | instskip(NEXT) | instid1(VALU_DEP_1)
	v_mul_f32_e32 v41, v42, v40
	v_fma_f32 v43, -v39, v41, v42
	s_delay_alu instid0(VALU_DEP_1) | instskip(NEXT) | instid1(VALU_DEP_1)
	v_fmac_f32_e32 v41, v43, v40
	v_fma_f32 v39, -v39, v41, v42
	s_delay_alu instid0(VALU_DEP_1) | instskip(NEXT) | instid1(VALU_DEP_1)
	v_div_fmas_f32 v39, v39, v40, v41
	v_div_fixup_f32 v14, v39, v7, v14
	s_delay_alu instid0(VALU_DEP_1) | instskip(NEXT) | instid1(VALU_DEP_1)
	v_fma_f32 v14, v14, v14, 1.0
	v_mul_f32_e32 v39, 0x4f800000, v14
	v_cmp_gt_f32_e32 vcc_lo, 0xf800000, v14
	s_delay_alu instid0(VALU_DEP_2) | instskip(NEXT) | instid1(VALU_DEP_1)
	v_cndmask_b32_e32 v14, v14, v39, vcc_lo
	v_sqrt_f32_e32 v39, v14
	s_waitcnt_depctr 0xfff
	v_add_nc_u32_e32 v40, -1, v39
	v_add_nc_u32_e32 v41, 1, v39
	s_delay_alu instid0(VALU_DEP_2) | instskip(NEXT) | instid1(VALU_DEP_2)
	v_fma_f32 v42, -v40, v39, v14
	v_fma_f32 v43, -v41, v39, v14
	s_delay_alu instid0(VALU_DEP_2) | instskip(NEXT) | instid1(VALU_DEP_1)
	v_cmp_ge_f32_e64 s16, 0, v42
	v_cndmask_b32_e64 v39, v39, v40, s16
	s_delay_alu instid0(VALU_DEP_3) | instskip(NEXT) | instid1(VALU_DEP_1)
	v_cmp_lt_f32_e64 s16, 0, v43
	v_cndmask_b32_e64 v39, v39, v41, s16
	s_delay_alu instid0(VALU_DEP_1) | instskip(NEXT) | instid1(VALU_DEP_1)
	v_mul_f32_e32 v40, 0x37800000, v39
	v_cndmask_b32_e32 v39, v39, v40, vcc_lo
	v_cmp_class_f32_e64 vcc_lo, v14, 0x260
	s_delay_alu instid0(VALU_DEP_2) | instskip(NEXT) | instid1(VALU_DEP_1)
	v_cndmask_b32_e32 v14, v39, v14, vcc_lo
	v_mul_f32_e32 v39, v7, v14
.LBB36_27:                              ;   in Loop: Header=BB36_12 Depth=3
	s_or_b32 exec_lo, exec_lo, s76
	v_dual_mov_b32 v7, 0 :: v_dual_mov_b32 v14, 0
	s_mov_b32 s16, exec_lo
	s_delay_alu instid0(VALU_DEP_2)
	v_cmpx_lt_f32_e32 0, v39
	s_cbranch_execz .LBB36_29
; %bb.28:                               ;   in Loop: Header=BB36_12 Depth=3
	v_mul_f32_e32 v7, v19, v19
	s_delay_alu instid0(VALU_DEP_1) | instskip(NEXT) | instid1(VALU_DEP_1)
	v_fmac_f32_e32 v7, v18, v18
	v_div_scale_f32 v14, null, v7, v7, 1.0
	v_div_scale_f32 v41, vcc_lo, 1.0, v7, 1.0
	s_delay_alu instid0(VALU_DEP_2) | instskip(SKIP_2) | instid1(VALU_DEP_1)
	v_rcp_f32_e32 v39, v14
	s_waitcnt_depctr 0xfff
	v_fma_f32 v40, -v14, v39, 1.0
	v_fmac_f32_e32 v39, v40, v39
	s_delay_alu instid0(VALU_DEP_1) | instskip(NEXT) | instid1(VALU_DEP_1)
	v_mul_f32_e32 v40, v41, v39
	v_fma_f32 v42, -v14, v40, v41
	s_delay_alu instid0(VALU_DEP_1) | instskip(NEXT) | instid1(VALU_DEP_1)
	v_fmac_f32_e32 v40, v42, v39
	v_fma_f32 v14, -v14, v40, v41
	v_mul_f32_e32 v41, v17, v19
	v_mul_f32_e64 v19, v19, -v16
	s_delay_alu instid0(VALU_DEP_2) | instskip(NEXT) | instid1(VALU_DEP_4)
	v_fmac_f32_e32 v41, v16, v18
	v_div_fmas_f32 v14, v14, v39, v40
	s_delay_alu instid0(VALU_DEP_3) | instskip(NEXT) | instid1(VALU_DEP_2)
	v_fmac_f32_e32 v19, v17, v18
	v_div_fixup_f32 v7, v14, v7, 1.0
	s_delay_alu instid0(VALU_DEP_1) | instskip(NEXT) | instid1(VALU_DEP_3)
	v_mul_f32_e32 v14, v41, v7
	v_mul_f32_e32 v7, v19, v7
.LBB36_29:                              ;   in Loop: Header=BB36_12 Depth=3
	s_or_b32 exec_lo, exec_lo, s16
	s_delay_alu instid0(VALU_DEP_1)
	v_dual_mov_b32 v17, v7 :: v_dual_mov_b32 v16, v14
.LBB36_30:                              ;   in Loop: Header=BB36_12 Depth=3
	s_or_b32 exec_lo, exec_lo, s75
	s_delay_alu instid0(VALU_DEP_1) | instskip(SKIP_4) | instid1(VALU_DEP_1)
	v_cmp_gt_f32_e32 vcc_lo, 0, v16
                                        ; implicit-def: $vgpr18
	s_mov_b32 s16, exec_lo
	v_cndmask_b32_e64 v7, v16, -v16, vcc_lo
	v_cmp_gt_f32_e32 vcc_lo, 0, v17
	v_cndmask_b32_e64 v14, v17, -v17, vcc_lo
	v_cmpx_ngt_f32_e32 v7, v14
	s_xor_b32 s75, exec_lo, s16
	s_cbranch_execnz .LBB36_34
; %bb.31:                               ;   in Loop: Header=BB36_12 Depth=3
	s_and_not1_saveexec_b32 s75, s75
	s_cbranch_execnz .LBB36_37
.LBB36_32:                              ;   in Loop: Header=BB36_12 Depth=3
	s_or_b32 exec_lo, exec_lo, s75
	v_cmp_class_f32_e64 s16, v18, 0x1f8
	s_delay_alu instid0(VALU_DEP_1)
	s_and_saveexec_b32 s75, s16
	s_cbranch_execnz .LBB36_38
.LBB36_33:                              ;   in Loop: Header=BB36_12 Depth=3
	s_or_b32 exec_lo, exec_lo, s75
	s_and_b32 s15, s16, s33
	s_delay_alu instid0(SALU_CYCLE_1)
	s_and_saveexec_b32 s16, s15
	s_cbranch_execz .LBB36_11
	s_branch .LBB36_79
.LBB36_34:                              ;   in Loop: Header=BB36_12 Depth=3
	v_mov_b32_e32 v18, 0
	s_mov_b32 s76, exec_lo
	v_cmpx_neq_f32_e32 0, v17
	s_cbranch_execz .LBB36_36
; %bb.35:                               ;   in Loop: Header=BB36_12 Depth=3
	v_div_scale_f32 v18, null, v14, v14, v7
	v_div_scale_f32 v40, vcc_lo, v7, v14, v7
	s_delay_alu instid0(VALU_DEP_2) | instskip(SKIP_2) | instid1(VALU_DEP_1)
	v_rcp_f32_e32 v19, v18
	s_waitcnt_depctr 0xfff
	v_fma_f32 v39, -v18, v19, 1.0
	v_fmac_f32_e32 v19, v39, v19
	s_delay_alu instid0(VALU_DEP_1) | instskip(NEXT) | instid1(VALU_DEP_1)
	v_mul_f32_e32 v39, v40, v19
	v_fma_f32 v41, -v18, v39, v40
	s_delay_alu instid0(VALU_DEP_1) | instskip(NEXT) | instid1(VALU_DEP_1)
	v_fmac_f32_e32 v39, v41, v19
	v_fma_f32 v18, -v18, v39, v40
	s_delay_alu instid0(VALU_DEP_1) | instskip(NEXT) | instid1(VALU_DEP_1)
	v_div_fmas_f32 v18, v18, v19, v39
	v_div_fixup_f32 v7, v18, v14, v7
	s_delay_alu instid0(VALU_DEP_1) | instskip(NEXT) | instid1(VALU_DEP_1)
	v_fma_f32 v7, v7, v7, 1.0
	v_mul_f32_e32 v18, 0x4f800000, v7
	v_cmp_gt_f32_e32 vcc_lo, 0xf800000, v7
	s_delay_alu instid0(VALU_DEP_2) | instskip(NEXT) | instid1(VALU_DEP_1)
	v_cndmask_b32_e32 v7, v7, v18, vcc_lo
	v_sqrt_f32_e32 v18, v7
	s_waitcnt_depctr 0xfff
	v_add_nc_u32_e32 v19, -1, v18
	v_add_nc_u32_e32 v39, 1, v18
	s_delay_alu instid0(VALU_DEP_2) | instskip(NEXT) | instid1(VALU_DEP_2)
	v_fma_f32 v40, -v19, v18, v7
	v_fma_f32 v41, -v39, v18, v7
	s_delay_alu instid0(VALU_DEP_2) | instskip(NEXT) | instid1(VALU_DEP_1)
	v_cmp_ge_f32_e64 s16, 0, v40
	v_cndmask_b32_e64 v18, v18, v19, s16
	s_delay_alu instid0(VALU_DEP_3) | instskip(NEXT) | instid1(VALU_DEP_1)
	v_cmp_lt_f32_e64 s16, 0, v41
	v_cndmask_b32_e64 v18, v18, v39, s16
	s_delay_alu instid0(VALU_DEP_1) | instskip(NEXT) | instid1(VALU_DEP_1)
	v_mul_f32_e32 v19, 0x37800000, v18
	v_cndmask_b32_e32 v18, v18, v19, vcc_lo
	v_cmp_class_f32_e64 vcc_lo, v7, 0x260
	s_delay_alu instid0(VALU_DEP_2) | instskip(NEXT) | instid1(VALU_DEP_1)
	v_cndmask_b32_e32 v7, v18, v7, vcc_lo
	v_mul_f32_e32 v18, v14, v7
.LBB36_36:                              ;   in Loop: Header=BB36_12 Depth=3
	s_or_b32 exec_lo, exec_lo, s76
                                        ; implicit-def: $vgpr7
                                        ; implicit-def: $vgpr14
	s_and_not1_saveexec_b32 s75, s75
	s_cbranch_execz .LBB36_32
.LBB36_37:                              ;   in Loop: Header=BB36_12 Depth=3
	v_div_scale_f32 v18, null, v7, v7, v14
	v_div_scale_f32 v40, vcc_lo, v14, v7, v14
	s_delay_alu instid0(VALU_DEP_2) | instskip(SKIP_2) | instid1(VALU_DEP_1)
	v_rcp_f32_e32 v19, v18
	s_waitcnt_depctr 0xfff
	v_fma_f32 v39, -v18, v19, 1.0
	v_fmac_f32_e32 v19, v39, v19
	s_delay_alu instid0(VALU_DEP_1) | instskip(NEXT) | instid1(VALU_DEP_1)
	v_mul_f32_e32 v39, v40, v19
	v_fma_f32 v41, -v18, v39, v40
	s_delay_alu instid0(VALU_DEP_1) | instskip(NEXT) | instid1(VALU_DEP_1)
	v_fmac_f32_e32 v39, v41, v19
	v_fma_f32 v18, -v18, v39, v40
	s_delay_alu instid0(VALU_DEP_1) | instskip(NEXT) | instid1(VALU_DEP_1)
	v_div_fmas_f32 v18, v18, v19, v39
	v_div_fixup_f32 v14, v18, v7, v14
	s_delay_alu instid0(VALU_DEP_1) | instskip(NEXT) | instid1(VALU_DEP_1)
	v_fma_f32 v14, v14, v14, 1.0
	v_mul_f32_e32 v18, 0x4f800000, v14
	v_cmp_gt_f32_e32 vcc_lo, 0xf800000, v14
	s_delay_alu instid0(VALU_DEP_2) | instskip(NEXT) | instid1(VALU_DEP_1)
	v_cndmask_b32_e32 v14, v14, v18, vcc_lo
	v_sqrt_f32_e32 v18, v14
	s_waitcnt_depctr 0xfff
	v_add_nc_u32_e32 v19, -1, v18
	v_add_nc_u32_e32 v39, 1, v18
	s_delay_alu instid0(VALU_DEP_2) | instskip(NEXT) | instid1(VALU_DEP_2)
	v_fma_f32 v40, -v19, v18, v14
	v_fma_f32 v41, -v39, v18, v14
	s_delay_alu instid0(VALU_DEP_2) | instskip(NEXT) | instid1(VALU_DEP_1)
	v_cmp_ge_f32_e64 s16, 0, v40
	v_cndmask_b32_e64 v18, v18, v19, s16
	s_delay_alu instid0(VALU_DEP_3) | instskip(NEXT) | instid1(VALU_DEP_1)
	v_cmp_lt_f32_e64 s16, 0, v41
	v_cndmask_b32_e64 v18, v18, v39, s16
	s_delay_alu instid0(VALU_DEP_1) | instskip(NEXT) | instid1(VALU_DEP_1)
	v_mul_f32_e32 v19, 0x37800000, v18
	v_cndmask_b32_e32 v18, v18, v19, vcc_lo
	v_cmp_class_f32_e64 vcc_lo, v14, 0x260
	s_delay_alu instid0(VALU_DEP_2) | instskip(NEXT) | instid1(VALU_DEP_1)
	v_cndmask_b32_e32 v14, v18, v14, vcc_lo
	v_mul_f32_e32 v18, v7, v14
	s_or_b32 exec_lo, exec_lo, s75
	s_delay_alu instid0(VALU_DEP_1) | instskip(NEXT) | instid1(VALU_DEP_1)
	v_cmp_class_f32_e64 s16, v18, 0x1f8
	s_and_saveexec_b32 s75, s16
	s_cbranch_execz .LBB36_33
.LBB36_38:                              ;   in Loop: Header=BB36_12 Depth=3
	s_and_saveexec_b32 s76, s15
	s_delay_alu instid0(SALU_CYCLE_1)
	s_xor_b32 s76, exec_lo, s76
	s_cbranch_execz .LBB36_63
; %bb.39:                               ;   in Loop: Header=BB36_12 Depth=3
	s_mov_b32 s15, exec_lo
	v_cmpx_ge_i32_e64 v5, v9
	s_xor_b32 s77, exec_lo, s15
	s_cbranch_execz .LBB36_47
; %bb.40:                               ;   in Loop: Header=BB36_12 Depth=3
	v_lshlrev_b64 v[18:19], 3, v[9:10]
	s_delay_alu instid0(VALU_DEP_1) | instskip(NEXT) | instid1(VALU_DEP_2)
	v_add_co_u32 v39, vcc_lo, s54, v18
	v_add_co_ci_u32_e32 v40, vcc_lo, s55, v19, vcc_lo
	s_and_not1_b32 vcc_lo, exec_lo, s60
	global_store_b64 v[39:40], v[16:17], off
	s_cbranch_vccnz .LBB36_46
; %bb.41:                               ;   in Loop: Header=BB36_12 Depth=3
	v_add_co_u32 v18, vcc_lo, s52, v18
	v_add_co_ci_u32_e32 v19, vcc_lo, s53, v19, vcc_lo
	s_mov_b32 s15, exec_lo
	global_load_b64 v[18:19], v[18:19], off
	s_waitcnt vmcnt(0)
	v_sub_f32_e32 v7, v18, v16
	v_sub_f32_e32 v17, v19, v17
                                        ; implicit-def: $vgpr16
	s_delay_alu instid0(VALU_DEP_2) | instskip(SKIP_1) | instid1(VALU_DEP_3)
	v_cmp_gt_f32_e32 vcc_lo, 0, v7
	v_cndmask_b32_e64 v7, v7, -v7, vcc_lo
	v_cmp_gt_f32_e32 vcc_lo, 0, v17
	v_cndmask_b32_e64 v14, v17, -v17, vcc_lo
	s_delay_alu instid0(VALU_DEP_1)
	v_cmpx_ngt_f32_e32 v7, v14
	s_xor_b32 s78, exec_lo, s15
	s_cbranch_execnz .LBB36_107
; %bb.42:                               ;   in Loop: Header=BB36_12 Depth=3
	s_and_not1_saveexec_b32 s78, s78
	s_cbranch_execnz .LBB36_110
.LBB36_43:                              ;   in Loop: Header=BB36_12 Depth=3
	s_or_b32 exec_lo, exec_lo, s78
	v_cmp_class_f32_e64 s78, v16, 0x1f8
	s_delay_alu instid0(VALU_DEP_1)
	s_and_saveexec_b32 s15, s78
.LBB36_44:                              ;   in Loop: Header=BB36_12 Depth=3
	v_cmp_lt_f32_e32 vcc_lo, v2, v16
	v_cndmask_b32_e32 v2, v2, v16, vcc_lo
.LBB36_45:                              ;   in Loop: Header=BB36_12 Depth=3
	s_or_b32 exec_lo, exec_lo, s15
.LBB36_46:                              ;   in Loop: Header=BB36_12 Depth=3
                                        ; implicit-def: $vgpr16
.LBB36_47:                              ;   in Loop: Header=BB36_12 Depth=3
	s_and_not1_saveexec_b32 s77, s77
	s_cbranch_execz .LBB36_62
; %bb.48:                               ;   in Loop: Header=BB36_12 Depth=3
	s_mov_b32 s78, exec_lo
	v_cmpx_lt_i32_e64 v15, v38
	s_cbranch_execz .LBB36_61
; %bb.49:                               ;   in Loop: Header=BB36_12 Depth=3
	v_mov_b32_e32 v7, v15
	s_mov_b32 s15, 0
                                        ; implicit-def: $sgpr79
                                        ; implicit-def: $sgpr81
                                        ; implicit-def: $sgpr80
	s_set_inst_prefetch_distance 0x1
	s_branch .LBB36_51
	.p2align	6
.LBB36_50:                              ;   in Loop: Header=BB36_51 Depth=4
	s_or_b32 exec_lo, exec_lo, s82
	s_delay_alu instid0(SALU_CYCLE_1) | instskip(NEXT) | instid1(SALU_CYCLE_1)
	s_and_b32 s82, exec_lo, s81
	s_or_b32 s15, s82, s15
	s_and_not1_b32 s79, s79, exec_lo
	s_and_b32 s82, s80, exec_lo
	s_delay_alu instid0(SALU_CYCLE_1)
	s_or_b32 s79, s79, s82
	s_and_not1_b32 exec_lo, exec_lo, s15
	s_cbranch_execz .LBB36_53
.LBB36_51:                              ;   Parent Loop BB36_3 Depth=1
                                        ;     Parent Loop BB36_7 Depth=2
                                        ;       Parent Loop BB36_12 Depth=3
                                        ; =>      This Inner Loop Header: Depth=4
	s_delay_alu instid0(VALU_DEP_1) | instskip(SKIP_3) | instid1(VALU_DEP_1)
	v_add_nc_u32_e32 v18, v13, v7
	s_or_b32 s80, s80, exec_lo
	s_or_b32 s81, s81, exec_lo
	s_mov_b32 s82, exec_lo
	v_ashrrev_i32_e32 v19, 31, v18
	s_delay_alu instid0(VALU_DEP_1) | instskip(NEXT) | instid1(VALU_DEP_1)
	v_lshlrev_b64 v[39:40], 2, v[18:19]
	v_add_co_u32 v39, vcc_lo, s24, v39
	s_delay_alu instid0(VALU_DEP_2) | instskip(SKIP_3) | instid1(VALU_DEP_1)
	v_add_co_ci_u32_e32 v40, vcc_lo, s25, v40, vcc_lo
	global_load_b32 v14, v[39:40], off
	s_waitcnt vmcnt(0)
	v_subrev_nc_u32_e32 v14, s66, v14
	v_cmpx_ne_u32_e64 v14, v5
	s_cbranch_execz .LBB36_50
; %bb.52:                               ;   in Loop: Header=BB36_51 Depth=4
	v_add_nc_u32_e32 v7, 1, v7
	s_and_not1_b32 s81, s81, exec_lo
	s_and_not1_b32 s80, s80, exec_lo
	s_delay_alu instid0(VALU_DEP_1) | instskip(SKIP_1) | instid1(SALU_CYCLE_1)
	v_cmp_ge_i32_e32 vcc_lo, v7, v38
	s_and_b32 s83, vcc_lo, exec_lo
	s_or_b32 s81, s81, s83
	s_branch .LBB36_50
.LBB36_53:                              ;   in Loop: Header=BB36_12 Depth=3
	s_set_inst_prefetch_distance 0x2
	s_or_b32 exec_lo, exec_lo, s15
	s_and_saveexec_b32 s15, s79
	s_delay_alu instid0(SALU_CYCLE_1)
	s_xor_b32 s79, exec_lo, s15
	s_cbranch_execz .LBB36_60
; %bb.54:                               ;   in Loop: Header=BB36_12 Depth=3
	v_lshlrev_b64 v[18:19], 3, v[18:19]
	s_delay_alu instid0(VALU_DEP_1) | instskip(NEXT) | instid1(VALU_DEP_2)
	v_add_co_u32 v39, vcc_lo, s58, v18
	v_add_co_ci_u32_e32 v40, vcc_lo, s59, v19, vcc_lo
	s_and_not1_b32 vcc_lo, exec_lo, s60
	global_store_b64 v[39:40], v[16:17], off
	s_cbranch_vccnz .LBB36_60
; %bb.55:                               ;   in Loop: Header=BB36_12 Depth=3
	v_add_co_u32 v18, vcc_lo, s26, v18
	v_add_co_ci_u32_e32 v19, vcc_lo, s27, v19, vcc_lo
	s_mov_b32 s15, exec_lo
	global_load_b64 v[18:19], v[18:19], off
	s_waitcnt vmcnt(0)
	v_sub_f32_e32 v7, v18, v16
	v_sub_f32_e32 v17, v19, v17
                                        ; implicit-def: $vgpr16
	s_delay_alu instid0(VALU_DEP_2) | instskip(SKIP_1) | instid1(VALU_DEP_3)
	v_cmp_gt_f32_e32 vcc_lo, 0, v7
	v_cndmask_b32_e64 v7, v7, -v7, vcc_lo
	v_cmp_gt_f32_e32 vcc_lo, 0, v17
	v_cndmask_b32_e64 v14, v17, -v17, vcc_lo
	s_delay_alu instid0(VALU_DEP_1)
	v_cmpx_ngt_f32_e32 v7, v14
	s_xor_b32 s80, exec_lo, s15
	s_cbranch_execnz .LBB36_115
; %bb.56:                               ;   in Loop: Header=BB36_12 Depth=3
	s_and_not1_saveexec_b32 s80, s80
	s_cbranch_execnz .LBB36_118
.LBB36_57:                              ;   in Loop: Header=BB36_12 Depth=3
	s_or_b32 exec_lo, exec_lo, s80
	v_cmp_class_f32_e64 s80, v16, 0x1f8
	s_delay_alu instid0(VALU_DEP_1)
	s_and_saveexec_b32 s15, s80
.LBB36_58:                              ;   in Loop: Header=BB36_12 Depth=3
	v_cmp_lt_f32_e32 vcc_lo, v2, v16
	v_cndmask_b32_e32 v2, v2, v16, vcc_lo
.LBB36_59:                              ;   in Loop: Header=BB36_12 Depth=3
	s_or_b32 exec_lo, exec_lo, s15
.LBB36_60:                              ;   in Loop: Header=BB36_12 Depth=3
	s_delay_alu instid0(SALU_CYCLE_1)
	s_or_b32 exec_lo, exec_lo, s79
.LBB36_61:                              ;   in Loop: Header=BB36_12 Depth=3
	s_delay_alu instid0(SALU_CYCLE_1)
	s_or_b32 exec_lo, exec_lo, s78
.LBB36_62:                              ;   in Loop: Header=BB36_12 Depth=3
	s_delay_alu instid0(SALU_CYCLE_1)
	s_or_b32 exec_lo, exec_lo, s77
                                        ; implicit-def: $vgpr16
.LBB36_63:                              ;   in Loop: Header=BB36_12 Depth=3
	s_and_not1_saveexec_b32 s76, s76
	s_cbranch_execz .LBB36_78
; %bb.64:                               ;   in Loop: Header=BB36_12 Depth=3
	s_mov_b32 s77, exec_lo
	v_cmpx_lt_i32_e64 v3, v31
	s_cbranch_execz .LBB36_77
; %bb.65:                               ;   in Loop: Header=BB36_12 Depth=3
	v_mov_b32_e32 v7, v3
	s_mov_b32 s15, 0
                                        ; implicit-def: $sgpr78
                                        ; implicit-def: $sgpr80
                                        ; implicit-def: $sgpr79
	s_set_inst_prefetch_distance 0x1
	s_branch .LBB36_67
	.p2align	6
.LBB36_66:                              ;   in Loop: Header=BB36_67 Depth=4
	s_or_b32 exec_lo, exec_lo, s81
	s_delay_alu instid0(SALU_CYCLE_1) | instskip(NEXT) | instid1(SALU_CYCLE_1)
	s_and_b32 s81, exec_lo, s80
	s_or_b32 s15, s81, s15
	s_and_not1_b32 s78, s78, exec_lo
	s_and_b32 s81, s79, exec_lo
	s_delay_alu instid0(SALU_CYCLE_1)
	s_or_b32 s78, s78, s81
	s_and_not1_b32 exec_lo, exec_lo, s15
	s_cbranch_execz .LBB36_69
.LBB36_67:                              ;   Parent Loop BB36_3 Depth=1
                                        ;     Parent Loop BB36_7 Depth=2
                                        ;       Parent Loop BB36_12 Depth=3
                                        ; =>      This Inner Loop Header: Depth=4
	s_delay_alu instid0(VALU_DEP_1) | instskip(SKIP_3) | instid1(VALU_DEP_1)
	v_add_nc_u32_e32 v18, v8, v7
	s_or_b32 s79, s79, exec_lo
	s_or_b32 s80, s80, exec_lo
	s_mov_b32 s81, exec_lo
	v_ashrrev_i32_e32 v19, 31, v18
	s_delay_alu instid0(VALU_DEP_1) | instskip(NEXT) | instid1(VALU_DEP_1)
	v_lshlrev_b64 v[39:40], 2, v[18:19]
	v_add_co_u32 v39, vcc_lo, s40, v39
	s_delay_alu instid0(VALU_DEP_2) | instskip(SKIP_3) | instid1(VALU_DEP_1)
	v_add_co_ci_u32_e32 v40, vcc_lo, s41, v40, vcc_lo
	global_load_b32 v14, v[39:40], off
	s_waitcnt vmcnt(0)
	v_subrev_nc_u32_e32 v14, s65, v14
	v_cmpx_ne_u32_e64 v14, v9
	s_cbranch_execz .LBB36_66
; %bb.68:                               ;   in Loop: Header=BB36_67 Depth=4
	v_add_nc_u32_e32 v7, 1, v7
	s_and_not1_b32 s80, s80, exec_lo
	s_and_not1_b32 s79, s79, exec_lo
	s_delay_alu instid0(VALU_DEP_1) | instskip(SKIP_1) | instid1(SALU_CYCLE_1)
	v_cmp_ge_i32_e32 vcc_lo, v7, v31
	s_and_b32 s82, vcc_lo, exec_lo
	s_or_b32 s80, s80, s82
	s_branch .LBB36_66
.LBB36_69:                              ;   in Loop: Header=BB36_12 Depth=3
	s_set_inst_prefetch_distance 0x2
	s_or_b32 exec_lo, exec_lo, s15
	s_and_saveexec_b32 s15, s78
	s_delay_alu instid0(SALU_CYCLE_1)
	s_xor_b32 s78, exec_lo, s15
	s_cbranch_execz .LBB36_76
; %bb.70:                               ;   in Loop: Header=BB36_12 Depth=3
	v_lshlrev_b64 v[18:19], 3, v[18:19]
	s_delay_alu instid0(VALU_DEP_1) | instskip(NEXT) | instid1(VALU_DEP_2)
	v_add_co_u32 v39, vcc_lo, s56, v18
	v_add_co_ci_u32_e32 v40, vcc_lo, s57, v19, vcc_lo
	s_and_not1_b32 vcc_lo, exec_lo, s60
	global_store_b64 v[39:40], v[16:17], off
	s_cbranch_vccnz .LBB36_76
; %bb.71:                               ;   in Loop: Header=BB36_12 Depth=3
	v_add_co_u32 v18, vcc_lo, s42, v18
	v_add_co_ci_u32_e32 v19, vcc_lo, s43, v19, vcc_lo
	s_mov_b32 s15, exec_lo
	global_load_b64 v[18:19], v[18:19], off
	s_waitcnt vmcnt(0)
	v_sub_f32_e32 v7, v18, v16
	v_sub_f32_e32 v17, v19, v17
                                        ; implicit-def: $vgpr16
	s_delay_alu instid0(VALU_DEP_2) | instskip(SKIP_1) | instid1(VALU_DEP_3)
	v_cmp_gt_f32_e32 vcc_lo, 0, v7
	v_cndmask_b32_e64 v7, v7, -v7, vcc_lo
	v_cmp_gt_f32_e32 vcc_lo, 0, v17
	v_cndmask_b32_e64 v14, v17, -v17, vcc_lo
	s_delay_alu instid0(VALU_DEP_1)
	v_cmpx_ngt_f32_e32 v7, v14
	s_xor_b32 s79, exec_lo, s15
	s_cbranch_execnz .LBB36_111
; %bb.72:                               ;   in Loop: Header=BB36_12 Depth=3
	s_and_not1_saveexec_b32 s79, s79
	s_cbranch_execnz .LBB36_114
.LBB36_73:                              ;   in Loop: Header=BB36_12 Depth=3
	s_or_b32 exec_lo, exec_lo, s79
	v_cmp_class_f32_e64 s79, v16, 0x1f8
	s_delay_alu instid0(VALU_DEP_1)
	s_and_saveexec_b32 s15, s79
.LBB36_74:                              ;   in Loop: Header=BB36_12 Depth=3
	v_cmp_lt_f32_e32 vcc_lo, v2, v16
	v_cndmask_b32_e32 v2, v2, v16, vcc_lo
.LBB36_75:                              ;   in Loop: Header=BB36_12 Depth=3
	s_or_b32 exec_lo, exec_lo, s15
.LBB36_76:                              ;   in Loop: Header=BB36_12 Depth=3
	s_delay_alu instid0(SALU_CYCLE_1)
	s_or_b32 exec_lo, exec_lo, s78
.LBB36_77:                              ;   in Loop: Header=BB36_12 Depth=3
	s_delay_alu instid0(SALU_CYCLE_1)
	s_or_b32 exec_lo, exec_lo, s77
.LBB36_78:                              ;   in Loop: Header=BB36_12 Depth=3
	s_delay_alu instid0(SALU_CYCLE_1) | instskip(NEXT) | instid1(SALU_CYCLE_1)
	s_or_b32 exec_lo, exec_lo, s76
	s_or_b32 exec_lo, exec_lo, s75
	s_and_b32 s15, s16, s33
	s_delay_alu instid0(SALU_CYCLE_1)
	s_and_saveexec_b32 s16, s15
	s_cbranch_execz .LBB36_11
.LBB36_79:                              ;   in Loop: Header=BB36_12 Depth=3
	s_mov_b32 s15, exec_lo
	v_cmpx_ge_i32_e64 v15, v38
	s_xor_b32 s15, exec_lo, s15
	s_cbranch_execnz .LBB36_86
; %bb.80:                               ;   in Loop: Header=BB36_12 Depth=3
	s_and_not1_saveexec_b32 s15, s15
	s_cbranch_execnz .LBB36_100
.LBB36_81:                              ;   in Loop: Header=BB36_12 Depth=3
	s_or_b32 exec_lo, exec_lo, s15
	s_delay_alu instid0(SALU_CYCLE_1)
	s_mov_b32 s15, exec_lo
	v_cmpx_eq_u32_e64 v5, v9
	s_cbranch_execz .LBB36_83
.LBB36_82:                              ;   in Loop: Header=BB36_12 Depth=3
	v_lshlrev_b64 v[9:10], 3, v[9:10]
	s_delay_alu instid0(VALU_DEP_1) | instskip(NEXT) | instid1(VALU_DEP_2)
	v_add_co_u32 v9, vcc_lo, s52, v9
	v_add_co_ci_u32_e32 v10, vcc_lo, s53, v10, vcc_lo
	global_load_b64 v[9:10], v[9:10], off
	s_waitcnt vmcnt(0)
	v_dual_add_f32 v36, v36, v9 :: v_dual_add_f32 v37, v37, v10
.LBB36_83:                              ;   in Loop: Header=BB36_12 Depth=3
	s_or_b32 exec_lo, exec_lo, s15
	s_delay_alu instid0(VALU_DEP_1) | instskip(SKIP_1) | instid1(VALU_DEP_1)
	v_dual_sub_f32 v3, v11, v36 :: v_dual_sub_f32 v10, v12, v37
                                        ; implicit-def: $vgpr9
	s_mov_b32 s15, exec_lo
	v_cmp_gt_f32_e32 vcc_lo, 0, v3
	v_cndmask_b32_e64 v3, v3, -v3, vcc_lo
	s_delay_alu instid0(VALU_DEP_3) | instskip(SKIP_1) | instid1(VALU_DEP_1)
	v_cmp_gt_f32_e32 vcc_lo, 0, v10
	v_cndmask_b32_e64 v7, v10, -v10, vcc_lo
	v_cmpx_ngt_f32_e32 v3, v7
	s_xor_b32 s75, exec_lo, s15
	s_cbranch_execnz .LBB36_91
; %bb.84:                               ;   in Loop: Header=BB36_12 Depth=3
	s_and_not1_saveexec_b32 s75, s75
	s_cbranch_execnz .LBB36_94
.LBB36_85:                              ;   in Loop: Header=BB36_12 Depth=3
	s_or_b32 exec_lo, exec_lo, s75
	v_cmp_class_f32_e64 s75, v9, 0x1f8
	s_delay_alu instid0(VALU_DEP_1)
	s_and_saveexec_b32 s15, s75
	s_cbranch_execz .LBB36_10
	s_branch .LBB36_95
.LBB36_86:                              ;   in Loop: Header=BB36_12 Depth=3
	s_mov_b32 s75, exec_lo
	v_cmpx_lt_i32_e64 v3, v31
	s_cbranch_execz .LBB36_99
; %bb.87:                               ;   in Loop: Header=BB36_12 Depth=3
	s_mov_b32 s77, 0
                                        ; implicit-def: $sgpr76
                                        ; implicit-def: $sgpr79
                                        ; implicit-def: $sgpr78
	s_set_inst_prefetch_distance 0x1
	s_branch .LBB36_89
	.p2align	6
.LBB36_88:                              ;   in Loop: Header=BB36_89 Depth=4
	s_or_b32 exec_lo, exec_lo, s80
	s_delay_alu instid0(SALU_CYCLE_1) | instskip(NEXT) | instid1(SALU_CYCLE_1)
	s_and_b32 s80, exec_lo, s79
	s_or_b32 s77, s80, s77
	s_and_not1_b32 s76, s76, exec_lo
	s_and_b32 s80, s78, exec_lo
	s_delay_alu instid0(SALU_CYCLE_1)
	s_or_b32 s76, s76, s80
	s_and_not1_b32 exec_lo, exec_lo, s77
	s_cbranch_execz .LBB36_96
.LBB36_89:                              ;   Parent Loop BB36_3 Depth=1
                                        ;     Parent Loop BB36_7 Depth=2
                                        ;       Parent Loop BB36_12 Depth=3
                                        ; =>      This Inner Loop Header: Depth=4
	v_add_nc_u32_e32 v13, v8, v3
	s_or_b32 s78, s78, exec_lo
	s_or_b32 s79, s79, exec_lo
	s_mov_b32 s80, exec_lo
	s_delay_alu instid0(VALU_DEP_1) | instskip(NEXT) | instid1(VALU_DEP_1)
	v_ashrrev_i32_e32 v14, 31, v13
	v_lshlrev_b64 v[15:16], 2, v[13:14]
	s_delay_alu instid0(VALU_DEP_1) | instskip(NEXT) | instid1(VALU_DEP_2)
	v_add_co_u32 v15, vcc_lo, s40, v15
	v_add_co_ci_u32_e32 v16, vcc_lo, s41, v16, vcc_lo
	global_load_b32 v7, v[15:16], off
	s_waitcnt vmcnt(0)
	v_subrev_nc_u32_e32 v7, s65, v7
	s_delay_alu instid0(VALU_DEP_1)
	v_cmpx_ne_u32_e64 v7, v9
	s_cbranch_execz .LBB36_88
; %bb.90:                               ;   in Loop: Header=BB36_89 Depth=4
	v_add_nc_u32_e32 v3, 1, v3
	s_and_not1_b32 s79, s79, exec_lo
	s_and_not1_b32 s78, s78, exec_lo
	s_delay_alu instid0(VALU_DEP_1) | instskip(SKIP_1) | instid1(SALU_CYCLE_1)
	v_cmp_ge_i32_e32 vcc_lo, v3, v31
	s_and_b32 s81, vcc_lo, exec_lo
	s_or_b32 s79, s79, s81
	s_branch .LBB36_88
.LBB36_91:                              ;   in Loop: Header=BB36_12 Depth=3
	v_mov_b32_e32 v9, 0
	s_mov_b32 s76, exec_lo
	v_cmpx_neq_f32_e32 0, v10
	s_cbranch_execz .LBB36_93
; %bb.92:                               ;   in Loop: Header=BB36_12 Depth=3
	v_div_scale_f32 v9, null, v7, v7, v3
	v_div_scale_f32 v12, vcc_lo, v3, v7, v3
	s_delay_alu instid0(VALU_DEP_2) | instskip(SKIP_2) | instid1(VALU_DEP_1)
	v_rcp_f32_e32 v10, v9
	s_waitcnt_depctr 0xfff
	v_fma_f32 v11, -v9, v10, 1.0
	v_fmac_f32_e32 v10, v11, v10
	s_delay_alu instid0(VALU_DEP_1) | instskip(NEXT) | instid1(VALU_DEP_1)
	v_mul_f32_e32 v11, v12, v10
	v_fma_f32 v13, -v9, v11, v12
	s_delay_alu instid0(VALU_DEP_1) | instskip(NEXT) | instid1(VALU_DEP_1)
	v_fmac_f32_e32 v11, v13, v10
	v_fma_f32 v9, -v9, v11, v12
	s_delay_alu instid0(VALU_DEP_1) | instskip(NEXT) | instid1(VALU_DEP_1)
	v_div_fmas_f32 v9, v9, v10, v11
	v_div_fixup_f32 v3, v9, v7, v3
	s_delay_alu instid0(VALU_DEP_1) | instskip(NEXT) | instid1(VALU_DEP_1)
	v_fma_f32 v3, v3, v3, 1.0
	v_mul_f32_e32 v9, 0x4f800000, v3
	v_cmp_gt_f32_e32 vcc_lo, 0xf800000, v3
	s_delay_alu instid0(VALU_DEP_2) | instskip(NEXT) | instid1(VALU_DEP_1)
	v_cndmask_b32_e32 v3, v3, v9, vcc_lo
	v_sqrt_f32_e32 v9, v3
	s_waitcnt_depctr 0xfff
	v_add_nc_u32_e32 v10, -1, v9
	v_add_nc_u32_e32 v11, 1, v9
	s_delay_alu instid0(VALU_DEP_2) | instskip(NEXT) | instid1(VALU_DEP_2)
	v_fma_f32 v12, -v10, v9, v3
	v_fma_f32 v13, -v11, v9, v3
	s_delay_alu instid0(VALU_DEP_2) | instskip(NEXT) | instid1(VALU_DEP_1)
	v_cmp_ge_f32_e64 s15, 0, v12
	v_cndmask_b32_e64 v9, v9, v10, s15
	s_delay_alu instid0(VALU_DEP_3) | instskip(NEXT) | instid1(VALU_DEP_1)
	v_cmp_lt_f32_e64 s15, 0, v13
	v_cndmask_b32_e64 v9, v9, v11, s15
	s_delay_alu instid0(VALU_DEP_1) | instskip(NEXT) | instid1(VALU_DEP_1)
	v_mul_f32_e32 v10, 0x37800000, v9
	v_cndmask_b32_e32 v9, v9, v10, vcc_lo
	v_cmp_class_f32_e64 vcc_lo, v3, 0x260
	s_delay_alu instid0(VALU_DEP_2) | instskip(NEXT) | instid1(VALU_DEP_1)
	v_cndmask_b32_e32 v3, v9, v3, vcc_lo
	v_mul_f32_e32 v9, v7, v3
.LBB36_93:                              ;   in Loop: Header=BB36_12 Depth=3
	s_or_b32 exec_lo, exec_lo, s76
                                        ; implicit-def: $vgpr3
                                        ; implicit-def: $vgpr7
	s_and_not1_saveexec_b32 s75, s75
	s_cbranch_execz .LBB36_85
.LBB36_94:                              ;   in Loop: Header=BB36_12 Depth=3
	v_div_scale_f32 v9, null, v3, v3, v7
	v_div_scale_f32 v12, vcc_lo, v7, v3, v7
	s_delay_alu instid0(VALU_DEP_2) | instskip(SKIP_2) | instid1(VALU_DEP_1)
	v_rcp_f32_e32 v10, v9
	s_waitcnt_depctr 0xfff
	v_fma_f32 v11, -v9, v10, 1.0
	v_fmac_f32_e32 v10, v11, v10
	s_delay_alu instid0(VALU_DEP_1) | instskip(NEXT) | instid1(VALU_DEP_1)
	v_mul_f32_e32 v11, v12, v10
	v_fma_f32 v13, -v9, v11, v12
	s_delay_alu instid0(VALU_DEP_1) | instskip(NEXT) | instid1(VALU_DEP_1)
	v_fmac_f32_e32 v11, v13, v10
	v_fma_f32 v9, -v9, v11, v12
	s_delay_alu instid0(VALU_DEP_1) | instskip(NEXT) | instid1(VALU_DEP_1)
	v_div_fmas_f32 v9, v9, v10, v11
	v_div_fixup_f32 v7, v9, v3, v7
	s_delay_alu instid0(VALU_DEP_1) | instskip(NEXT) | instid1(VALU_DEP_1)
	v_fma_f32 v7, v7, v7, 1.0
	v_mul_f32_e32 v9, 0x4f800000, v7
	v_cmp_gt_f32_e32 vcc_lo, 0xf800000, v7
	s_delay_alu instid0(VALU_DEP_2) | instskip(NEXT) | instid1(VALU_DEP_1)
	v_cndmask_b32_e32 v7, v7, v9, vcc_lo
	v_sqrt_f32_e32 v9, v7
	s_waitcnt_depctr 0xfff
	v_add_nc_u32_e32 v10, -1, v9
	v_add_nc_u32_e32 v11, 1, v9
	s_delay_alu instid0(VALU_DEP_2) | instskip(NEXT) | instid1(VALU_DEP_2)
	v_fma_f32 v12, -v10, v9, v7
	v_fma_f32 v13, -v11, v9, v7
	s_delay_alu instid0(VALU_DEP_2) | instskip(NEXT) | instid1(VALU_DEP_1)
	v_cmp_ge_f32_e64 s15, 0, v12
	v_cndmask_b32_e64 v9, v9, v10, s15
	s_delay_alu instid0(VALU_DEP_3) | instskip(NEXT) | instid1(VALU_DEP_1)
	v_cmp_lt_f32_e64 s15, 0, v13
	v_cndmask_b32_e64 v9, v9, v11, s15
	s_delay_alu instid0(VALU_DEP_1) | instskip(NEXT) | instid1(VALU_DEP_1)
	v_mul_f32_e32 v10, 0x37800000, v9
	v_cndmask_b32_e32 v9, v9, v10, vcc_lo
	v_cmp_class_f32_e64 vcc_lo, v7, 0x260
	s_delay_alu instid0(VALU_DEP_2) | instskip(NEXT) | instid1(VALU_DEP_1)
	v_cndmask_b32_e32 v7, v9, v7, vcc_lo
	v_mul_f32_e32 v9, v3, v7
	s_or_b32 exec_lo, exec_lo, s75
	s_delay_alu instid0(VALU_DEP_1) | instskip(NEXT) | instid1(VALU_DEP_1)
	v_cmp_class_f32_e64 s75, v9, 0x1f8
	s_and_saveexec_b32 s15, s75
	s_cbranch_execz .LBB36_10
.LBB36_95:                              ;   in Loop: Header=BB36_12 Depth=3
	v_cmp_lt_f32_e32 vcc_lo, v1, v9
	v_cndmask_b32_e32 v1, v1, v9, vcc_lo
	s_branch .LBB36_10
.LBB36_96:                              ;   in Loop: Header=BB36_12 Depth=3
	s_set_inst_prefetch_distance 0x2
	s_or_b32 exec_lo, exec_lo, s77
	s_and_saveexec_b32 s77, s76
	s_delay_alu instid0(SALU_CYCLE_1)
	s_xor_b32 s76, exec_lo, s77
	s_cbranch_execz .LBB36_98
; %bb.97:                               ;   in Loop: Header=BB36_12 Depth=3
	v_lshlrev_b64 v[13:14], 3, v[13:14]
	v_lshlrev_b64 v[15:16], 3, v[9:10]
	s_delay_alu instid0(VALU_DEP_2) | instskip(NEXT) | instid1(VALU_DEP_3)
	v_add_co_u32 v13, vcc_lo, s42, v13
	v_add_co_ci_u32_e32 v14, vcc_lo, s43, v14, vcc_lo
	s_delay_alu instid0(VALU_DEP_3) | instskip(NEXT) | instid1(VALU_DEP_4)
	v_add_co_u32 v15, vcc_lo, s52, v15
	v_add_co_ci_u32_e32 v16, vcc_lo, s53, v16, vcc_lo
	global_load_b64 v[13:14], v[13:14], off
	global_load_b64 v[15:16], v[15:16], off
	s_waitcnt vmcnt(0)
	v_mul_f32_e64 v3, v16, -v14
	v_mul_f32_e32 v7, v16, v13
	s_delay_alu instid0(VALU_DEP_2) | instskip(NEXT) | instid1(VALU_DEP_2)
	v_fmac_f32_e32 v3, v13, v15
	v_fmac_f32_e32 v7, v14, v15
	s_delay_alu instid0(VALU_DEP_2) | instskip(NEXT) | instid1(VALU_DEP_2)
	v_add_f32_e32 v36, v36, v3
	v_add_f32_e32 v37, v37, v7
.LBB36_98:                              ;   in Loop: Header=BB36_12 Depth=3
	s_or_b32 exec_lo, exec_lo, s76
.LBB36_99:                              ;   in Loop: Header=BB36_12 Depth=3
	s_delay_alu instid0(SALU_CYCLE_1)
	s_or_b32 exec_lo, exec_lo, s75
                                        ; implicit-def: $vgpr15
                                        ; implicit-def: $vgpr13
                                        ; implicit-def: $vgpr38
	s_and_not1_saveexec_b32 s15, s15
	s_cbranch_execz .LBB36_81
.LBB36_100:                             ;   in Loop: Header=BB36_12 Depth=3
	s_mov_b32 s76, 0
                                        ; implicit-def: $sgpr75
                                        ; implicit-def: $sgpr78
                                        ; implicit-def: $sgpr77
	s_set_inst_prefetch_distance 0x1
	s_branch .LBB36_102
	.p2align	6
.LBB36_101:                             ;   in Loop: Header=BB36_102 Depth=4
	s_or_b32 exec_lo, exec_lo, s79
	s_delay_alu instid0(SALU_CYCLE_1) | instskip(NEXT) | instid1(SALU_CYCLE_1)
	s_and_b32 s79, exec_lo, s78
	s_or_b32 s76, s79, s76
	s_and_not1_b32 s75, s75, exec_lo
	s_and_b32 s79, s77, exec_lo
	s_delay_alu instid0(SALU_CYCLE_1)
	s_or_b32 s75, s75, s79
	s_and_not1_b32 exec_lo, exec_lo, s76
	s_cbranch_execz .LBB36_104
.LBB36_102:                             ;   Parent Loop BB36_3 Depth=1
                                        ;     Parent Loop BB36_7 Depth=2
                                        ;       Parent Loop BB36_12 Depth=3
                                        ; =>      This Inner Loop Header: Depth=4
	v_add_nc_u32_e32 v16, v13, v15
	s_or_b32 s77, s77, exec_lo
	s_or_b32 s78, s78, exec_lo
	s_mov_b32 s79, exec_lo
	s_delay_alu instid0(VALU_DEP_1) | instskip(NEXT) | instid1(VALU_DEP_1)
	v_ashrrev_i32_e32 v17, 31, v16
	v_lshlrev_b64 v[18:19], 2, v[16:17]
	s_delay_alu instid0(VALU_DEP_1) | instskip(NEXT) | instid1(VALU_DEP_2)
	v_add_co_u32 v18, vcc_lo, s24, v18
	v_add_co_ci_u32_e32 v19, vcc_lo, s25, v19, vcc_lo
	global_load_b32 v3, v[18:19], off
	s_waitcnt vmcnt(0)
	v_subrev_nc_u32_e32 v3, s66, v3
	s_delay_alu instid0(VALU_DEP_1)
	v_cmpx_ne_u32_e64 v3, v5
	s_cbranch_execz .LBB36_101
; %bb.103:                              ;   in Loop: Header=BB36_102 Depth=4
	v_add_nc_u32_e32 v15, 1, v15
	s_and_not1_b32 s78, s78, exec_lo
	s_and_not1_b32 s77, s77, exec_lo
	s_delay_alu instid0(VALU_DEP_1) | instskip(SKIP_1) | instid1(SALU_CYCLE_1)
	v_cmp_ge_i32_e32 vcc_lo, v15, v38
	s_and_b32 s80, vcc_lo, exec_lo
	s_or_b32 s78, s78, s80
	s_branch .LBB36_101
.LBB36_104:                             ;   in Loop: Header=BB36_12 Depth=3
	s_set_inst_prefetch_distance 0x2
	s_or_b32 exec_lo, exec_lo, s76
	s_and_saveexec_b32 s76, s75
	s_delay_alu instid0(SALU_CYCLE_1)
	s_xor_b32 s75, exec_lo, s76
	s_cbranch_execz .LBB36_106
; %bb.105:                              ;   in Loop: Header=BB36_12 Depth=3
	v_lshlrev_b64 v[13:14], 3, v[16:17]
	s_delay_alu instid0(VALU_DEP_1) | instskip(NEXT) | instid1(VALU_DEP_2)
	v_add_co_u32 v13, vcc_lo, s26, v13
	v_add_co_ci_u32_e32 v14, vcc_lo, s27, v14, vcc_lo
	global_load_b64 v[13:14], v[13:14], off
	s_waitcnt vmcnt(0)
	v_dual_add_f32 v36, v36, v13 :: v_dual_add_f32 v37, v37, v14
.LBB36_106:                             ;   in Loop: Header=BB36_12 Depth=3
	s_or_b32 exec_lo, exec_lo, s75
	s_delay_alu instid0(SALU_CYCLE_1) | instskip(NEXT) | instid1(SALU_CYCLE_1)
	s_or_b32 exec_lo, exec_lo, s15
	s_mov_b32 s15, exec_lo
	v_cmpx_eq_u32_e64 v5, v9
	s_cbranch_execnz .LBB36_82
	s_branch .LBB36_83
.LBB36_107:                             ;   in Loop: Header=BB36_12 Depth=3
	v_mov_b32_e32 v16, 0
	s_mov_b32 s79, exec_lo
	v_cmpx_neq_f32_e32 0, v17
	s_cbranch_execz .LBB36_109
; %bb.108:                              ;   in Loop: Header=BB36_12 Depth=3
	v_div_scale_f32 v16, null, v14, v14, v7
	v_div_scale_f32 v19, vcc_lo, v7, v14, v7
	s_delay_alu instid0(VALU_DEP_2) | instskip(SKIP_2) | instid1(VALU_DEP_1)
	v_rcp_f32_e32 v17, v16
	s_waitcnt_depctr 0xfff
	v_fma_f32 v18, -v16, v17, 1.0
	v_fmac_f32_e32 v17, v18, v17
	s_delay_alu instid0(VALU_DEP_1) | instskip(NEXT) | instid1(VALU_DEP_1)
	v_mul_f32_e32 v18, v19, v17
	v_fma_f32 v39, -v16, v18, v19
	s_delay_alu instid0(VALU_DEP_1) | instskip(NEXT) | instid1(VALU_DEP_1)
	v_fmac_f32_e32 v18, v39, v17
	v_fma_f32 v16, -v16, v18, v19
	s_delay_alu instid0(VALU_DEP_1) | instskip(NEXT) | instid1(VALU_DEP_1)
	v_div_fmas_f32 v16, v16, v17, v18
	v_div_fixup_f32 v7, v16, v14, v7
	s_delay_alu instid0(VALU_DEP_1) | instskip(NEXT) | instid1(VALU_DEP_1)
	v_fma_f32 v7, v7, v7, 1.0
	v_mul_f32_e32 v16, 0x4f800000, v7
	v_cmp_gt_f32_e32 vcc_lo, 0xf800000, v7
	s_delay_alu instid0(VALU_DEP_2) | instskip(NEXT) | instid1(VALU_DEP_1)
	v_cndmask_b32_e32 v7, v7, v16, vcc_lo
	v_sqrt_f32_e32 v16, v7
	s_waitcnt_depctr 0xfff
	v_add_nc_u32_e32 v17, -1, v16
	v_add_nc_u32_e32 v18, 1, v16
	s_delay_alu instid0(VALU_DEP_2) | instskip(NEXT) | instid1(VALU_DEP_2)
	v_fma_f32 v19, -v17, v16, v7
	v_fma_f32 v39, -v18, v16, v7
	s_delay_alu instid0(VALU_DEP_2) | instskip(NEXT) | instid1(VALU_DEP_1)
	v_cmp_ge_f32_e64 s15, 0, v19
	v_cndmask_b32_e64 v16, v16, v17, s15
	s_delay_alu instid0(VALU_DEP_3) | instskip(NEXT) | instid1(VALU_DEP_1)
	v_cmp_lt_f32_e64 s15, 0, v39
	v_cndmask_b32_e64 v16, v16, v18, s15
	s_delay_alu instid0(VALU_DEP_1) | instskip(NEXT) | instid1(VALU_DEP_1)
	v_mul_f32_e32 v17, 0x37800000, v16
	v_cndmask_b32_e32 v16, v16, v17, vcc_lo
	v_cmp_class_f32_e64 vcc_lo, v7, 0x260
	s_delay_alu instid0(VALU_DEP_2) | instskip(NEXT) | instid1(VALU_DEP_1)
	v_cndmask_b32_e32 v7, v16, v7, vcc_lo
	v_mul_f32_e32 v16, v14, v7
.LBB36_109:                             ;   in Loop: Header=BB36_12 Depth=3
	s_or_b32 exec_lo, exec_lo, s79
                                        ; implicit-def: $vgpr7
                                        ; implicit-def: $vgpr14
	s_and_not1_saveexec_b32 s78, s78
	s_cbranch_execz .LBB36_43
.LBB36_110:                             ;   in Loop: Header=BB36_12 Depth=3
	v_div_scale_f32 v16, null, v7, v7, v14
	v_div_scale_f32 v19, vcc_lo, v14, v7, v14
	s_delay_alu instid0(VALU_DEP_2) | instskip(SKIP_2) | instid1(VALU_DEP_1)
	v_rcp_f32_e32 v17, v16
	s_waitcnt_depctr 0xfff
	v_fma_f32 v18, -v16, v17, 1.0
	v_fmac_f32_e32 v17, v18, v17
	s_delay_alu instid0(VALU_DEP_1) | instskip(NEXT) | instid1(VALU_DEP_1)
	v_mul_f32_e32 v18, v19, v17
	v_fma_f32 v39, -v16, v18, v19
	s_delay_alu instid0(VALU_DEP_1) | instskip(NEXT) | instid1(VALU_DEP_1)
	v_fmac_f32_e32 v18, v39, v17
	v_fma_f32 v16, -v16, v18, v19
	s_delay_alu instid0(VALU_DEP_1) | instskip(NEXT) | instid1(VALU_DEP_1)
	v_div_fmas_f32 v16, v16, v17, v18
	v_div_fixup_f32 v14, v16, v7, v14
	s_delay_alu instid0(VALU_DEP_1) | instskip(NEXT) | instid1(VALU_DEP_1)
	v_fma_f32 v14, v14, v14, 1.0
	v_mul_f32_e32 v16, 0x4f800000, v14
	v_cmp_gt_f32_e32 vcc_lo, 0xf800000, v14
	s_delay_alu instid0(VALU_DEP_2) | instskip(NEXT) | instid1(VALU_DEP_1)
	v_cndmask_b32_e32 v14, v14, v16, vcc_lo
	v_sqrt_f32_e32 v16, v14
	s_waitcnt_depctr 0xfff
	v_add_nc_u32_e32 v17, -1, v16
	v_add_nc_u32_e32 v18, 1, v16
	s_delay_alu instid0(VALU_DEP_2) | instskip(NEXT) | instid1(VALU_DEP_2)
	v_fma_f32 v19, -v17, v16, v14
	v_fma_f32 v39, -v18, v16, v14
	s_delay_alu instid0(VALU_DEP_2) | instskip(NEXT) | instid1(VALU_DEP_1)
	v_cmp_ge_f32_e64 s15, 0, v19
	v_cndmask_b32_e64 v16, v16, v17, s15
	s_delay_alu instid0(VALU_DEP_3) | instskip(NEXT) | instid1(VALU_DEP_1)
	v_cmp_lt_f32_e64 s15, 0, v39
	v_cndmask_b32_e64 v16, v16, v18, s15
	s_delay_alu instid0(VALU_DEP_1) | instskip(NEXT) | instid1(VALU_DEP_1)
	v_mul_f32_e32 v17, 0x37800000, v16
	v_cndmask_b32_e32 v16, v16, v17, vcc_lo
	v_cmp_class_f32_e64 vcc_lo, v14, 0x260
	s_delay_alu instid0(VALU_DEP_2) | instskip(NEXT) | instid1(VALU_DEP_1)
	v_cndmask_b32_e32 v14, v16, v14, vcc_lo
	v_mul_f32_e32 v16, v7, v14
	s_or_b32 exec_lo, exec_lo, s78
	s_delay_alu instid0(VALU_DEP_1) | instskip(NEXT) | instid1(VALU_DEP_1)
	v_cmp_class_f32_e64 s78, v16, 0x1f8
	s_and_saveexec_b32 s15, s78
	s_cbranch_execnz .LBB36_44
	s_branch .LBB36_45
.LBB36_111:                             ;   in Loop: Header=BB36_12 Depth=3
	v_mov_b32_e32 v16, 0
	s_mov_b32 s80, exec_lo
	v_cmpx_neq_f32_e32 0, v17
	s_cbranch_execz .LBB36_113
; %bb.112:                              ;   in Loop: Header=BB36_12 Depth=3
	v_div_scale_f32 v16, null, v14, v14, v7
	v_div_scale_f32 v19, vcc_lo, v7, v14, v7
	s_delay_alu instid0(VALU_DEP_2) | instskip(SKIP_2) | instid1(VALU_DEP_1)
	v_rcp_f32_e32 v17, v16
	s_waitcnt_depctr 0xfff
	v_fma_f32 v18, -v16, v17, 1.0
	v_fmac_f32_e32 v17, v18, v17
	s_delay_alu instid0(VALU_DEP_1) | instskip(NEXT) | instid1(VALU_DEP_1)
	v_mul_f32_e32 v18, v19, v17
	v_fma_f32 v39, -v16, v18, v19
	s_delay_alu instid0(VALU_DEP_1) | instskip(NEXT) | instid1(VALU_DEP_1)
	v_fmac_f32_e32 v18, v39, v17
	v_fma_f32 v16, -v16, v18, v19
	s_delay_alu instid0(VALU_DEP_1) | instskip(NEXT) | instid1(VALU_DEP_1)
	v_div_fmas_f32 v16, v16, v17, v18
	v_div_fixup_f32 v7, v16, v14, v7
	s_delay_alu instid0(VALU_DEP_1) | instskip(NEXT) | instid1(VALU_DEP_1)
	v_fma_f32 v7, v7, v7, 1.0
	v_mul_f32_e32 v16, 0x4f800000, v7
	v_cmp_gt_f32_e32 vcc_lo, 0xf800000, v7
	s_delay_alu instid0(VALU_DEP_2) | instskip(NEXT) | instid1(VALU_DEP_1)
	v_cndmask_b32_e32 v7, v7, v16, vcc_lo
	v_sqrt_f32_e32 v16, v7
	s_waitcnt_depctr 0xfff
	v_add_nc_u32_e32 v17, -1, v16
	v_add_nc_u32_e32 v18, 1, v16
	s_delay_alu instid0(VALU_DEP_2) | instskip(NEXT) | instid1(VALU_DEP_2)
	v_fma_f32 v19, -v17, v16, v7
	v_fma_f32 v39, -v18, v16, v7
	s_delay_alu instid0(VALU_DEP_2) | instskip(NEXT) | instid1(VALU_DEP_1)
	v_cmp_ge_f32_e64 s15, 0, v19
	v_cndmask_b32_e64 v16, v16, v17, s15
	s_delay_alu instid0(VALU_DEP_3) | instskip(NEXT) | instid1(VALU_DEP_1)
	v_cmp_lt_f32_e64 s15, 0, v39
	v_cndmask_b32_e64 v16, v16, v18, s15
	s_delay_alu instid0(VALU_DEP_1) | instskip(NEXT) | instid1(VALU_DEP_1)
	v_mul_f32_e32 v17, 0x37800000, v16
	v_cndmask_b32_e32 v16, v16, v17, vcc_lo
	v_cmp_class_f32_e64 vcc_lo, v7, 0x260
	s_delay_alu instid0(VALU_DEP_2) | instskip(NEXT) | instid1(VALU_DEP_1)
	v_cndmask_b32_e32 v7, v16, v7, vcc_lo
	v_mul_f32_e32 v16, v14, v7
.LBB36_113:                             ;   in Loop: Header=BB36_12 Depth=3
	s_or_b32 exec_lo, exec_lo, s80
                                        ; implicit-def: $vgpr7
                                        ; implicit-def: $vgpr14
	s_and_not1_saveexec_b32 s79, s79
	s_cbranch_execz .LBB36_73
.LBB36_114:                             ;   in Loop: Header=BB36_12 Depth=3
	v_div_scale_f32 v16, null, v7, v7, v14
	v_div_scale_f32 v19, vcc_lo, v14, v7, v14
	s_delay_alu instid0(VALU_DEP_2) | instskip(SKIP_2) | instid1(VALU_DEP_1)
	v_rcp_f32_e32 v17, v16
	s_waitcnt_depctr 0xfff
	v_fma_f32 v18, -v16, v17, 1.0
	v_fmac_f32_e32 v17, v18, v17
	s_delay_alu instid0(VALU_DEP_1) | instskip(NEXT) | instid1(VALU_DEP_1)
	v_mul_f32_e32 v18, v19, v17
	v_fma_f32 v39, -v16, v18, v19
	s_delay_alu instid0(VALU_DEP_1) | instskip(NEXT) | instid1(VALU_DEP_1)
	v_fmac_f32_e32 v18, v39, v17
	v_fma_f32 v16, -v16, v18, v19
	s_delay_alu instid0(VALU_DEP_1) | instskip(NEXT) | instid1(VALU_DEP_1)
	v_div_fmas_f32 v16, v16, v17, v18
	v_div_fixup_f32 v14, v16, v7, v14
	s_delay_alu instid0(VALU_DEP_1) | instskip(NEXT) | instid1(VALU_DEP_1)
	v_fma_f32 v14, v14, v14, 1.0
	v_mul_f32_e32 v16, 0x4f800000, v14
	v_cmp_gt_f32_e32 vcc_lo, 0xf800000, v14
	s_delay_alu instid0(VALU_DEP_2) | instskip(NEXT) | instid1(VALU_DEP_1)
	v_cndmask_b32_e32 v14, v14, v16, vcc_lo
	v_sqrt_f32_e32 v16, v14
	s_waitcnt_depctr 0xfff
	v_add_nc_u32_e32 v17, -1, v16
	v_add_nc_u32_e32 v18, 1, v16
	s_delay_alu instid0(VALU_DEP_2) | instskip(NEXT) | instid1(VALU_DEP_2)
	v_fma_f32 v19, -v17, v16, v14
	v_fma_f32 v39, -v18, v16, v14
	s_delay_alu instid0(VALU_DEP_2) | instskip(NEXT) | instid1(VALU_DEP_1)
	v_cmp_ge_f32_e64 s15, 0, v19
	v_cndmask_b32_e64 v16, v16, v17, s15
	s_delay_alu instid0(VALU_DEP_3) | instskip(NEXT) | instid1(VALU_DEP_1)
	v_cmp_lt_f32_e64 s15, 0, v39
	v_cndmask_b32_e64 v16, v16, v18, s15
	s_delay_alu instid0(VALU_DEP_1) | instskip(NEXT) | instid1(VALU_DEP_1)
	v_mul_f32_e32 v17, 0x37800000, v16
	v_cndmask_b32_e32 v16, v16, v17, vcc_lo
	v_cmp_class_f32_e64 vcc_lo, v14, 0x260
	s_delay_alu instid0(VALU_DEP_2) | instskip(NEXT) | instid1(VALU_DEP_1)
	v_cndmask_b32_e32 v14, v16, v14, vcc_lo
	v_mul_f32_e32 v16, v7, v14
	s_or_b32 exec_lo, exec_lo, s79
	s_delay_alu instid0(VALU_DEP_1) | instskip(NEXT) | instid1(VALU_DEP_1)
	v_cmp_class_f32_e64 s79, v16, 0x1f8
	s_and_saveexec_b32 s15, s79
	s_cbranch_execnz .LBB36_74
	s_branch .LBB36_75
.LBB36_115:                             ;   in Loop: Header=BB36_12 Depth=3
	v_mov_b32_e32 v16, 0
	s_mov_b32 s81, exec_lo
	v_cmpx_neq_f32_e32 0, v17
	s_cbranch_execz .LBB36_117
; %bb.116:                              ;   in Loop: Header=BB36_12 Depth=3
	v_div_scale_f32 v16, null, v14, v14, v7
	v_div_scale_f32 v19, vcc_lo, v7, v14, v7
	s_delay_alu instid0(VALU_DEP_2) | instskip(SKIP_2) | instid1(VALU_DEP_1)
	v_rcp_f32_e32 v17, v16
	s_waitcnt_depctr 0xfff
	v_fma_f32 v18, -v16, v17, 1.0
	v_fmac_f32_e32 v17, v18, v17
	s_delay_alu instid0(VALU_DEP_1) | instskip(NEXT) | instid1(VALU_DEP_1)
	v_mul_f32_e32 v18, v19, v17
	v_fma_f32 v39, -v16, v18, v19
	s_delay_alu instid0(VALU_DEP_1) | instskip(NEXT) | instid1(VALU_DEP_1)
	v_fmac_f32_e32 v18, v39, v17
	v_fma_f32 v16, -v16, v18, v19
	s_delay_alu instid0(VALU_DEP_1) | instskip(NEXT) | instid1(VALU_DEP_1)
	v_div_fmas_f32 v16, v16, v17, v18
	v_div_fixup_f32 v7, v16, v14, v7
	s_delay_alu instid0(VALU_DEP_1) | instskip(NEXT) | instid1(VALU_DEP_1)
	v_fma_f32 v7, v7, v7, 1.0
	v_mul_f32_e32 v16, 0x4f800000, v7
	v_cmp_gt_f32_e32 vcc_lo, 0xf800000, v7
	s_delay_alu instid0(VALU_DEP_2) | instskip(NEXT) | instid1(VALU_DEP_1)
	v_cndmask_b32_e32 v7, v7, v16, vcc_lo
	v_sqrt_f32_e32 v16, v7
	s_waitcnt_depctr 0xfff
	v_add_nc_u32_e32 v17, -1, v16
	v_add_nc_u32_e32 v18, 1, v16
	s_delay_alu instid0(VALU_DEP_2) | instskip(NEXT) | instid1(VALU_DEP_2)
	v_fma_f32 v19, -v17, v16, v7
	v_fma_f32 v39, -v18, v16, v7
	s_delay_alu instid0(VALU_DEP_2) | instskip(NEXT) | instid1(VALU_DEP_1)
	v_cmp_ge_f32_e64 s15, 0, v19
	v_cndmask_b32_e64 v16, v16, v17, s15
	s_delay_alu instid0(VALU_DEP_3) | instskip(NEXT) | instid1(VALU_DEP_1)
	v_cmp_lt_f32_e64 s15, 0, v39
	v_cndmask_b32_e64 v16, v16, v18, s15
	s_delay_alu instid0(VALU_DEP_1) | instskip(NEXT) | instid1(VALU_DEP_1)
	v_mul_f32_e32 v17, 0x37800000, v16
	v_cndmask_b32_e32 v16, v16, v17, vcc_lo
	v_cmp_class_f32_e64 vcc_lo, v7, 0x260
	s_delay_alu instid0(VALU_DEP_2) | instskip(NEXT) | instid1(VALU_DEP_1)
	v_cndmask_b32_e32 v7, v16, v7, vcc_lo
	v_mul_f32_e32 v16, v14, v7
.LBB36_117:                             ;   in Loop: Header=BB36_12 Depth=3
	s_or_b32 exec_lo, exec_lo, s81
                                        ; implicit-def: $vgpr7
                                        ; implicit-def: $vgpr14
	s_and_not1_saveexec_b32 s80, s80
	s_cbranch_execz .LBB36_57
.LBB36_118:                             ;   in Loop: Header=BB36_12 Depth=3
	v_div_scale_f32 v16, null, v7, v7, v14
	v_div_scale_f32 v19, vcc_lo, v14, v7, v14
	s_delay_alu instid0(VALU_DEP_2) | instskip(SKIP_2) | instid1(VALU_DEP_1)
	v_rcp_f32_e32 v17, v16
	s_waitcnt_depctr 0xfff
	v_fma_f32 v18, -v16, v17, 1.0
	v_fmac_f32_e32 v17, v18, v17
	s_delay_alu instid0(VALU_DEP_1) | instskip(NEXT) | instid1(VALU_DEP_1)
	v_mul_f32_e32 v18, v19, v17
	v_fma_f32 v39, -v16, v18, v19
	s_delay_alu instid0(VALU_DEP_1) | instskip(NEXT) | instid1(VALU_DEP_1)
	v_fmac_f32_e32 v18, v39, v17
	v_fma_f32 v16, -v16, v18, v19
	s_delay_alu instid0(VALU_DEP_1) | instskip(NEXT) | instid1(VALU_DEP_1)
	v_div_fmas_f32 v16, v16, v17, v18
	v_div_fixup_f32 v14, v16, v7, v14
	s_delay_alu instid0(VALU_DEP_1) | instskip(NEXT) | instid1(VALU_DEP_1)
	v_fma_f32 v14, v14, v14, 1.0
	v_mul_f32_e32 v16, 0x4f800000, v14
	v_cmp_gt_f32_e32 vcc_lo, 0xf800000, v14
	s_delay_alu instid0(VALU_DEP_2) | instskip(NEXT) | instid1(VALU_DEP_1)
	v_cndmask_b32_e32 v14, v14, v16, vcc_lo
	v_sqrt_f32_e32 v16, v14
	s_waitcnt_depctr 0xfff
	v_add_nc_u32_e32 v17, -1, v16
	v_add_nc_u32_e32 v18, 1, v16
	s_delay_alu instid0(VALU_DEP_2) | instskip(NEXT) | instid1(VALU_DEP_2)
	v_fma_f32 v19, -v17, v16, v14
	v_fma_f32 v39, -v18, v16, v14
	s_delay_alu instid0(VALU_DEP_2) | instskip(NEXT) | instid1(VALU_DEP_1)
	v_cmp_ge_f32_e64 s15, 0, v19
	v_cndmask_b32_e64 v16, v16, v17, s15
	s_delay_alu instid0(VALU_DEP_3) | instskip(NEXT) | instid1(VALU_DEP_1)
	v_cmp_lt_f32_e64 s15, 0, v39
	v_cndmask_b32_e64 v16, v16, v18, s15
	s_delay_alu instid0(VALU_DEP_1) | instskip(NEXT) | instid1(VALU_DEP_1)
	v_mul_f32_e32 v17, 0x37800000, v16
	v_cndmask_b32_e32 v16, v16, v17, vcc_lo
	v_cmp_class_f32_e64 vcc_lo, v14, 0x260
	s_delay_alu instid0(VALU_DEP_2) | instskip(NEXT) | instid1(VALU_DEP_1)
	v_cndmask_b32_e32 v14, v16, v14, vcc_lo
	v_mul_f32_e32 v16, v7, v14
	s_or_b32 exec_lo, exec_lo, s80
	s_delay_alu instid0(VALU_DEP_1) | instskip(NEXT) | instid1(VALU_DEP_1)
	v_cmp_class_f32_e64 s80, v16, 0x1f8
	s_and_saveexec_b32 s15, s80
	s_cbranch_execnz .LBB36_58
	s_branch .LBB36_59
.LBB36_119:                             ;   in Loop: Header=BB36_3 Depth=1
	v_xor_b32_e32 v3, 1, v22
	s_and_b32 vcc_lo, exec_lo, s60
	s_cbranch_vccnz .LBB36_122
; %bb.120:                              ;   in Loop: Header=BB36_3 Depth=1
	s_and_not1_b32 vcc_lo, exec_lo, s33
	s_cbranch_vccz .LBB36_143
.LBB36_121:                             ;   in Loop: Header=BB36_3 Depth=1
	s_and_saveexec_b32 s15, s9
	s_cbranch_execnz .LBB36_164
	s_branch .LBB36_175
.LBB36_122:                             ;   in Loop: Header=BB36_3 Depth=1
	s_delay_alu instid0(VALU_DEP_1) | instskip(SKIP_1) | instid1(VALU_DEP_1)
	v_cmp_gt_i32_e32 vcc_lo, 32, v3
	v_cndmask_b32_e32 v5, v22, v3, vcc_lo
	v_lshlrev_b32_e32 v5, 2, v5
	ds_bpermute_b32 v5, v5, v2
	s_and_saveexec_b32 s14, s3
	s_cbranch_execz .LBB36_124
; %bb.123:                              ;   in Loop: Header=BB36_3 Depth=1
	s_waitcnt lgkmcnt(0)
	v_cmp_lt_f32_e32 vcc_lo, v2, v5
	v_cndmask_b32_e32 v2, v2, v5, vcc_lo
	ds_store_b32 v25, v2
.LBB36_124:                             ;   in Loop: Header=BB36_3 Depth=1
	s_or_b32 exec_lo, exec_lo, s14
	s_waitcnt lgkmcnt(0)
	s_waitcnt_vscnt null, 0x0
	s_barrier
	buffer_gl0_inv
	s_and_saveexec_b32 s14, s4
	s_cbranch_execz .LBB36_126
; %bb.125:                              ;   in Loop: Header=BB36_3 Depth=1
	ds_load_2addr_stride64_b32 v[5:6], v20 offset1:4
	s_waitcnt lgkmcnt(0)
	v_cmp_lt_f32_e32 vcc_lo, v5, v6
	v_cndmask_b32_e32 v2, v5, v6, vcc_lo
	ds_store_b32 v20, v2
.LBB36_126:                             ;   in Loop: Header=BB36_3 Depth=1
	s_or_b32 exec_lo, exec_lo, s14
	s_waitcnt lgkmcnt(0)
	s_barrier
	buffer_gl0_inv
	s_and_saveexec_b32 s14, s5
	s_cbranch_execz .LBB36_128
; %bb.127:                              ;   in Loop: Header=BB36_3 Depth=1
	ds_load_2addr_stride64_b32 v[5:6], v20 offset1:2
	s_waitcnt lgkmcnt(0)
	v_cmp_lt_f32_e32 vcc_lo, v5, v6
	v_cndmask_b32_e32 v2, v5, v6, vcc_lo
	ds_store_b32 v20, v2
.LBB36_128:                             ;   in Loop: Header=BB36_3 Depth=1
	s_or_b32 exec_lo, exec_lo, s14
	s_waitcnt lgkmcnt(0)
	;; [unrolled: 13-line block ×3, first 2 shown]
	s_barrier
	buffer_gl0_inv
	s_and_saveexec_b32 s14, s7
	s_cbranch_execz .LBB36_132
; %bb.131:                              ;   in Loop: Header=BB36_3 Depth=1
	ds_load_2addr_b32 v[5:6], v20 offset1:32
	s_waitcnt lgkmcnt(0)
	v_cmp_lt_f32_e32 vcc_lo, v5, v6
	v_cndmask_b32_e32 v2, v5, v6, vcc_lo
	ds_store_b32 v20, v2
.LBB36_132:                             ;   in Loop: Header=BB36_3 Depth=1
	s_or_b32 exec_lo, exec_lo, s14
	s_waitcnt lgkmcnt(0)
	s_barrier
	buffer_gl0_inv
	s_and_saveexec_b32 s14, s8
	s_cbranch_execz .LBB36_134
; %bb.133:                              ;   in Loop: Header=BB36_3 Depth=1
	ds_load_2addr_b32 v[5:6], v20 offset1:16
	s_waitcnt lgkmcnt(0)
	v_cmp_lt_f32_e32 vcc_lo, v5, v6
	v_cndmask_b32_e32 v2, v5, v6, vcc_lo
	ds_store_b32 v20, v2
.LBB36_134:                             ;   in Loop: Header=BB36_3 Depth=1
	s_or_b32 exec_lo, exec_lo, s14
	s_waitcnt lgkmcnt(0)
	;; [unrolled: 13-line block ×5, first 2 shown]
	s_barrier
	buffer_gl0_inv
	s_and_saveexec_b32 s14, s13
	s_cbranch_execz .LBB36_142
; %bb.141:                              ;   in Loop: Header=BB36_3 Depth=1
	ds_load_b64 v[5:6], v29
	s_waitcnt lgkmcnt(0)
	v_cmp_lt_f32_e32 vcc_lo, v5, v6
	v_cndmask_b32_e32 v2, v5, v6, vcc_lo
	ds_store_b32 v29, v2
.LBB36_142:                             ;   in Loop: Header=BB36_3 Depth=1
	s_or_b32 exec_lo, exec_lo, s14
	s_waitcnt lgkmcnt(0)
	s_barrier
	buffer_gl0_inv
	ds_load_b32 v2, v29
	s_load_b32 s14, s[34:35], 0x0
	s_waitcnt lgkmcnt(0)
	v_div_scale_f32 v5, null, s14, s14, v2
	s_delay_alu instid0(VALU_DEP_1) | instskip(SKIP_2) | instid1(VALU_DEP_1)
	v_rcp_f32_e32 v6, v5
	s_waitcnt_depctr 0xfff
	v_fma_f32 v7, -v5, v6, 1.0
	v_fmac_f32_e32 v6, v7, v6
	v_div_scale_f32 v7, vcc_lo, v2, s14, v2
	s_delay_alu instid0(VALU_DEP_1) | instskip(NEXT) | instid1(VALU_DEP_1)
	v_mul_f32_e32 v8, v7, v6
	v_fma_f32 v9, -v5, v8, v7
	s_delay_alu instid0(VALU_DEP_1) | instskip(NEXT) | instid1(VALU_DEP_1)
	v_fmac_f32_e32 v8, v9, v6
	v_fma_f32 v5, -v5, v8, v7
	s_delay_alu instid0(VALU_DEP_1) | instskip(NEXT) | instid1(VALU_DEP_1)
	v_div_fmas_f32 v5, v5, v6, v8
	v_div_fixup_f32 v2, v5, s14, v2
	s_and_not1_b32 vcc_lo, exec_lo, s33
	s_cbranch_vccnz .LBB36_121
.LBB36_143:                             ;   in Loop: Header=BB36_3 Depth=1
	v_cmp_gt_i32_e32 vcc_lo, 32, v3
	v_cndmask_b32_e32 v3, v22, v3, vcc_lo
	s_delay_alu instid0(VALU_DEP_1)
	v_lshlrev_b32_e32 v3, 2, v3
	ds_bpermute_b32 v3, v3, v1
	s_and_saveexec_b32 s14, s3
	s_cbranch_execz .LBB36_145
; %bb.144:                              ;   in Loop: Header=BB36_3 Depth=1
	s_waitcnt lgkmcnt(0)
	v_cmp_lt_f32_e32 vcc_lo, v1, v3
	v_cndmask_b32_e32 v1, v1, v3, vcc_lo
	ds_store_b32 v25, v1
.LBB36_145:                             ;   in Loop: Header=BB36_3 Depth=1
	s_or_b32 exec_lo, exec_lo, s14
	s_waitcnt lgkmcnt(0)
	s_waitcnt_vscnt null, 0x0
	s_barrier
	buffer_gl0_inv
	s_and_saveexec_b32 s14, s4
	s_cbranch_execz .LBB36_147
; %bb.146:                              ;   in Loop: Header=BB36_3 Depth=1
	ds_load_2addr_stride64_b32 v[5:6], v20 offset1:4
	s_waitcnt lgkmcnt(0)
	v_cmp_lt_f32_e32 vcc_lo, v5, v6
	v_cndmask_b32_e32 v1, v5, v6, vcc_lo
	ds_store_b32 v20, v1
.LBB36_147:                             ;   in Loop: Header=BB36_3 Depth=1
	s_or_b32 exec_lo, exec_lo, s14
	s_waitcnt lgkmcnt(0)
	s_barrier
	buffer_gl0_inv
	s_and_saveexec_b32 s14, s5
	s_cbranch_execz .LBB36_149
; %bb.148:                              ;   in Loop: Header=BB36_3 Depth=1
	ds_load_2addr_stride64_b32 v[5:6], v20 offset1:2
	s_waitcnt lgkmcnt(0)
	v_cmp_lt_f32_e32 vcc_lo, v5, v6
	v_cndmask_b32_e32 v1, v5, v6, vcc_lo
	ds_store_b32 v20, v1
.LBB36_149:                             ;   in Loop: Header=BB36_3 Depth=1
	s_or_b32 exec_lo, exec_lo, s14
	s_waitcnt lgkmcnt(0)
	;; [unrolled: 13-line block ×3, first 2 shown]
	s_barrier
	buffer_gl0_inv
	s_and_saveexec_b32 s14, s7
	s_cbranch_execz .LBB36_153
; %bb.152:                              ;   in Loop: Header=BB36_3 Depth=1
	ds_load_2addr_b32 v[5:6], v20 offset1:32
	s_waitcnt lgkmcnt(0)
	v_cmp_lt_f32_e32 vcc_lo, v5, v6
	v_cndmask_b32_e32 v1, v5, v6, vcc_lo
	ds_store_b32 v20, v1
.LBB36_153:                             ;   in Loop: Header=BB36_3 Depth=1
	s_or_b32 exec_lo, exec_lo, s14
	s_waitcnt lgkmcnt(0)
	s_barrier
	buffer_gl0_inv
	s_and_saveexec_b32 s14, s8
	s_cbranch_execz .LBB36_155
; %bb.154:                              ;   in Loop: Header=BB36_3 Depth=1
	ds_load_2addr_b32 v[5:6], v20 offset1:16
	s_waitcnt lgkmcnt(0)
	v_cmp_lt_f32_e32 vcc_lo, v5, v6
	v_cndmask_b32_e32 v1, v5, v6, vcc_lo
	ds_store_b32 v20, v1
.LBB36_155:                             ;   in Loop: Header=BB36_3 Depth=1
	s_or_b32 exec_lo, exec_lo, s14
	s_waitcnt lgkmcnt(0)
	;; [unrolled: 13-line block ×5, first 2 shown]
	s_barrier
	buffer_gl0_inv
	s_and_saveexec_b32 s14, s13
	s_cbranch_execz .LBB36_163
; %bb.162:                              ;   in Loop: Header=BB36_3 Depth=1
	ds_load_b64 v[5:6], v29
	s_waitcnt lgkmcnt(0)
	v_cmp_lt_f32_e32 vcc_lo, v5, v6
	v_cndmask_b32_e32 v1, v5, v6, vcc_lo
	ds_store_b32 v29, v1
.LBB36_163:                             ;   in Loop: Header=BB36_3 Depth=1
	s_or_b32 exec_lo, exec_lo, s14
	s_waitcnt lgkmcnt(0)
	s_barrier
	buffer_gl0_inv
	ds_load_b32 v1, v29
	s_load_b32 s14, s[34:35], 0x0
	s_waitcnt lgkmcnt(0)
	v_div_scale_f32 v3, null, s14, s14, v1
	s_delay_alu instid0(VALU_DEP_1) | instskip(SKIP_2) | instid1(VALU_DEP_1)
	v_rcp_f32_e32 v5, v3
	s_waitcnt_depctr 0xfff
	v_fma_f32 v6, -v3, v5, 1.0
	v_fmac_f32_e32 v5, v6, v5
	v_div_scale_f32 v6, vcc_lo, v1, s14, v1
	s_delay_alu instid0(VALU_DEP_1) | instskip(NEXT) | instid1(VALU_DEP_1)
	v_mul_f32_e32 v7, v6, v5
	v_fma_f32 v8, -v3, v7, v6
	s_delay_alu instid0(VALU_DEP_1) | instskip(NEXT) | instid1(VALU_DEP_1)
	v_fmac_f32_e32 v7, v8, v5
	v_fma_f32 v3, -v3, v7, v6
	s_delay_alu instid0(VALU_DEP_1) | instskip(NEXT) | instid1(VALU_DEP_1)
	v_div_fmas_f32 v3, v3, v5, v7
	v_div_fixup_f32 v1, v3, s14, v1
	s_and_saveexec_b32 s15, s9
	s_cbranch_execz .LBB36_175
.LBB36_164:                             ;   in Loop: Header=BB36_3 Depth=1
	v_mov_b32_e32 v5, v24
	s_mov_b32 s16, 0
	s_branch .LBB36_166
.LBB36_165:                             ;   in Loop: Header=BB36_166 Depth=2
	s_or_b32 exec_lo, exec_lo, s71
	v_add_nc_u32_e32 v5, 0x200, v5
	s_delay_alu instid0(VALU_DEP_1) | instskip(SKIP_1) | instid1(SALU_CYCLE_1)
	v_cmp_le_u32_e32 vcc_lo, s67, v5
	s_or_b32 s16, vcc_lo, s16
	s_and_not1_b32 exec_lo, exec_lo, s16
	s_cbranch_execz .LBB36_175
.LBB36_166:                             ;   Parent Loop BB36_3 Depth=1
                                        ; =>  This Loop Header: Depth=2
                                        ;       Child Loop BB36_169 Depth 3
                                        ;       Child Loop BB36_172 Depth 3
	s_mov_b32 s71, exec_lo
	s_delay_alu instid0(VALU_DEP_1)
	v_cmpx_gt_i32_e64 s19, v5
	s_cbranch_execz .LBB36_165
; %bb.167:                              ;   in Loop: Header=BB36_166 Depth=2
	v_ashrrev_i32_e32 v6, 31, v5
	s_mov_b32 s72, exec_lo
	s_delay_alu instid0(VALU_DEP_1) | instskip(NEXT) | instid1(VALU_DEP_1)
	v_lshlrev_b64 v[7:8], 2, v[5:6]
	v_add_co_u32 v9, vcc_lo, s36, v7
	s_delay_alu instid0(VALU_DEP_2)
	v_add_co_ci_u32_e32 v10, vcc_lo, s37, v8, vcc_lo
	v_add_co_u32 v11, vcc_lo, s38, v7
	v_add_co_ci_u32_e32 v12, vcc_lo, s39, v8, vcc_lo
	global_load_b32 v3, v[9:10], off
	global_load_b32 v10, v[11:12], off
	s_waitcnt vmcnt(1)
	v_add_nc_u32_e32 v9, v27, v3
	s_waitcnt vmcnt(0)
	v_subrev_nc_u32_e32 v3, s65, v10
	s_delay_alu instid0(VALU_DEP_1)
	v_cmpx_lt_i32_e64 v9, v3
	s_cbranch_execz .LBB36_170
; %bb.168:                              ;   in Loop: Header=BB36_166 Depth=2
	v_ashrrev_i32_e32 v10, 31, v9
	s_mov_b32 s73, 0
	s_delay_alu instid0(VALU_DEP_1) | instskip(NEXT) | instid1(VALU_DEP_1)
	v_lshlrev_b64 v[12:13], 3, v[9:10]
	v_add_co_u32 v10, vcc_lo, s56, v12
	s_delay_alu instid0(VALU_DEP_2)
	v_add_co_ci_u32_e32 v11, vcc_lo, s57, v13, vcc_lo
	v_add_co_u32 v12, vcc_lo, s42, v12
	v_add_co_ci_u32_e32 v13, vcc_lo, s43, v13, vcc_lo
.LBB36_169:                             ;   Parent Loop BB36_3 Depth=1
                                        ;     Parent Loop BB36_166 Depth=2
                                        ; =>    This Inner Loop Header: Depth=3
	global_load_b64 v[14:15], v[10:11], off
	v_add_nc_u32_e32 v9, 2, v9
	v_add_co_u32 v10, vcc_lo, v10, 16
	v_add_co_ci_u32_e32 v11, vcc_lo, 0, v11, vcc_lo
	s_delay_alu instid0(VALU_DEP_3) | instskip(SKIP_4) | instid1(VALU_DEP_1)
	v_cmp_ge_i32_e32 vcc_lo, v9, v3
	s_or_b32 s73, vcc_lo, s73
	s_waitcnt vmcnt(0)
	global_store_b64 v[12:13], v[14:15], off
	v_add_co_u32 v12, s14, v12, 16
	v_add_co_ci_u32_e64 v13, s14, 0, v13, s14
	s_and_not1_b32 exec_lo, exec_lo, s73
	s_cbranch_execnz .LBB36_169
.LBB36_170:                             ;   in Loop: Header=BB36_166 Depth=2
	s_or_b32 exec_lo, exec_lo, s72
	v_add_co_u32 v9, vcc_lo, s20, v7
	v_add_co_ci_u32_e32 v10, vcc_lo, s21, v8, vcc_lo
	v_add_co_u32 v7, vcc_lo, s22, v7
	v_add_co_ci_u32_e32 v8, vcc_lo, s23, v8, vcc_lo
	s_mov_b32 s72, exec_lo
	global_load_b32 v3, v[9:10], off
	global_load_b32 v8, v[7:8], off
	s_waitcnt vmcnt(1)
	v_add_nc_u32_e32 v7, v28, v3
	s_waitcnt vmcnt(0)
	v_subrev_nc_u32_e32 v3, s66, v8
	s_delay_alu instid0(VALU_DEP_1)
	v_cmpx_lt_i32_e64 v7, v3
	s_cbranch_execz .LBB36_173
; %bb.171:                              ;   in Loop: Header=BB36_166 Depth=2
	v_ashrrev_i32_e32 v8, 31, v7
	s_mov_b32 s73, 0
	s_delay_alu instid0(VALU_DEP_1) | instskip(NEXT) | instid1(VALU_DEP_1)
	v_lshlrev_b64 v[10:11], 3, v[7:8]
	v_add_co_u32 v8, vcc_lo, s58, v10
	s_delay_alu instid0(VALU_DEP_2)
	v_add_co_ci_u32_e32 v9, vcc_lo, s59, v11, vcc_lo
	v_add_co_u32 v10, vcc_lo, s26, v10
	v_add_co_ci_u32_e32 v11, vcc_lo, s27, v11, vcc_lo
.LBB36_172:                             ;   Parent Loop BB36_3 Depth=1
                                        ;     Parent Loop BB36_166 Depth=2
                                        ; =>    This Inner Loop Header: Depth=3
	global_load_b64 v[12:13], v[8:9], off
	v_add_nc_u32_e32 v7, 2, v7
	v_add_co_u32 v8, vcc_lo, v8, 16
	v_add_co_ci_u32_e32 v9, vcc_lo, 0, v9, vcc_lo
	s_delay_alu instid0(VALU_DEP_3) | instskip(SKIP_4) | instid1(VALU_DEP_1)
	v_cmp_ge_i32_e32 vcc_lo, v7, v3
	s_or_b32 s73, vcc_lo, s73
	s_waitcnt vmcnt(0)
	global_store_b64 v[10:11], v[12:13], off
	v_add_co_u32 v10, s14, v10, 16
	v_add_co_ci_u32_e64 v11, s14, 0, v11, s14
	s_and_not1_b32 exec_lo, exec_lo, s73
	s_cbranch_execnz .LBB36_172
.LBB36_173:                             ;   in Loop: Header=BB36_166 Depth=2
	s_or_b32 exec_lo, exec_lo, s72
	s_delay_alu instid0(SALU_CYCLE_1)
	s_and_b32 exec_lo, exec_lo, s2
	s_cbranch_execz .LBB36_165
; %bb.174:                              ;   in Loop: Header=BB36_166 Depth=2
	v_lshlrev_b64 v[6:7], 3, v[5:6]
	s_delay_alu instid0(VALU_DEP_1) | instskip(NEXT) | instid1(VALU_DEP_2)
	v_add_co_u32 v8, vcc_lo, s54, v6
	v_add_co_ci_u32_e32 v9, vcc_lo, s55, v7, vcc_lo
	v_add_co_u32 v6, vcc_lo, s52, v6
	v_add_co_ci_u32_e32 v7, vcc_lo, s53, v7, vcc_lo
	global_load_b64 v[8:9], v[8:9], off
	s_waitcnt vmcnt(0)
	global_store_b64 v[6:7], v[8:9], off
	s_branch .LBB36_165
.LBB36_175:                             ;   in Loop: Header=BB36_3 Depth=1
	s_or_b32 exec_lo, exec_lo, s15
	s_delay_alu instid0(SALU_CYCLE_1)
	s_and_b32 vcc_lo, exec_lo, s61
	s_mov_b32 s15, -1
	s_cbranch_vccz .LBB36_185
; %bb.176:                              ;   in Loop: Header=BB36_3 Depth=1
	s_and_b32 vcc_lo, exec_lo, s69
	s_mov_b32 s14, -1
                                        ; implicit-def: $sgpr16
	s_cbranch_vccz .LBB36_182
; %bb.177:                              ;   in Loop: Header=BB36_3 Depth=1
	s_and_b32 vcc_lo, exec_lo, s68
                                        ; implicit-def: $sgpr16
	s_cbranch_vccz .LBB36_179
; %bb.178:                              ;   in Loop: Header=BB36_3 Depth=1
	v_cmp_ge_f32_e32 vcc_lo, s18, v1
	s_mov_b32 s14, 0
	s_and_b32 s16, vcc_lo, exec_lo
.LBB36_179:                             ;   in Loop: Header=BB36_3 Depth=1
	s_and_not1_b32 vcc_lo, exec_lo, s14
	s_cbranch_vccnz .LBB36_181
; %bb.180:                              ;   in Loop: Header=BB36_3 Depth=1
	v_cmp_ge_f32_e32 vcc_lo, s18, v2
	s_and_not1_b32 s14, s16, exec_lo
	s_and_b32 s16, vcc_lo, exec_lo
	s_delay_alu instid0(SALU_CYCLE_1)
	s_or_b32 s16, s14, s16
.LBB36_181:                             ;   in Loop: Header=BB36_3 Depth=1
	s_mov_b32 s14, 0
.LBB36_182:                             ;   in Loop: Header=BB36_3 Depth=1
	s_delay_alu instid0(SALU_CYCLE_1)
	s_and_not1_b32 vcc_lo, exec_lo, s14
	s_cbranch_vccnz .LBB36_184
; %bb.183:                              ;   in Loop: Header=BB36_3 Depth=1
	v_cmp_ge_f32_e32 vcc_lo, s18, v2
	v_cmp_ge_f32_e64 s14, s18, v1
	s_and_not1_b32 s16, s16, exec_lo
	s_delay_alu instid0(VALU_DEP_1) | instskip(NEXT) | instid1(SALU_CYCLE_1)
	s_and_b32 s14, vcc_lo, s14
	s_and_b32 s14, s14, exec_lo
	s_delay_alu instid0(SALU_CYCLE_1)
	s_or_b32 s16, s16, s14
.LBB36_184:                             ;   in Loop: Header=BB36_3 Depth=1
	s_delay_alu instid0(SALU_CYCLE_1)
	s_xor_b32 s14, s16, -1
	v_mov_b32_e32 v3, s70
	s_and_saveexec_b32 s16, s14
	s_cbranch_execz .LBB36_2
	s_branch .LBB36_186
.LBB36_185:                             ;   in Loop: Header=BB36_3 Depth=1
	s_mov_b32 s14, -1
	v_mov_b32_e32 v3, s70
	s_and_saveexec_b32 s16, s14
	s_cbranch_execz .LBB36_2
.LBB36_186:                             ;   in Loop: Header=BB36_3 Depth=1
	s_add_i32 s70, s70, 1
	v_mov_b32_e32 v3, s17
	s_cmp_eq_u32 s70, s17
	s_cselect_b32 s14, -1, 0
	s_delay_alu instid0(SALU_CYCLE_1)
	s_or_not1_b32 s15, s14, exec_lo
	s_branch .LBB36_2
.LBB36_187:
	s_or_b32 exec_lo, exec_lo, s63
.LBB36_188:
	s_delay_alu instid0(SALU_CYCLE_1) | instskip(NEXT) | instid1(SALU_CYCLE_1)
	s_or_b32 exec_lo, exec_lo, s62
	s_and_not1_b32 vcc_lo, exec_lo, s61
	s_cbranch_vccnz .LBB36_213
; %bb.189:
	v_xor_b32_e32 v4, 1, v22
	s_mov_b32 s2, exec_lo
	s_delay_alu instid0(VALU_DEP_1) | instskip(SKIP_1) | instid1(VALU_DEP_1)
	v_cmp_gt_i32_e32 vcc_lo, 32, v4
	v_cndmask_b32_e32 v4, v22, v4, vcc_lo
	v_lshlrev_b32_e32 v4, 2, v4
	ds_bpermute_b32 v4, v4, v3
	v_cmpx_ne_u32_e32 0, v23
	s_cbranch_execz .LBB36_191
; %bb.190:
	v_lshlrev_b32_e32 v5, 2, v21
	s_waitcnt lgkmcnt(0)
	v_max_i32_e32 v3, v3, v4
	ds_store_b32 v5, v3 offset:2048
.LBB36_191:
	s_or_b32 exec_lo, exec_lo, s2
	s_delay_alu instid0(SALU_CYCLE_1)
	s_mov_b32 s2, exec_lo
	s_waitcnt lgkmcnt(0)
	s_waitcnt_vscnt null, 0x0
	s_barrier
	buffer_gl0_inv
	v_cmpx_gt_u32_e32 0x100, v0
	s_cbranch_execz .LBB36_193
; %bb.192:
	ds_load_2addr_stride64_b32 v[3:4], v20 offset0:8 offset1:12
	s_waitcnt lgkmcnt(0)
	v_max_i32_e32 v3, v3, v4
	ds_store_b32 v20, v3 offset:2048
.LBB36_193:
	s_or_b32 exec_lo, exec_lo, s2
	s_delay_alu instid0(SALU_CYCLE_1)
	s_mov_b32 s2, exec_lo
	s_waitcnt lgkmcnt(0)
	s_barrier
	buffer_gl0_inv
	v_cmpx_gt_u32_e32 0x80, v0
	s_cbranch_execz .LBB36_195
; %bb.194:
	ds_load_2addr_stride64_b32 v[3:4], v20 offset0:8 offset1:10
	s_waitcnt lgkmcnt(0)
	v_max_i32_e32 v3, v3, v4
	ds_store_b32 v20, v3 offset:2048
.LBB36_195:
	s_or_b32 exec_lo, exec_lo, s2
	s_delay_alu instid0(SALU_CYCLE_1)
	s_mov_b32 s2, exec_lo
	s_waitcnt lgkmcnt(0)
	;; [unrolled: 14-line block ×3, first 2 shown]
	s_barrier
	buffer_gl0_inv
	v_cmpx_gt_u32_e32 32, v0
	s_cbranch_execz .LBB36_199
; %bb.198:
	v_add_nc_u32_e32 v3, 0x800, v20
	ds_load_2addr_b32 v[3:4], v3 offset1:32
	s_waitcnt lgkmcnt(0)
	v_max_i32_e32 v3, v3, v4
	ds_store_b32 v20, v3 offset:2048
.LBB36_199:
	s_or_b32 exec_lo, exec_lo, s2
	s_delay_alu instid0(SALU_CYCLE_1)
	s_mov_b32 s2, exec_lo
	s_waitcnt lgkmcnt(0)
	s_barrier
	buffer_gl0_inv
	v_cmpx_gt_u32_e32 16, v0
	s_cbranch_execz .LBB36_201
; %bb.200:
	v_add_nc_u32_e32 v3, 0x800, v20
	ds_load_2addr_b32 v[3:4], v3 offset1:16
	s_waitcnt lgkmcnt(0)
	v_max_i32_e32 v3, v3, v4
	ds_store_b32 v20, v3 offset:2048
.LBB36_201:
	s_or_b32 exec_lo, exec_lo, s2
	s_delay_alu instid0(SALU_CYCLE_1)
	s_mov_b32 s2, exec_lo
	s_waitcnt lgkmcnt(0)
	;; [unrolled: 15-line block ×4, first 2 shown]
	s_barrier
	buffer_gl0_inv
	v_cmpx_gt_u32_e32 2, v0
	s_cbranch_execz .LBB36_207
; %bb.206:
	v_add_nc_u32_e32 v3, 0x800, v20
	ds_load_2addr_b32 v[3:4], v3 offset1:2
	s_waitcnt lgkmcnt(0)
	v_max_i32_e32 v3, v3, v4
	ds_store_b32 v20, v3 offset:2048
.LBB36_207:
	s_or_b32 exec_lo, exec_lo, s2
	v_cmp_eq_u32_e32 vcc_lo, 0, v0
	s_waitcnt lgkmcnt(0)
	s_barrier
	buffer_gl0_inv
	s_and_saveexec_b32 s2, vcc_lo
	s_cbranch_execz .LBB36_209
; %bb.208:
	v_mov_b32_e32 v5, 0
	ds_load_b64 v[3:4], v5 offset:2048
	s_waitcnt lgkmcnt(0)
	v_max_i32_e32 v3, v3, v4
	ds_store_b32 v5, v3 offset:2048
.LBB36_209:
	s_or_b32 exec_lo, exec_lo, s2
	s_waitcnt lgkmcnt(0)
	s_barrier
	buffer_gl0_inv
	s_and_saveexec_b32 s2, vcc_lo
	s_cbranch_execz .LBB36_212
; %bb.210:
	v_mbcnt_lo_u32_b32 v3, exec_lo, 0
	s_delay_alu instid0(VALU_DEP_1)
	v_cmp_eq_u32_e32 vcc_lo, 0, v3
	s_and_b32 exec_lo, exec_lo, vcc_lo
	s_cbranch_execz .LBB36_212
; %bb.211:
	v_mov_b32_e32 v3, 0
	s_load_b64 s[0:1], s[0:1], 0x8
	ds_load_b32 v4, v3 offset:2048
	s_waitcnt lgkmcnt(0)
	v_add_nc_u32_e32 v4, 1, v4
	global_atomic_max_i32 v3, v4, s[0:1]
.LBB36_212:
	s_or_b32 exec_lo, exec_lo, s2
.LBB36_213:
	v_cmp_eq_u32_e32 vcc_lo, 0, v0
	s_mov_b32 s2, 0
	s_and_b32 s0, vcc_lo, s60
	s_delay_alu instid0(SALU_CYCLE_1)
	s_and_saveexec_b32 s3, s0
	s_cbranch_execz .LBB36_218
; %bb.214:
	v_mov_b32_e32 v0, 0
	v_cmp_eq_f32_e64 s0, 0, v2
                                        ; implicit-def: $sgpr4
                                        ; implicit-def: $sgpr5
	global_load_b32 v3, v0, s[28:29] glc
	s_waitcnt vmcnt(0)
	v_cmp_eq_u32_e64 s6, 0x80000000, v3
	s_set_inst_prefetch_distance 0x1
	s_branch .LBB36_216
	.p2align	6
.LBB36_215:                             ;   in Loop: Header=BB36_216 Depth=1
	s_or_b32 exec_lo, exec_lo, s7
	s_delay_alu instid0(SALU_CYCLE_1) | instskip(NEXT) | instid1(SALU_CYCLE_1)
	s_and_b32 s1, exec_lo, s4
	s_or_b32 s2, s1, s2
	s_and_not1_b32 s1, s6, exec_lo
	s_and_b32 s6, s5, exec_lo
	s_delay_alu instid0(SALU_CYCLE_1)
	s_or_b32 s6, s1, s6
	s_and_not1_b32 exec_lo, exec_lo, s2
	s_cbranch_execz .LBB36_218
.LBB36_216:                             ; =>This Inner Loop Header: Depth=1
	v_cmp_lt_f32_e64 s1, v3, v2
	s_delay_alu instid0(VALU_DEP_2) | instskip(SKIP_2) | instid1(VALU_DEP_1)
	s_and_b32 s7, s0, s6
	s_and_not1_b32 s5, s5, exec_lo
	s_or_b32 s4, s4, exec_lo
	s_or_b32 s1, s1, s7
	s_delay_alu instid0(SALU_CYCLE_1)
	s_and_saveexec_b32 s7, s1
	s_cbranch_execz .LBB36_215
; %bb.217:                              ;   in Loop: Header=BB36_216 Depth=1
	global_atomic_cmpswap_b32 v4, v0, v[2:3], s[28:29] glc
	s_and_not1_b32 s5, s5, exec_lo
	s_and_not1_b32 s4, s4, exec_lo
	s_waitcnt vmcnt(0)
	v_cmp_eq_u32_e64 s1, v4, v3
	s_delay_alu instid0(VALU_DEP_1) | instskip(SKIP_1) | instid1(SALU_CYCLE_1)
	v_cndmask_b32_e64 v3, v4, v3, s1
	s_and_b32 s1, s1, exec_lo
	s_or_b32 s4, s4, s1
	s_delay_alu instid0(VALU_DEP_1) | instskip(SKIP_1) | instid1(VALU_DEP_2)
	v_cmp_class_f32_e64 s6, v3, 32
	v_mov_b32_e32 v3, v4
	s_and_b32 s6, s6, exec_lo
	s_delay_alu instid0(SALU_CYCLE_1)
	s_or_b32 s5, s5, s6
                                        ; implicit-def: $sgpr6
	s_branch .LBB36_215
.LBB36_218:
	s_set_inst_prefetch_distance 0x2
	s_or_b32 exec_lo, exec_lo, s3
	s_and_b32 s0, vcc_lo, s33
	s_delay_alu instid0(SALU_CYCLE_1)
	s_and_saveexec_b32 s1, s0
	s_cbranch_execz .LBB36_223
; %bb.219:
	v_mov_b32_e32 v0, 0
	v_cmp_eq_f32_e32 vcc_lo, 0, v1
	s_mov_b32 s1, 0
                                        ; implicit-def: $sgpr2
                                        ; implicit-def: $sgpr3
	global_load_b32 v2, v0, s[30:31] glc
	s_waitcnt vmcnt(0)
	v_cmp_eq_u32_e64 s4, 0x80000000, v2
	s_set_inst_prefetch_distance 0x1
	s_branch .LBB36_221
	.p2align	6
.LBB36_220:                             ;   in Loop: Header=BB36_221 Depth=1
	s_or_b32 exec_lo, exec_lo, s5
	s_delay_alu instid0(SALU_CYCLE_1) | instskip(NEXT) | instid1(SALU_CYCLE_1)
	s_and_b32 s0, exec_lo, s2
	s_or_b32 s1, s0, s1
	s_and_not1_b32 s0, s4, exec_lo
	s_and_b32 s4, s3, exec_lo
	s_delay_alu instid0(SALU_CYCLE_1)
	s_or_b32 s4, s0, s4
	s_and_not1_b32 exec_lo, exec_lo, s1
	s_cbranch_execz .LBB36_223
.LBB36_221:                             ; =>This Inner Loop Header: Depth=1
	v_cmp_lt_f32_e64 s0, v2, v1
	s_delay_alu instid0(VALU_DEP_2) | instskip(SKIP_2) | instid1(VALU_DEP_1)
	s_and_b32 s5, vcc_lo, s4
	s_and_not1_b32 s3, s3, exec_lo
	s_or_b32 s2, s2, exec_lo
	s_or_b32 s0, s0, s5
	s_delay_alu instid0(SALU_CYCLE_1)
	s_and_saveexec_b32 s5, s0
	s_cbranch_execz .LBB36_220
; %bb.222:                              ;   in Loop: Header=BB36_221 Depth=1
	global_atomic_cmpswap_b32 v3, v0, v[1:2], s[30:31] glc
	s_and_not1_b32 s3, s3, exec_lo
	s_and_not1_b32 s2, s2, exec_lo
	s_waitcnt vmcnt(0)
	v_cmp_eq_u32_e64 s0, v3, v2
	s_delay_alu instid0(VALU_DEP_1) | instskip(SKIP_1) | instid1(SALU_CYCLE_1)
	v_cndmask_b32_e64 v2, v3, v2, s0
	s_and_b32 s0, s0, exec_lo
	s_or_b32 s2, s2, s0
	s_delay_alu instid0(VALU_DEP_1) | instskip(SKIP_1) | instid1(VALU_DEP_2)
	v_cmp_class_f32_e64 s4, v2, 32
	v_mov_b32_e32 v2, v3
	s_and_b32 s4, s4, exec_lo
	s_delay_alu instid0(SALU_CYCLE_1)
	s_or_b32 s3, s3, s4
                                        ; implicit-def: $sgpr4
	s_branch .LBB36_220
.LBB36_223:
	s_set_inst_prefetch_distance 0x2
	s_nop 0
	s_sendmsg sendmsg(MSG_DEALLOC_VGPRS)
	s_endpgm
	.section	.rodata,"a",@progbits
	.p2align	6, 0x0
	.amdhsa_kernel _ZN9rocsparseL6kernelILi1024ELi2E21rocsparse_complex_numIfEiiEEvbbbT3_PS3_NS_15floating_traitsIT1_E6data_tES3_T2_PKS9_SB_PKS3_PKS6_21rocsparse_index_base_SB_SB_SD_PS6_SH_SG_SB_SB_SD_SH_SH_SG_SH_SH_PS8_SI_PKS8_
		.amdhsa_group_segment_fixed_size 4096
		.amdhsa_private_segment_fixed_size 0
		.amdhsa_kernarg_size 208
		.amdhsa_user_sgpr_count 15
		.amdhsa_user_sgpr_dispatch_ptr 0
		.amdhsa_user_sgpr_queue_ptr 0
		.amdhsa_user_sgpr_kernarg_segment_ptr 1
		.amdhsa_user_sgpr_dispatch_id 0
		.amdhsa_user_sgpr_private_segment_size 0
		.amdhsa_wavefront_size32 1
		.amdhsa_uses_dynamic_stack 0
		.amdhsa_enable_private_segment 0
		.amdhsa_system_sgpr_workgroup_id_x 1
		.amdhsa_system_sgpr_workgroup_id_y 0
		.amdhsa_system_sgpr_workgroup_id_z 0
		.amdhsa_system_sgpr_workgroup_info 0
		.amdhsa_system_vgpr_workitem_id 0
		.amdhsa_next_free_vgpr 44
		.amdhsa_next_free_sgpr 84
		.amdhsa_reserve_vcc 1
		.amdhsa_float_round_mode_32 0
		.amdhsa_float_round_mode_16_64 0
		.amdhsa_float_denorm_mode_32 3
		.amdhsa_float_denorm_mode_16_64 3
		.amdhsa_dx10_clamp 1
		.amdhsa_ieee_mode 1
		.amdhsa_fp16_overflow 0
		.amdhsa_workgroup_processor_mode 1
		.amdhsa_memory_ordered 1
		.amdhsa_forward_progress 0
		.amdhsa_shared_vgpr_count 0
		.amdhsa_exception_fp_ieee_invalid_op 0
		.amdhsa_exception_fp_denorm_src 0
		.amdhsa_exception_fp_ieee_div_zero 0
		.amdhsa_exception_fp_ieee_overflow 0
		.amdhsa_exception_fp_ieee_underflow 0
		.amdhsa_exception_fp_ieee_inexact 0
		.amdhsa_exception_int_div_zero 0
	.end_amdhsa_kernel
	.section	.text._ZN9rocsparseL6kernelILi1024ELi2E21rocsparse_complex_numIfEiiEEvbbbT3_PS3_NS_15floating_traitsIT1_E6data_tES3_T2_PKS9_SB_PKS3_PKS6_21rocsparse_index_base_SB_SB_SD_PS6_SH_SG_SB_SB_SD_SH_SH_SG_SH_SH_PS8_SI_PKS8_,"axG",@progbits,_ZN9rocsparseL6kernelILi1024ELi2E21rocsparse_complex_numIfEiiEEvbbbT3_PS3_NS_15floating_traitsIT1_E6data_tES3_T2_PKS9_SB_PKS3_PKS6_21rocsparse_index_base_SB_SB_SD_PS6_SH_SG_SB_SB_SD_SH_SH_SG_SH_SH_PS8_SI_PKS8_,comdat
.Lfunc_end36:
	.size	_ZN9rocsparseL6kernelILi1024ELi2E21rocsparse_complex_numIfEiiEEvbbbT3_PS3_NS_15floating_traitsIT1_E6data_tES3_T2_PKS9_SB_PKS3_PKS6_21rocsparse_index_base_SB_SB_SD_PS6_SH_SG_SB_SB_SD_SH_SH_SG_SH_SH_PS8_SI_PKS8_, .Lfunc_end36-_ZN9rocsparseL6kernelILi1024ELi2E21rocsparse_complex_numIfEiiEEvbbbT3_PS3_NS_15floating_traitsIT1_E6data_tES3_T2_PKS9_SB_PKS3_PKS6_21rocsparse_index_base_SB_SB_SD_PS6_SH_SG_SB_SB_SD_SH_SH_SG_SH_SH_PS8_SI_PKS8_
                                        ; -- End function
	.section	.AMDGPU.csdata,"",@progbits
; Kernel info:
; codeLenInByte = 10268
; NumSgprs: 86
; NumVgprs: 44
; ScratchSize: 0
; MemoryBound: 0
; FloatMode: 240
; IeeeMode: 1
; LDSByteSize: 4096 bytes/workgroup (compile time only)
; SGPRBlocks: 10
; VGPRBlocks: 5
; NumSGPRsForWavesPerEU: 86
; NumVGPRsForWavesPerEU: 44
; Occupancy: 16
; WaveLimiterHint : 1
; COMPUTE_PGM_RSRC2:SCRATCH_EN: 0
; COMPUTE_PGM_RSRC2:USER_SGPR: 15
; COMPUTE_PGM_RSRC2:TRAP_HANDLER: 0
; COMPUTE_PGM_RSRC2:TGID_X_EN: 1
; COMPUTE_PGM_RSRC2:TGID_Y_EN: 0
; COMPUTE_PGM_RSRC2:TGID_Z_EN: 0
; COMPUTE_PGM_RSRC2:TIDIG_COMP_CNT: 0
	.section	.text._ZN9rocsparseL6kernelILi1024ELi4E21rocsparse_complex_numIfEiiEEvbbbT3_PS3_NS_15floating_traitsIT1_E6data_tES3_T2_PKS9_SB_PKS3_PKS6_21rocsparse_index_base_SB_SB_SD_PS6_SH_SG_SB_SB_SD_SH_SH_SG_SH_SH_PS8_SI_PKS8_,"axG",@progbits,_ZN9rocsparseL6kernelILi1024ELi4E21rocsparse_complex_numIfEiiEEvbbbT3_PS3_NS_15floating_traitsIT1_E6data_tES3_T2_PKS9_SB_PKS3_PKS6_21rocsparse_index_base_SB_SB_SD_PS6_SH_SG_SB_SB_SD_SH_SH_SG_SH_SH_PS8_SI_PKS8_,comdat
	.globl	_ZN9rocsparseL6kernelILi1024ELi4E21rocsparse_complex_numIfEiiEEvbbbT3_PS3_NS_15floating_traitsIT1_E6data_tES3_T2_PKS9_SB_PKS3_PKS6_21rocsparse_index_base_SB_SB_SD_PS6_SH_SG_SB_SB_SD_SH_SH_SG_SH_SH_PS8_SI_PKS8_ ; -- Begin function _ZN9rocsparseL6kernelILi1024ELi4E21rocsparse_complex_numIfEiiEEvbbbT3_PS3_NS_15floating_traitsIT1_E6data_tES3_T2_PKS9_SB_PKS3_PKS6_21rocsparse_index_base_SB_SB_SD_PS6_SH_SG_SB_SB_SD_SH_SH_SG_SH_SH_PS8_SI_PKS8_
	.p2align	8
	.type	_ZN9rocsparseL6kernelILi1024ELi4E21rocsparse_complex_numIfEiiEEvbbbT3_PS3_NS_15floating_traitsIT1_E6data_tES3_T2_PKS9_SB_PKS3_PKS6_21rocsparse_index_base_SB_SB_SD_PS6_SH_SG_SB_SB_SD_SH_SH_SG_SH_SH_PS8_SI_PKS8_,@function
_ZN9rocsparseL6kernelILi1024ELi4E21rocsparse_complex_numIfEiiEEvbbbT3_PS3_NS_15floating_traitsIT1_E6data_tES3_T2_PKS9_SB_PKS3_PKS6_21rocsparse_index_base_SB_SB_SD_PS6_SH_SG_SB_SB_SD_SH_SH_SG_SH_SH_PS8_SI_PKS8_: ; @_ZN9rocsparseL6kernelILi1024ELi4E21rocsparse_complex_numIfEiiEEvbbbT3_PS3_NS_15floating_traitsIT1_E6data_tES3_T2_PKS9_SB_PKS3_PKS6_21rocsparse_index_base_SB_SB_SD_PS6_SH_SG_SB_SB_SD_SH_SH_SG_SH_SH_PS8_SI_PKS8_
; %bb.0:
	s_clause 0x3
	s_load_b32 s2, s[0:1], 0x0
	s_load_b64 s[34:35], s[0:1], 0x0
	s_load_b64 s[52:53], s[0:1], 0x10
	s_load_b128 s[44:47], s[0:1], 0xb8
	v_lshrrev_b32_e32 v21, 2, v0
	v_dual_mov_b32 v3, 0 :: v_dual_lshlrev_b32 v20, 2, v0
	v_mbcnt_lo_u32_b32 v22, -1, 0
	v_dual_mov_b32 v2, 0 :: v_dual_mov_b32 v1, 0
	v_and_b32_e32 v23, 3, v0
	s_mov_b32 s62, 0
	ds_store_b32 v20, v3
	s_waitcnt lgkmcnt(0)
	s_barrier
	buffer_gl0_inv
	s_bitcmp1_b32 s2, 0
	s_cselect_b32 s61, -1, 0
	s_bitcmp1_b32 s2, 8
	s_cselect_b32 s60, -1, 0
	s_bitcmp1_b32 s34, 16
	s_cselect_b32 s33, -1, 0
	s_lshl_b32 s66, s15, 10
	s_cmp_gt_i32 s35, 0
	v_or_b32_e32 v24, s66, v21
	s_cselect_b32 s2, -1, 0
	s_delay_alu instid0(VALU_DEP_1) | instskip(SKIP_1) | instid1(SALU_CYCLE_1)
	v_cmp_gt_i32_e32 vcc_lo, s53, v24
	s_and_b32 s2, s2, vcc_lo
	s_and_saveexec_b32 s34, s2
	s_cbranch_execz .LBB37_184
; %bb.1:
	s_clause 0x9
	s_load_b32 s63, s[0:1], 0x40
	s_load_b64 s[54:55], s[0:1], 0x68
	s_load_b32 s64, s[0:1], 0x70
	s_load_b64 s[56:57], s[0:1], 0x98
	;; [unrolled: 2-line block ×3, first 2 shown]
	s_load_b128 s[48:51], s[0:1], 0xa8
	s_load_b256 s[16:23], s[0:1], 0x78
	s_load_b256 s[24:31], s[0:1], 0x48
	s_load_b256 s[36:43], s[0:1], 0x20
	s_addk_i32 s66, 0x400
	v_cmp_eq_u32_e64 s2, 3, v23
	v_dual_mov_b32 v4, 0 :: v_dual_lshlrev_b32 v25, 2, v21
	v_cmp_gt_u32_e64 s3, 0x80, v0
	v_cmp_gt_u32_e64 s4, 64, v0
	;; [unrolled: 1-line block ×7, first 2 shown]
	s_waitcnt lgkmcnt(0)
	v_subrev_nc_u32_e32 v26, s63, v23
	v_cmp_gt_u32_e64 s10, 2, v0
	v_cmp_eq_u32_e64 s11, 0, v0
	v_subrev_nc_u32_e32 v27, s64, v23
	v_subrev_nc_u32_e32 v28, s65, v23
	v_cmp_eq_u32_e64 s12, 0, v23
	v_dual_mov_b32 v29, 0 :: v_dual_mov_b32 v2, 0
	v_mov_b32_e32 v1, 0
	s_and_b32 s13, s60, s33
	s_xor_b32 s67, s60, -1
	s_xor_b32 s68, s13, -1
	s_mov_b32 s69, 0
	s_branch .LBB37_3
.LBB37_2:                               ;   in Loop: Header=BB37_3 Depth=1
	s_or_b32 exec_lo, exec_lo, s15
	s_delay_alu instid0(SALU_CYCLE_1) | instskip(NEXT) | instid1(SALU_CYCLE_1)
	s_and_b32 s13, exec_lo, s14
	s_or_b32 s62, s13, s62
	s_delay_alu instid0(SALU_CYCLE_1)
	s_and_not1_b32 exec_lo, exec_lo, s62
	s_cbranch_execz .LBB37_183
.LBB37_3:                               ; =>This Loop Header: Depth=1
                                        ;     Child Loop BB37_7 Depth 2
                                        ;       Child Loop BB37_12 Depth 3
                                        ;         Child Loop BB37_16 Depth 4
                                        ;         Child Loop BB37_51 Depth 4
	;; [unrolled: 1-line block ×5, first 2 shown]
                                        ;     Child Loop BB37_162 Depth 2
                                        ;       Child Loop BB37_165 Depth 3
                                        ;       Child Loop BB37_168 Depth 3
	v_cndmask_b32_e64 v2, v2, 0, s60
	v_cndmask_b32_e64 v1, v1, 0, s33
	s_mov_b32 s70, 0
	s_branch .LBB37_7
.LBB37_4:                               ;   in Loop: Header=BB37_7 Depth=2
	s_or_b32 exec_lo, exec_lo, s73
.LBB37_5:                               ;   in Loop: Header=BB37_7 Depth=2
	s_delay_alu instid0(SALU_CYCLE_1)
	s_or_b32 exec_lo, exec_lo, s72
.LBB37_6:                               ;   in Loop: Header=BB37_7 Depth=2
	s_delay_alu instid0(SALU_CYCLE_1) | instskip(SKIP_1) | instid1(SALU_CYCLE_1)
	s_or_b32 exec_lo, exec_lo, s71
	s_add_i32 s70, s70, 1
	s_cmp_eq_u32 s70, 4
	s_cbranch_scc1 .LBB37_119
.LBB37_7:                               ;   Parent Loop BB37_3 Depth=1
                                        ; =>  This Loop Header: Depth=2
                                        ;       Child Loop BB37_12 Depth 3
                                        ;         Child Loop BB37_16 Depth 4
                                        ;         Child Loop BB37_51 Depth 4
	;; [unrolled: 1-line block ×5, first 2 shown]
	v_lshl_add_u32 v5, s70, 8, v24
	s_mov_b32 s71, exec_lo
	s_delay_alu instid0(VALU_DEP_1)
	v_cmpx_gt_i32_e64 s53, v5
	s_cbranch_execz .LBB37_6
; %bb.8:                                ;   in Loop: Header=BB37_7 Depth=2
	v_ashrrev_i32_e32 v6, 31, v5
	s_mov_b32 s72, exec_lo
	s_delay_alu instid0(VALU_DEP_1) | instskip(NEXT) | instid1(VALU_DEP_1)
	v_lshlrev_b64 v[7:8], 2, v[5:6]
	v_add_co_u32 v9, vcc_lo, s36, v7
	s_delay_alu instid0(VALU_DEP_2)
	v_add_co_ci_u32_e32 v10, vcc_lo, s37, v8, vcc_lo
	v_add_co_u32 v11, vcc_lo, s38, v7
	v_add_co_ci_u32_e32 v12, vcc_lo, s39, v8, vcc_lo
	global_load_b32 v3, v[9:10], off
	global_load_b32 v9, v[11:12], off
	s_waitcnt vmcnt(1)
	v_add_nc_u32_e32 v6, v26, v3
	s_waitcnt vmcnt(0)
	v_subrev_nc_u32_e32 v30, s63, v9
	s_delay_alu instid0(VALU_DEP_1)
	v_cmpx_lt_i32_e64 v6, v30
	s_cbranch_execz .LBB37_5
; %bb.9:                                ;   in Loop: Header=BB37_7 Depth=2
	v_add_co_u32 v9, vcc_lo, s24, v7
	v_add_co_ci_u32_e32 v10, vcc_lo, s25, v8, vcc_lo
	v_add_co_u32 v7, vcc_lo, s26, v7
	v_add_co_ci_u32_e32 v8, vcc_lo, s27, v8, vcc_lo
	global_load_b32 v3, v[9:10], off
	s_mov_b32 s73, 0
	global_load_b32 v7, v[7:8], off
	s_waitcnt vmcnt(1)
	v_subrev_nc_u32_e32 v8, s64, v3
	s_waitcnt vmcnt(0)
	v_sub_nc_u32_e32 v31, v7, v3
	s_delay_alu instid0(VALU_DEP_2) | instskip(NEXT) | instid1(VALU_DEP_2)
	v_ashrrev_i32_e32 v9, 31, v8
	v_cmp_lt_i32_e64 s13, 0, v31
	s_delay_alu instid0(VALU_DEP_2) | instskip(SKIP_1) | instid1(VALU_DEP_2)
	v_lshlrev_b64 v[10:11], 2, v[8:9]
	v_lshlrev_b64 v[12:13], 3, v[8:9]
	v_add_co_u32 v32, vcc_lo, s28, v10
	s_delay_alu instid0(VALU_DEP_3) | instskip(NEXT) | instid1(VALU_DEP_3)
	v_add_co_ci_u32_e32 v33, vcc_lo, s29, v11, vcc_lo
	v_add_co_u32 v34, vcc_lo, s30, v12
	s_delay_alu instid0(VALU_DEP_4)
	v_add_co_ci_u32_e32 v35, vcc_lo, s31, v13, vcc_lo
	s_branch .LBB37_12
.LBB37_10:                              ;   in Loop: Header=BB37_12 Depth=3
	s_or_b32 exec_lo, exec_lo, s14
.LBB37_11:                              ;   in Loop: Header=BB37_12 Depth=3
	s_delay_alu instid0(SALU_CYCLE_1) | instskip(SKIP_1) | instid1(VALU_DEP_1)
	s_or_b32 exec_lo, exec_lo, s15
	v_add_nc_u32_e32 v6, 4, v6
	v_cmp_ge_i32_e32 vcc_lo, v6, v30
	s_or_b32 s73, vcc_lo, s73
	s_delay_alu instid0(SALU_CYCLE_1)
	s_and_not1_b32 exec_lo, exec_lo, s73
	s_cbranch_execz .LBB37_4
.LBB37_12:                              ;   Parent Loop BB37_3 Depth=1
                                        ;     Parent Loop BB37_7 Depth=2
                                        ; =>    This Loop Header: Depth=3
                                        ;         Child Loop BB37_16 Depth 4
                                        ;         Child Loop BB37_51 Depth 4
	;; [unrolled: 1-line block ×5, first 2 shown]
	v_ashrrev_i32_e32 v7, 31, v6
	v_dual_mov_b32 v36, 0 :: v_dual_mov_b32 v37, 0
	v_mov_b32_e32 v15, 0
	s_delay_alu instid0(VALU_DEP_3) | instskip(NEXT) | instid1(VALU_DEP_1)
	v_lshlrev_b64 v[9:10], 2, v[6:7]
	v_add_co_u32 v9, vcc_lo, s40, v9
	s_delay_alu instid0(VALU_DEP_2) | instskip(SKIP_4) | instid1(VALU_DEP_2)
	v_add_co_ci_u32_e32 v10, vcc_lo, s41, v10, vcc_lo
	global_load_b32 v3, v[9:10], off
	s_waitcnt vmcnt(0)
	v_subrev_nc_u32_e32 v9, s63, v3
	v_mov_b32_e32 v3, 0
	v_ashrrev_i32_e32 v10, 31, v9
	s_delay_alu instid0(VALU_DEP_1) | instskip(NEXT) | instid1(VALU_DEP_1)
	v_lshlrev_b64 v[11:12], 2, v[9:10]
	v_add_co_u32 v13, vcc_lo, s16, v11
	s_delay_alu instid0(VALU_DEP_2)
	v_add_co_ci_u32_e32 v14, vcc_lo, s17, v12, vcc_lo
	v_add_co_u32 v11, vcc_lo, s18, v11
	v_add_co_ci_u32_e32 v12, vcc_lo, s19, v12, vcc_lo
	global_load_b32 v14, v[13:14], off
	global_load_b32 v11, v[11:12], off
	s_waitcnt vmcnt(1)
	v_subrev_nc_u32_e32 v13, s65, v14
	s_waitcnt vmcnt(0)
	v_sub_nc_u32_e32 v38, v11, v14
	s_and_saveexec_b32 s15, s13
	s_cbranch_execz .LBB37_20
; %bb.13:                               ;   in Loop: Header=BB37_12 Depth=3
	v_ashrrev_i32_e32 v14, 31, v13
	v_dual_mov_b32 v15, 0 :: v_dual_mov_b32 v36, 0
	v_mov_b32_e32 v37, 0
	s_mov_b32 s74, 0
	s_delay_alu instid0(VALU_DEP_3) | instskip(SKIP_2) | instid1(VALU_DEP_3)
	v_lshlrev_b64 v[11:12], 2, v[13:14]
	v_lshlrev_b64 v[16:17], 3, v[13:14]
	v_mov_b32_e32 v3, v15
                                        ; implicit-def: $sgpr75
	v_add_co_u32 v11, vcc_lo, s20, v11
	s_delay_alu instid0(VALU_DEP_4) | instskip(NEXT) | instid1(VALU_DEP_4)
	v_add_co_ci_u32_e32 v12, vcc_lo, s21, v12, vcc_lo
	v_add_co_u32 v14, vcc_lo, s22, v16
	v_add_co_ci_u32_e32 v17, vcc_lo, s23, v17, vcc_lo
	s_branch .LBB37_16
.LBB37_14:                              ;   in Loop: Header=BB37_16 Depth=4
	s_or_b32 exec_lo, exec_lo, s14
	v_cmp_le_i32_e32 vcc_lo, v18, v19
	v_cmp_ge_i32_e64 s14, v18, v19
	v_add_co_ci_u32_e32 v3, vcc_lo, 0, v3, vcc_lo
	s_delay_alu instid0(VALU_DEP_2) | instskip(SKIP_1) | instid1(VALU_DEP_2)
	v_add_co_ci_u32_e64 v15, s14, 0, v15, s14
	s_and_not1_b32 s14, s75, exec_lo
	v_cmp_ge_i32_e32 vcc_lo, v3, v31
	s_and_b32 s75, vcc_lo, exec_lo
	s_delay_alu instid0(SALU_CYCLE_1)
	s_or_b32 s75, s14, s75
.LBB37_15:                              ;   in Loop: Header=BB37_16 Depth=4
	s_or_b32 exec_lo, exec_lo, s76
	s_delay_alu instid0(SALU_CYCLE_1) | instskip(NEXT) | instid1(SALU_CYCLE_1)
	s_and_b32 s14, exec_lo, s75
	s_or_b32 s74, s14, s74
	s_delay_alu instid0(SALU_CYCLE_1)
	s_and_not1_b32 exec_lo, exec_lo, s74
	s_cbranch_execz .LBB37_19
.LBB37_16:                              ;   Parent Loop BB37_3 Depth=1
                                        ;     Parent Loop BB37_7 Depth=2
                                        ;       Parent Loop BB37_12 Depth=3
                                        ; =>      This Inner Loop Header: Depth=4
	s_or_b32 s75, s75, exec_lo
	s_mov_b32 s76, exec_lo
	v_cmpx_lt_i32_e64 v15, v38
	s_cbranch_execz .LBB37_15
; %bb.17:                               ;   in Loop: Header=BB37_16 Depth=4
	v_mov_b32_e32 v16, v4
	v_lshlrev_b64 v[18:19], 2, v[3:4]
	s_mov_b32 s14, exec_lo
	s_delay_alu instid0(VALU_DEP_2) | instskip(NEXT) | instid1(VALU_DEP_2)
	v_lshlrev_b64 v[39:40], 2, v[15:16]
	v_add_co_u32 v18, vcc_lo, v32, v18
	s_delay_alu instid0(VALU_DEP_3) | instskip(NEXT) | instid1(VALU_DEP_3)
	v_add_co_ci_u32_e32 v19, vcc_lo, v33, v19, vcc_lo
	v_add_co_u32 v39, vcc_lo, v11, v39
	s_delay_alu instid0(VALU_DEP_4)
	v_add_co_ci_u32_e32 v40, vcc_lo, v12, v40, vcc_lo
	global_load_b32 v18, v[18:19], off
	global_load_b32 v19, v[39:40], off
	s_waitcnt vmcnt(1)
	v_subrev_nc_u32_e32 v18, s64, v18
	s_waitcnt vmcnt(0)
	v_subrev_nc_u32_e32 v19, s65, v19
	s_delay_alu instid0(VALU_DEP_1)
	v_cmpx_eq_u32_e64 v18, v19
	s_cbranch_execz .LBB37_14
; %bb.18:                               ;   in Loop: Header=BB37_16 Depth=4
	v_lshlrev_b64 v[39:40], 3, v[3:4]
	v_lshlrev_b64 v[41:42], 3, v[15:16]
	s_delay_alu instid0(VALU_DEP_2) | instskip(NEXT) | instid1(VALU_DEP_3)
	v_add_co_u32 v39, vcc_lo, v34, v39
	v_add_co_ci_u32_e32 v40, vcc_lo, v35, v40, vcc_lo
	s_delay_alu instid0(VALU_DEP_3) | instskip(NEXT) | instid1(VALU_DEP_4)
	v_add_co_u32 v41, vcc_lo, v14, v41
	v_add_co_ci_u32_e32 v42, vcc_lo, v17, v42, vcc_lo
	global_load_b64 v[39:40], v[39:40], off
	global_load_b64 v[41:42], v[41:42], off
	s_waitcnt vmcnt(0)
	v_fmac_f32_e32 v36, v39, v41
	v_fmac_f32_e32 v37, v40, v41
	s_delay_alu instid0(VALU_DEP_2) | instskip(NEXT) | instid1(VALU_DEP_2)
	v_fma_f32 v36, -v40, v42, v36
	v_fmac_f32_e32 v37, v39, v42
	s_branch .LBB37_14
.LBB37_19:                              ;   in Loop: Header=BB37_12 Depth=3
	s_or_b32 exec_lo, exec_lo, s74
.LBB37_20:                              ;   in Loop: Header=BB37_12 Depth=3
	s_delay_alu instid0(SALU_CYCLE_1) | instskip(SKIP_3) | instid1(VALU_DEP_2)
	s_or_b32 exec_lo, exec_lo, s15
	v_lshlrev_b64 v[11:12], 3, v[6:7]
	v_cmp_le_i32_e64 s14, v5, v9
	s_mov_b32 s74, exec_lo
	v_add_co_u32 v11, vcc_lo, s42, v11
	s_delay_alu instid0(VALU_DEP_3)
	v_add_co_ci_u32_e32 v12, vcc_lo, s43, v12, vcc_lo
	global_load_b64 v[11:12], v[11:12], off
	s_waitcnt vmcnt(0)
	v_dual_sub_f32 v16, v11, v36 :: v_dual_sub_f32 v17, v12, v37
	v_cmpx_gt_i32_e64 v5, v9
	s_cbranch_execz .LBB37_30
; %bb.21:                               ;   in Loop: Header=BB37_12 Depth=3
	v_lshlrev_b64 v[18:19], 3, v[9:10]
                                        ; implicit-def: $vgpr39
	s_mov_b32 s15, exec_lo
	s_delay_alu instid0(VALU_DEP_1) | instskip(NEXT) | instid1(VALU_DEP_2)
	v_add_co_u32 v18, vcc_lo, s48, v18
	v_add_co_ci_u32_e32 v19, vcc_lo, s49, v19, vcc_lo
	global_load_b64 v[18:19], v[18:19], off
	s_waitcnt vmcnt(0)
	v_cmp_gt_f32_e32 vcc_lo, 0, v18
	v_cndmask_b32_e64 v7, v18, -v18, vcc_lo
	v_cmp_gt_f32_e32 vcc_lo, 0, v19
	v_cndmask_b32_e64 v14, v19, -v19, vcc_lo
	s_delay_alu instid0(VALU_DEP_1)
	v_cmpx_ngt_f32_e32 v7, v14
	s_xor_b32 s75, exec_lo, s15
	s_cbranch_execz .LBB37_25
; %bb.22:                               ;   in Loop: Header=BB37_12 Depth=3
	v_mov_b32_e32 v39, 0
	s_mov_b32 s76, exec_lo
	v_cmpx_neq_f32_e32 0, v19
	s_cbranch_execz .LBB37_24
; %bb.23:                               ;   in Loop: Header=BB37_12 Depth=3
	v_div_scale_f32 v39, null, v14, v14, v7
	v_div_scale_f32 v42, vcc_lo, v7, v14, v7
	s_delay_alu instid0(VALU_DEP_2) | instskip(SKIP_2) | instid1(VALU_DEP_1)
	v_rcp_f32_e32 v40, v39
	s_waitcnt_depctr 0xfff
	v_fma_f32 v41, -v39, v40, 1.0
	v_fmac_f32_e32 v40, v41, v40
	s_delay_alu instid0(VALU_DEP_1) | instskip(NEXT) | instid1(VALU_DEP_1)
	v_mul_f32_e32 v41, v42, v40
	v_fma_f32 v43, -v39, v41, v42
	s_delay_alu instid0(VALU_DEP_1) | instskip(NEXT) | instid1(VALU_DEP_1)
	v_fmac_f32_e32 v41, v43, v40
	v_fma_f32 v39, -v39, v41, v42
	s_delay_alu instid0(VALU_DEP_1) | instskip(NEXT) | instid1(VALU_DEP_1)
	v_div_fmas_f32 v39, v39, v40, v41
	v_div_fixup_f32 v7, v39, v14, v7
	s_delay_alu instid0(VALU_DEP_1) | instskip(NEXT) | instid1(VALU_DEP_1)
	v_fma_f32 v7, v7, v7, 1.0
	v_mul_f32_e32 v39, 0x4f800000, v7
	v_cmp_gt_f32_e32 vcc_lo, 0xf800000, v7
	s_delay_alu instid0(VALU_DEP_2) | instskip(NEXT) | instid1(VALU_DEP_1)
	v_cndmask_b32_e32 v7, v7, v39, vcc_lo
	v_sqrt_f32_e32 v39, v7
	s_waitcnt_depctr 0xfff
	v_add_nc_u32_e32 v40, -1, v39
	v_add_nc_u32_e32 v41, 1, v39
	s_delay_alu instid0(VALU_DEP_2) | instskip(NEXT) | instid1(VALU_DEP_2)
	v_fma_f32 v42, -v40, v39, v7
	v_fma_f32 v43, -v41, v39, v7
	s_delay_alu instid0(VALU_DEP_2) | instskip(NEXT) | instid1(VALU_DEP_1)
	v_cmp_ge_f32_e64 s15, 0, v42
	v_cndmask_b32_e64 v39, v39, v40, s15
	s_delay_alu instid0(VALU_DEP_3) | instskip(NEXT) | instid1(VALU_DEP_1)
	v_cmp_lt_f32_e64 s15, 0, v43
	v_cndmask_b32_e64 v39, v39, v41, s15
	s_delay_alu instid0(VALU_DEP_1) | instskip(NEXT) | instid1(VALU_DEP_1)
	v_mul_f32_e32 v40, 0x37800000, v39
	v_cndmask_b32_e32 v39, v39, v40, vcc_lo
	v_cmp_class_f32_e64 vcc_lo, v7, 0x260
	s_delay_alu instid0(VALU_DEP_2) | instskip(NEXT) | instid1(VALU_DEP_1)
	v_cndmask_b32_e32 v7, v39, v7, vcc_lo
	v_mul_f32_e32 v39, v14, v7
.LBB37_24:                              ;   in Loop: Header=BB37_12 Depth=3
	s_or_b32 exec_lo, exec_lo, s76
                                        ; implicit-def: $vgpr7
                                        ; implicit-def: $vgpr14
.LBB37_25:                              ;   in Loop: Header=BB37_12 Depth=3
	s_and_not1_saveexec_b32 s75, s75
	s_cbranch_execz .LBB37_27
; %bb.26:                               ;   in Loop: Header=BB37_12 Depth=3
	v_div_scale_f32 v39, null, v7, v7, v14
	v_div_scale_f32 v42, vcc_lo, v14, v7, v14
	s_delay_alu instid0(VALU_DEP_2) | instskip(SKIP_2) | instid1(VALU_DEP_1)
	v_rcp_f32_e32 v40, v39
	s_waitcnt_depctr 0xfff
	v_fma_f32 v41, -v39, v40, 1.0
	v_fmac_f32_e32 v40, v41, v40
	s_delay_alu instid0(VALU_DEP_1) | instskip(NEXT) | instid1(VALU_DEP_1)
	v_mul_f32_e32 v41, v42, v40
	v_fma_f32 v43, -v39, v41, v42
	s_delay_alu instid0(VALU_DEP_1) | instskip(NEXT) | instid1(VALU_DEP_1)
	v_fmac_f32_e32 v41, v43, v40
	v_fma_f32 v39, -v39, v41, v42
	s_delay_alu instid0(VALU_DEP_1) | instskip(NEXT) | instid1(VALU_DEP_1)
	v_div_fmas_f32 v39, v39, v40, v41
	v_div_fixup_f32 v14, v39, v7, v14
	s_delay_alu instid0(VALU_DEP_1) | instskip(NEXT) | instid1(VALU_DEP_1)
	v_fma_f32 v14, v14, v14, 1.0
	v_mul_f32_e32 v39, 0x4f800000, v14
	v_cmp_gt_f32_e32 vcc_lo, 0xf800000, v14
	s_delay_alu instid0(VALU_DEP_2) | instskip(NEXT) | instid1(VALU_DEP_1)
	v_cndmask_b32_e32 v14, v14, v39, vcc_lo
	v_sqrt_f32_e32 v39, v14
	s_waitcnt_depctr 0xfff
	v_add_nc_u32_e32 v40, -1, v39
	v_add_nc_u32_e32 v41, 1, v39
	s_delay_alu instid0(VALU_DEP_2) | instskip(NEXT) | instid1(VALU_DEP_2)
	v_fma_f32 v42, -v40, v39, v14
	v_fma_f32 v43, -v41, v39, v14
	s_delay_alu instid0(VALU_DEP_2) | instskip(NEXT) | instid1(VALU_DEP_1)
	v_cmp_ge_f32_e64 s15, 0, v42
	v_cndmask_b32_e64 v39, v39, v40, s15
	s_delay_alu instid0(VALU_DEP_3) | instskip(NEXT) | instid1(VALU_DEP_1)
	v_cmp_lt_f32_e64 s15, 0, v43
	v_cndmask_b32_e64 v39, v39, v41, s15
	s_delay_alu instid0(VALU_DEP_1) | instskip(NEXT) | instid1(VALU_DEP_1)
	v_mul_f32_e32 v40, 0x37800000, v39
	v_cndmask_b32_e32 v39, v39, v40, vcc_lo
	v_cmp_class_f32_e64 vcc_lo, v14, 0x260
	s_delay_alu instid0(VALU_DEP_2) | instskip(NEXT) | instid1(VALU_DEP_1)
	v_cndmask_b32_e32 v14, v39, v14, vcc_lo
	v_mul_f32_e32 v39, v7, v14
.LBB37_27:                              ;   in Loop: Header=BB37_12 Depth=3
	s_or_b32 exec_lo, exec_lo, s75
	v_dual_mov_b32 v7, 0 :: v_dual_mov_b32 v14, 0
	s_mov_b32 s15, exec_lo
	s_delay_alu instid0(VALU_DEP_2)
	v_cmpx_lt_f32_e32 0, v39
	s_cbranch_execz .LBB37_29
; %bb.28:                               ;   in Loop: Header=BB37_12 Depth=3
	v_mul_f32_e32 v7, v19, v19
	s_delay_alu instid0(VALU_DEP_1) | instskip(NEXT) | instid1(VALU_DEP_1)
	v_fmac_f32_e32 v7, v18, v18
	v_div_scale_f32 v14, null, v7, v7, 1.0
	v_div_scale_f32 v41, vcc_lo, 1.0, v7, 1.0
	s_delay_alu instid0(VALU_DEP_2) | instskip(SKIP_2) | instid1(VALU_DEP_1)
	v_rcp_f32_e32 v39, v14
	s_waitcnt_depctr 0xfff
	v_fma_f32 v40, -v14, v39, 1.0
	v_fmac_f32_e32 v39, v40, v39
	s_delay_alu instid0(VALU_DEP_1) | instskip(NEXT) | instid1(VALU_DEP_1)
	v_mul_f32_e32 v40, v41, v39
	v_fma_f32 v42, -v14, v40, v41
	s_delay_alu instid0(VALU_DEP_1) | instskip(NEXT) | instid1(VALU_DEP_1)
	v_fmac_f32_e32 v40, v42, v39
	v_fma_f32 v14, -v14, v40, v41
	v_mul_f32_e32 v41, v17, v19
	v_mul_f32_e64 v19, v19, -v16
	s_delay_alu instid0(VALU_DEP_2) | instskip(NEXT) | instid1(VALU_DEP_4)
	v_fmac_f32_e32 v41, v16, v18
	v_div_fmas_f32 v14, v14, v39, v40
	s_delay_alu instid0(VALU_DEP_3) | instskip(NEXT) | instid1(VALU_DEP_2)
	v_fmac_f32_e32 v19, v17, v18
	v_div_fixup_f32 v7, v14, v7, 1.0
	s_delay_alu instid0(VALU_DEP_1) | instskip(NEXT) | instid1(VALU_DEP_3)
	v_mul_f32_e32 v14, v41, v7
	v_mul_f32_e32 v7, v19, v7
.LBB37_29:                              ;   in Loop: Header=BB37_12 Depth=3
	s_or_b32 exec_lo, exec_lo, s15
	s_delay_alu instid0(VALU_DEP_1)
	v_dual_mov_b32 v17, v7 :: v_dual_mov_b32 v16, v14
.LBB37_30:                              ;   in Loop: Header=BB37_12 Depth=3
	s_or_b32 exec_lo, exec_lo, s74
	s_delay_alu instid0(VALU_DEP_1) | instskip(SKIP_4) | instid1(VALU_DEP_1)
	v_cmp_gt_f32_e32 vcc_lo, 0, v16
                                        ; implicit-def: $vgpr18
	s_mov_b32 s15, exec_lo
	v_cndmask_b32_e64 v7, v16, -v16, vcc_lo
	v_cmp_gt_f32_e32 vcc_lo, 0, v17
	v_cndmask_b32_e64 v14, v17, -v17, vcc_lo
	v_cmpx_ngt_f32_e32 v7, v14
	s_xor_b32 s74, exec_lo, s15
	s_cbranch_execnz .LBB37_34
; %bb.31:                               ;   in Loop: Header=BB37_12 Depth=3
	s_and_not1_saveexec_b32 s74, s74
	s_cbranch_execnz .LBB37_37
.LBB37_32:                              ;   in Loop: Header=BB37_12 Depth=3
	s_or_b32 exec_lo, exec_lo, s74
	v_cmp_class_f32_e64 s15, v18, 0x1f8
	s_delay_alu instid0(VALU_DEP_1)
	s_and_saveexec_b32 s74, s15
	s_cbranch_execnz .LBB37_38
.LBB37_33:                              ;   in Loop: Header=BB37_12 Depth=3
	s_or_b32 exec_lo, exec_lo, s74
	s_and_b32 s14, s15, s33
	s_delay_alu instid0(SALU_CYCLE_1)
	s_and_saveexec_b32 s15, s14
	s_cbranch_execz .LBB37_11
	s_branch .LBB37_79
.LBB37_34:                              ;   in Loop: Header=BB37_12 Depth=3
	v_mov_b32_e32 v18, 0
	s_mov_b32 s75, exec_lo
	v_cmpx_neq_f32_e32 0, v17
	s_cbranch_execz .LBB37_36
; %bb.35:                               ;   in Loop: Header=BB37_12 Depth=3
	v_div_scale_f32 v18, null, v14, v14, v7
	v_div_scale_f32 v40, vcc_lo, v7, v14, v7
	s_delay_alu instid0(VALU_DEP_2) | instskip(SKIP_2) | instid1(VALU_DEP_1)
	v_rcp_f32_e32 v19, v18
	s_waitcnt_depctr 0xfff
	v_fma_f32 v39, -v18, v19, 1.0
	v_fmac_f32_e32 v19, v39, v19
	s_delay_alu instid0(VALU_DEP_1) | instskip(NEXT) | instid1(VALU_DEP_1)
	v_mul_f32_e32 v39, v40, v19
	v_fma_f32 v41, -v18, v39, v40
	s_delay_alu instid0(VALU_DEP_1) | instskip(NEXT) | instid1(VALU_DEP_1)
	v_fmac_f32_e32 v39, v41, v19
	v_fma_f32 v18, -v18, v39, v40
	s_delay_alu instid0(VALU_DEP_1) | instskip(NEXT) | instid1(VALU_DEP_1)
	v_div_fmas_f32 v18, v18, v19, v39
	v_div_fixup_f32 v7, v18, v14, v7
	s_delay_alu instid0(VALU_DEP_1) | instskip(NEXT) | instid1(VALU_DEP_1)
	v_fma_f32 v7, v7, v7, 1.0
	v_mul_f32_e32 v18, 0x4f800000, v7
	v_cmp_gt_f32_e32 vcc_lo, 0xf800000, v7
	s_delay_alu instid0(VALU_DEP_2) | instskip(NEXT) | instid1(VALU_DEP_1)
	v_cndmask_b32_e32 v7, v7, v18, vcc_lo
	v_sqrt_f32_e32 v18, v7
	s_waitcnt_depctr 0xfff
	v_add_nc_u32_e32 v19, -1, v18
	v_add_nc_u32_e32 v39, 1, v18
	s_delay_alu instid0(VALU_DEP_2) | instskip(NEXT) | instid1(VALU_DEP_2)
	v_fma_f32 v40, -v19, v18, v7
	v_fma_f32 v41, -v39, v18, v7
	s_delay_alu instid0(VALU_DEP_2) | instskip(NEXT) | instid1(VALU_DEP_1)
	v_cmp_ge_f32_e64 s15, 0, v40
	v_cndmask_b32_e64 v18, v18, v19, s15
	s_delay_alu instid0(VALU_DEP_3) | instskip(NEXT) | instid1(VALU_DEP_1)
	v_cmp_lt_f32_e64 s15, 0, v41
	v_cndmask_b32_e64 v18, v18, v39, s15
	s_delay_alu instid0(VALU_DEP_1) | instskip(NEXT) | instid1(VALU_DEP_1)
	v_mul_f32_e32 v19, 0x37800000, v18
	v_cndmask_b32_e32 v18, v18, v19, vcc_lo
	v_cmp_class_f32_e64 vcc_lo, v7, 0x260
	s_delay_alu instid0(VALU_DEP_2) | instskip(NEXT) | instid1(VALU_DEP_1)
	v_cndmask_b32_e32 v7, v18, v7, vcc_lo
	v_mul_f32_e32 v18, v14, v7
.LBB37_36:                              ;   in Loop: Header=BB37_12 Depth=3
	s_or_b32 exec_lo, exec_lo, s75
                                        ; implicit-def: $vgpr7
                                        ; implicit-def: $vgpr14
	s_and_not1_saveexec_b32 s74, s74
	s_cbranch_execz .LBB37_32
.LBB37_37:                              ;   in Loop: Header=BB37_12 Depth=3
	v_div_scale_f32 v18, null, v7, v7, v14
	v_div_scale_f32 v40, vcc_lo, v14, v7, v14
	s_delay_alu instid0(VALU_DEP_2) | instskip(SKIP_2) | instid1(VALU_DEP_1)
	v_rcp_f32_e32 v19, v18
	s_waitcnt_depctr 0xfff
	v_fma_f32 v39, -v18, v19, 1.0
	v_fmac_f32_e32 v19, v39, v19
	s_delay_alu instid0(VALU_DEP_1) | instskip(NEXT) | instid1(VALU_DEP_1)
	v_mul_f32_e32 v39, v40, v19
	v_fma_f32 v41, -v18, v39, v40
	s_delay_alu instid0(VALU_DEP_1) | instskip(NEXT) | instid1(VALU_DEP_1)
	v_fmac_f32_e32 v39, v41, v19
	v_fma_f32 v18, -v18, v39, v40
	s_delay_alu instid0(VALU_DEP_1) | instskip(NEXT) | instid1(VALU_DEP_1)
	v_div_fmas_f32 v18, v18, v19, v39
	v_div_fixup_f32 v14, v18, v7, v14
	s_delay_alu instid0(VALU_DEP_1) | instskip(NEXT) | instid1(VALU_DEP_1)
	v_fma_f32 v14, v14, v14, 1.0
	v_mul_f32_e32 v18, 0x4f800000, v14
	v_cmp_gt_f32_e32 vcc_lo, 0xf800000, v14
	s_delay_alu instid0(VALU_DEP_2) | instskip(NEXT) | instid1(VALU_DEP_1)
	v_cndmask_b32_e32 v14, v14, v18, vcc_lo
	v_sqrt_f32_e32 v18, v14
	s_waitcnt_depctr 0xfff
	v_add_nc_u32_e32 v19, -1, v18
	v_add_nc_u32_e32 v39, 1, v18
	s_delay_alu instid0(VALU_DEP_2) | instskip(NEXT) | instid1(VALU_DEP_2)
	v_fma_f32 v40, -v19, v18, v14
	v_fma_f32 v41, -v39, v18, v14
	s_delay_alu instid0(VALU_DEP_2) | instskip(NEXT) | instid1(VALU_DEP_1)
	v_cmp_ge_f32_e64 s15, 0, v40
	v_cndmask_b32_e64 v18, v18, v19, s15
	s_delay_alu instid0(VALU_DEP_3) | instskip(NEXT) | instid1(VALU_DEP_1)
	v_cmp_lt_f32_e64 s15, 0, v41
	v_cndmask_b32_e64 v18, v18, v39, s15
	s_delay_alu instid0(VALU_DEP_1) | instskip(NEXT) | instid1(VALU_DEP_1)
	v_mul_f32_e32 v19, 0x37800000, v18
	v_cndmask_b32_e32 v18, v18, v19, vcc_lo
	v_cmp_class_f32_e64 vcc_lo, v14, 0x260
	s_delay_alu instid0(VALU_DEP_2) | instskip(NEXT) | instid1(VALU_DEP_1)
	v_cndmask_b32_e32 v14, v18, v14, vcc_lo
	v_mul_f32_e32 v18, v7, v14
	s_or_b32 exec_lo, exec_lo, s74
	s_delay_alu instid0(VALU_DEP_1) | instskip(NEXT) | instid1(VALU_DEP_1)
	v_cmp_class_f32_e64 s15, v18, 0x1f8
	s_and_saveexec_b32 s74, s15
	s_cbranch_execz .LBB37_33
.LBB37_38:                              ;   in Loop: Header=BB37_12 Depth=3
	s_and_saveexec_b32 s75, s14
	s_delay_alu instid0(SALU_CYCLE_1)
	s_xor_b32 s75, exec_lo, s75
	s_cbranch_execz .LBB37_63
; %bb.39:                               ;   in Loop: Header=BB37_12 Depth=3
	s_mov_b32 s14, exec_lo
	v_cmpx_ge_i32_e64 v5, v9
	s_xor_b32 s76, exec_lo, s14
	s_cbranch_execz .LBB37_47
; %bb.40:                               ;   in Loop: Header=BB37_12 Depth=3
	v_lshlrev_b64 v[18:19], 3, v[9:10]
	s_delay_alu instid0(VALU_DEP_1) | instskip(NEXT) | instid1(VALU_DEP_2)
	v_add_co_u32 v39, vcc_lo, s50, v18
	v_add_co_ci_u32_e32 v40, vcc_lo, s51, v19, vcc_lo
	s_and_not1_b32 vcc_lo, exec_lo, s60
	global_store_b64 v[39:40], v[16:17], off
	s_cbranch_vccnz .LBB37_46
; %bb.41:                               ;   in Loop: Header=BB37_12 Depth=3
	v_add_co_u32 v18, vcc_lo, s48, v18
	v_add_co_ci_u32_e32 v19, vcc_lo, s49, v19, vcc_lo
	s_mov_b32 s14, exec_lo
	global_load_b64 v[18:19], v[18:19], off
	s_waitcnt vmcnt(0)
	v_sub_f32_e32 v7, v18, v16
	v_sub_f32_e32 v17, v19, v17
                                        ; implicit-def: $vgpr16
	s_delay_alu instid0(VALU_DEP_2) | instskip(SKIP_1) | instid1(VALU_DEP_3)
	v_cmp_gt_f32_e32 vcc_lo, 0, v7
	v_cndmask_b32_e64 v7, v7, -v7, vcc_lo
	v_cmp_gt_f32_e32 vcc_lo, 0, v17
	v_cndmask_b32_e64 v14, v17, -v17, vcc_lo
	s_delay_alu instid0(VALU_DEP_1)
	v_cmpx_ngt_f32_e32 v7, v14
	s_xor_b32 s77, exec_lo, s14
	s_cbranch_execnz .LBB37_107
; %bb.42:                               ;   in Loop: Header=BB37_12 Depth=3
	s_and_not1_saveexec_b32 s77, s77
	s_cbranch_execnz .LBB37_110
.LBB37_43:                              ;   in Loop: Header=BB37_12 Depth=3
	s_or_b32 exec_lo, exec_lo, s77
	v_cmp_class_f32_e64 s77, v16, 0x1f8
	s_delay_alu instid0(VALU_DEP_1)
	s_and_saveexec_b32 s14, s77
.LBB37_44:                              ;   in Loop: Header=BB37_12 Depth=3
	v_cmp_lt_f32_e32 vcc_lo, v2, v16
	v_cndmask_b32_e32 v2, v2, v16, vcc_lo
.LBB37_45:                              ;   in Loop: Header=BB37_12 Depth=3
	s_or_b32 exec_lo, exec_lo, s14
.LBB37_46:                              ;   in Loop: Header=BB37_12 Depth=3
                                        ; implicit-def: $vgpr16
.LBB37_47:                              ;   in Loop: Header=BB37_12 Depth=3
	s_and_not1_saveexec_b32 s76, s76
	s_cbranch_execz .LBB37_62
; %bb.48:                               ;   in Loop: Header=BB37_12 Depth=3
	s_mov_b32 s77, exec_lo
	v_cmpx_lt_i32_e64 v15, v38
	s_cbranch_execz .LBB37_61
; %bb.49:                               ;   in Loop: Header=BB37_12 Depth=3
	v_mov_b32_e32 v7, v15
	s_mov_b32 s14, 0
                                        ; implicit-def: $sgpr78
                                        ; implicit-def: $sgpr80
                                        ; implicit-def: $sgpr79
	s_set_inst_prefetch_distance 0x1
	s_branch .LBB37_51
	.p2align	6
.LBB37_50:                              ;   in Loop: Header=BB37_51 Depth=4
	s_or_b32 exec_lo, exec_lo, s81
	s_delay_alu instid0(SALU_CYCLE_1) | instskip(NEXT) | instid1(SALU_CYCLE_1)
	s_and_b32 s81, exec_lo, s80
	s_or_b32 s14, s81, s14
	s_and_not1_b32 s78, s78, exec_lo
	s_and_b32 s81, s79, exec_lo
	s_delay_alu instid0(SALU_CYCLE_1)
	s_or_b32 s78, s78, s81
	s_and_not1_b32 exec_lo, exec_lo, s14
	s_cbranch_execz .LBB37_53
.LBB37_51:                              ;   Parent Loop BB37_3 Depth=1
                                        ;     Parent Loop BB37_7 Depth=2
                                        ;       Parent Loop BB37_12 Depth=3
                                        ; =>      This Inner Loop Header: Depth=4
	s_delay_alu instid0(VALU_DEP_1) | instskip(SKIP_3) | instid1(VALU_DEP_1)
	v_add_nc_u32_e32 v18, v13, v7
	s_or_b32 s79, s79, exec_lo
	s_or_b32 s80, s80, exec_lo
	s_mov_b32 s81, exec_lo
	v_ashrrev_i32_e32 v19, 31, v18
	s_delay_alu instid0(VALU_DEP_1) | instskip(NEXT) | instid1(VALU_DEP_1)
	v_lshlrev_b64 v[39:40], 2, v[18:19]
	v_add_co_u32 v39, vcc_lo, s20, v39
	s_delay_alu instid0(VALU_DEP_2) | instskip(SKIP_3) | instid1(VALU_DEP_1)
	v_add_co_ci_u32_e32 v40, vcc_lo, s21, v40, vcc_lo
	global_load_b32 v14, v[39:40], off
	s_waitcnt vmcnt(0)
	v_subrev_nc_u32_e32 v14, s65, v14
	v_cmpx_ne_u32_e64 v14, v5
	s_cbranch_execz .LBB37_50
; %bb.52:                               ;   in Loop: Header=BB37_51 Depth=4
	v_add_nc_u32_e32 v7, 1, v7
	s_and_not1_b32 s80, s80, exec_lo
	s_and_not1_b32 s79, s79, exec_lo
	s_delay_alu instid0(VALU_DEP_1) | instskip(SKIP_1) | instid1(SALU_CYCLE_1)
	v_cmp_ge_i32_e32 vcc_lo, v7, v38
	s_and_b32 s82, vcc_lo, exec_lo
	s_or_b32 s80, s80, s82
	s_branch .LBB37_50
.LBB37_53:                              ;   in Loop: Header=BB37_12 Depth=3
	s_set_inst_prefetch_distance 0x2
	s_or_b32 exec_lo, exec_lo, s14
	s_and_saveexec_b32 s14, s78
	s_delay_alu instid0(SALU_CYCLE_1)
	s_xor_b32 s78, exec_lo, s14
	s_cbranch_execz .LBB37_60
; %bb.54:                               ;   in Loop: Header=BB37_12 Depth=3
	v_lshlrev_b64 v[18:19], 3, v[18:19]
	s_delay_alu instid0(VALU_DEP_1) | instskip(NEXT) | instid1(VALU_DEP_2)
	v_add_co_u32 v39, vcc_lo, s56, v18
	v_add_co_ci_u32_e32 v40, vcc_lo, s57, v19, vcc_lo
	s_and_not1_b32 vcc_lo, exec_lo, s60
	global_store_b64 v[39:40], v[16:17], off
	s_cbranch_vccnz .LBB37_60
; %bb.55:                               ;   in Loop: Header=BB37_12 Depth=3
	v_add_co_u32 v18, vcc_lo, s22, v18
	v_add_co_ci_u32_e32 v19, vcc_lo, s23, v19, vcc_lo
	s_mov_b32 s14, exec_lo
	global_load_b64 v[18:19], v[18:19], off
	s_waitcnt vmcnt(0)
	v_sub_f32_e32 v7, v18, v16
	v_sub_f32_e32 v17, v19, v17
                                        ; implicit-def: $vgpr16
	s_delay_alu instid0(VALU_DEP_2) | instskip(SKIP_1) | instid1(VALU_DEP_3)
	v_cmp_gt_f32_e32 vcc_lo, 0, v7
	v_cndmask_b32_e64 v7, v7, -v7, vcc_lo
	v_cmp_gt_f32_e32 vcc_lo, 0, v17
	v_cndmask_b32_e64 v14, v17, -v17, vcc_lo
	s_delay_alu instid0(VALU_DEP_1)
	v_cmpx_ngt_f32_e32 v7, v14
	s_xor_b32 s79, exec_lo, s14
	s_cbranch_execnz .LBB37_115
; %bb.56:                               ;   in Loop: Header=BB37_12 Depth=3
	s_and_not1_saveexec_b32 s79, s79
	s_cbranch_execnz .LBB37_118
.LBB37_57:                              ;   in Loop: Header=BB37_12 Depth=3
	s_or_b32 exec_lo, exec_lo, s79
	v_cmp_class_f32_e64 s79, v16, 0x1f8
	s_delay_alu instid0(VALU_DEP_1)
	s_and_saveexec_b32 s14, s79
.LBB37_58:                              ;   in Loop: Header=BB37_12 Depth=3
	v_cmp_lt_f32_e32 vcc_lo, v2, v16
	v_cndmask_b32_e32 v2, v2, v16, vcc_lo
.LBB37_59:                              ;   in Loop: Header=BB37_12 Depth=3
	s_or_b32 exec_lo, exec_lo, s14
.LBB37_60:                              ;   in Loop: Header=BB37_12 Depth=3
	s_delay_alu instid0(SALU_CYCLE_1)
	s_or_b32 exec_lo, exec_lo, s78
.LBB37_61:                              ;   in Loop: Header=BB37_12 Depth=3
	s_delay_alu instid0(SALU_CYCLE_1)
	s_or_b32 exec_lo, exec_lo, s77
.LBB37_62:                              ;   in Loop: Header=BB37_12 Depth=3
	s_delay_alu instid0(SALU_CYCLE_1)
	s_or_b32 exec_lo, exec_lo, s76
                                        ; implicit-def: $vgpr16
.LBB37_63:                              ;   in Loop: Header=BB37_12 Depth=3
	s_and_not1_saveexec_b32 s75, s75
	s_cbranch_execz .LBB37_78
; %bb.64:                               ;   in Loop: Header=BB37_12 Depth=3
	s_mov_b32 s76, exec_lo
	v_cmpx_lt_i32_e64 v3, v31
	s_cbranch_execz .LBB37_77
; %bb.65:                               ;   in Loop: Header=BB37_12 Depth=3
	v_mov_b32_e32 v7, v3
	s_mov_b32 s14, 0
                                        ; implicit-def: $sgpr77
                                        ; implicit-def: $sgpr79
                                        ; implicit-def: $sgpr78
	s_set_inst_prefetch_distance 0x1
	s_branch .LBB37_67
	.p2align	6
.LBB37_66:                              ;   in Loop: Header=BB37_67 Depth=4
	s_or_b32 exec_lo, exec_lo, s80
	s_delay_alu instid0(SALU_CYCLE_1) | instskip(NEXT) | instid1(SALU_CYCLE_1)
	s_and_b32 s80, exec_lo, s79
	s_or_b32 s14, s80, s14
	s_and_not1_b32 s77, s77, exec_lo
	s_and_b32 s80, s78, exec_lo
	s_delay_alu instid0(SALU_CYCLE_1)
	s_or_b32 s77, s77, s80
	s_and_not1_b32 exec_lo, exec_lo, s14
	s_cbranch_execz .LBB37_69
.LBB37_67:                              ;   Parent Loop BB37_3 Depth=1
                                        ;     Parent Loop BB37_7 Depth=2
                                        ;       Parent Loop BB37_12 Depth=3
                                        ; =>      This Inner Loop Header: Depth=4
	s_delay_alu instid0(VALU_DEP_1) | instskip(SKIP_3) | instid1(VALU_DEP_1)
	v_add_nc_u32_e32 v18, v8, v7
	s_or_b32 s78, s78, exec_lo
	s_or_b32 s79, s79, exec_lo
	s_mov_b32 s80, exec_lo
	v_ashrrev_i32_e32 v19, 31, v18
	s_delay_alu instid0(VALU_DEP_1) | instskip(NEXT) | instid1(VALU_DEP_1)
	v_lshlrev_b64 v[39:40], 2, v[18:19]
	v_add_co_u32 v39, vcc_lo, s28, v39
	s_delay_alu instid0(VALU_DEP_2) | instskip(SKIP_3) | instid1(VALU_DEP_1)
	v_add_co_ci_u32_e32 v40, vcc_lo, s29, v40, vcc_lo
	global_load_b32 v14, v[39:40], off
	s_waitcnt vmcnt(0)
	v_subrev_nc_u32_e32 v14, s64, v14
	v_cmpx_ne_u32_e64 v14, v9
	s_cbranch_execz .LBB37_66
; %bb.68:                               ;   in Loop: Header=BB37_67 Depth=4
	v_add_nc_u32_e32 v7, 1, v7
	s_and_not1_b32 s79, s79, exec_lo
	s_and_not1_b32 s78, s78, exec_lo
	s_delay_alu instid0(VALU_DEP_1) | instskip(SKIP_1) | instid1(SALU_CYCLE_1)
	v_cmp_ge_i32_e32 vcc_lo, v7, v31
	s_and_b32 s81, vcc_lo, exec_lo
	s_or_b32 s79, s79, s81
	s_branch .LBB37_66
.LBB37_69:                              ;   in Loop: Header=BB37_12 Depth=3
	s_set_inst_prefetch_distance 0x2
	s_or_b32 exec_lo, exec_lo, s14
	s_and_saveexec_b32 s14, s77
	s_delay_alu instid0(SALU_CYCLE_1)
	s_xor_b32 s77, exec_lo, s14
	s_cbranch_execz .LBB37_76
; %bb.70:                               ;   in Loop: Header=BB37_12 Depth=3
	v_lshlrev_b64 v[18:19], 3, v[18:19]
	s_delay_alu instid0(VALU_DEP_1) | instskip(NEXT) | instid1(VALU_DEP_2)
	v_add_co_u32 v39, vcc_lo, s54, v18
	v_add_co_ci_u32_e32 v40, vcc_lo, s55, v19, vcc_lo
	s_and_not1_b32 vcc_lo, exec_lo, s60
	global_store_b64 v[39:40], v[16:17], off
	s_cbranch_vccnz .LBB37_76
; %bb.71:                               ;   in Loop: Header=BB37_12 Depth=3
	v_add_co_u32 v18, vcc_lo, s30, v18
	v_add_co_ci_u32_e32 v19, vcc_lo, s31, v19, vcc_lo
	s_mov_b32 s14, exec_lo
	global_load_b64 v[18:19], v[18:19], off
	s_waitcnt vmcnt(0)
	v_sub_f32_e32 v7, v18, v16
	v_sub_f32_e32 v17, v19, v17
                                        ; implicit-def: $vgpr16
	s_delay_alu instid0(VALU_DEP_2) | instskip(SKIP_1) | instid1(VALU_DEP_3)
	v_cmp_gt_f32_e32 vcc_lo, 0, v7
	v_cndmask_b32_e64 v7, v7, -v7, vcc_lo
	v_cmp_gt_f32_e32 vcc_lo, 0, v17
	v_cndmask_b32_e64 v14, v17, -v17, vcc_lo
	s_delay_alu instid0(VALU_DEP_1)
	v_cmpx_ngt_f32_e32 v7, v14
	s_xor_b32 s78, exec_lo, s14
	s_cbranch_execnz .LBB37_111
; %bb.72:                               ;   in Loop: Header=BB37_12 Depth=3
	s_and_not1_saveexec_b32 s78, s78
	s_cbranch_execnz .LBB37_114
.LBB37_73:                              ;   in Loop: Header=BB37_12 Depth=3
	s_or_b32 exec_lo, exec_lo, s78
	v_cmp_class_f32_e64 s78, v16, 0x1f8
	s_delay_alu instid0(VALU_DEP_1)
	s_and_saveexec_b32 s14, s78
.LBB37_74:                              ;   in Loop: Header=BB37_12 Depth=3
	v_cmp_lt_f32_e32 vcc_lo, v2, v16
	v_cndmask_b32_e32 v2, v2, v16, vcc_lo
.LBB37_75:                              ;   in Loop: Header=BB37_12 Depth=3
	s_or_b32 exec_lo, exec_lo, s14
.LBB37_76:                              ;   in Loop: Header=BB37_12 Depth=3
	s_delay_alu instid0(SALU_CYCLE_1)
	s_or_b32 exec_lo, exec_lo, s77
.LBB37_77:                              ;   in Loop: Header=BB37_12 Depth=3
	s_delay_alu instid0(SALU_CYCLE_1)
	s_or_b32 exec_lo, exec_lo, s76
.LBB37_78:                              ;   in Loop: Header=BB37_12 Depth=3
	s_delay_alu instid0(SALU_CYCLE_1) | instskip(NEXT) | instid1(SALU_CYCLE_1)
	s_or_b32 exec_lo, exec_lo, s75
	s_or_b32 exec_lo, exec_lo, s74
	s_and_b32 s14, s15, s33
	s_delay_alu instid0(SALU_CYCLE_1)
	s_and_saveexec_b32 s15, s14
	s_cbranch_execz .LBB37_11
.LBB37_79:                              ;   in Loop: Header=BB37_12 Depth=3
	s_mov_b32 s14, exec_lo
	v_cmpx_ge_i32_e64 v15, v38
	s_xor_b32 s14, exec_lo, s14
	s_cbranch_execnz .LBB37_86
; %bb.80:                               ;   in Loop: Header=BB37_12 Depth=3
	s_and_not1_saveexec_b32 s14, s14
	s_cbranch_execnz .LBB37_100
.LBB37_81:                              ;   in Loop: Header=BB37_12 Depth=3
	s_or_b32 exec_lo, exec_lo, s14
	s_delay_alu instid0(SALU_CYCLE_1)
	s_mov_b32 s14, exec_lo
	v_cmpx_eq_u32_e64 v5, v9
	s_cbranch_execz .LBB37_83
.LBB37_82:                              ;   in Loop: Header=BB37_12 Depth=3
	v_lshlrev_b64 v[9:10], 3, v[9:10]
	s_delay_alu instid0(VALU_DEP_1) | instskip(NEXT) | instid1(VALU_DEP_2)
	v_add_co_u32 v9, vcc_lo, s48, v9
	v_add_co_ci_u32_e32 v10, vcc_lo, s49, v10, vcc_lo
	global_load_b64 v[9:10], v[9:10], off
	s_waitcnt vmcnt(0)
	v_dual_add_f32 v36, v36, v9 :: v_dual_add_f32 v37, v37, v10
.LBB37_83:                              ;   in Loop: Header=BB37_12 Depth=3
	s_or_b32 exec_lo, exec_lo, s14
	s_delay_alu instid0(VALU_DEP_1) | instskip(SKIP_1) | instid1(VALU_DEP_1)
	v_dual_sub_f32 v3, v11, v36 :: v_dual_sub_f32 v10, v12, v37
                                        ; implicit-def: $vgpr9
	s_mov_b32 s14, exec_lo
	v_cmp_gt_f32_e32 vcc_lo, 0, v3
	v_cndmask_b32_e64 v3, v3, -v3, vcc_lo
	s_delay_alu instid0(VALU_DEP_3) | instskip(SKIP_1) | instid1(VALU_DEP_1)
	v_cmp_gt_f32_e32 vcc_lo, 0, v10
	v_cndmask_b32_e64 v7, v10, -v10, vcc_lo
	v_cmpx_ngt_f32_e32 v3, v7
	s_xor_b32 s74, exec_lo, s14
	s_cbranch_execnz .LBB37_91
; %bb.84:                               ;   in Loop: Header=BB37_12 Depth=3
	s_and_not1_saveexec_b32 s74, s74
	s_cbranch_execnz .LBB37_94
.LBB37_85:                              ;   in Loop: Header=BB37_12 Depth=3
	s_or_b32 exec_lo, exec_lo, s74
	v_cmp_class_f32_e64 s74, v9, 0x1f8
	s_delay_alu instid0(VALU_DEP_1)
	s_and_saveexec_b32 s14, s74
	s_cbranch_execz .LBB37_10
	s_branch .LBB37_95
.LBB37_86:                              ;   in Loop: Header=BB37_12 Depth=3
	s_mov_b32 s74, exec_lo
	v_cmpx_lt_i32_e64 v3, v31
	s_cbranch_execz .LBB37_99
; %bb.87:                               ;   in Loop: Header=BB37_12 Depth=3
	s_mov_b32 s76, 0
                                        ; implicit-def: $sgpr75
                                        ; implicit-def: $sgpr78
                                        ; implicit-def: $sgpr77
	s_set_inst_prefetch_distance 0x1
	s_branch .LBB37_89
	.p2align	6
.LBB37_88:                              ;   in Loop: Header=BB37_89 Depth=4
	s_or_b32 exec_lo, exec_lo, s79
	s_delay_alu instid0(SALU_CYCLE_1) | instskip(NEXT) | instid1(SALU_CYCLE_1)
	s_and_b32 s79, exec_lo, s78
	s_or_b32 s76, s79, s76
	s_and_not1_b32 s75, s75, exec_lo
	s_and_b32 s79, s77, exec_lo
	s_delay_alu instid0(SALU_CYCLE_1)
	s_or_b32 s75, s75, s79
	s_and_not1_b32 exec_lo, exec_lo, s76
	s_cbranch_execz .LBB37_96
.LBB37_89:                              ;   Parent Loop BB37_3 Depth=1
                                        ;     Parent Loop BB37_7 Depth=2
                                        ;       Parent Loop BB37_12 Depth=3
                                        ; =>      This Inner Loop Header: Depth=4
	v_add_nc_u32_e32 v13, v8, v3
	s_or_b32 s77, s77, exec_lo
	s_or_b32 s78, s78, exec_lo
	s_mov_b32 s79, exec_lo
	s_delay_alu instid0(VALU_DEP_1) | instskip(NEXT) | instid1(VALU_DEP_1)
	v_ashrrev_i32_e32 v14, 31, v13
	v_lshlrev_b64 v[15:16], 2, v[13:14]
	s_delay_alu instid0(VALU_DEP_1) | instskip(NEXT) | instid1(VALU_DEP_2)
	v_add_co_u32 v15, vcc_lo, s28, v15
	v_add_co_ci_u32_e32 v16, vcc_lo, s29, v16, vcc_lo
	global_load_b32 v7, v[15:16], off
	s_waitcnt vmcnt(0)
	v_subrev_nc_u32_e32 v7, s64, v7
	s_delay_alu instid0(VALU_DEP_1)
	v_cmpx_ne_u32_e64 v7, v9
	s_cbranch_execz .LBB37_88
; %bb.90:                               ;   in Loop: Header=BB37_89 Depth=4
	v_add_nc_u32_e32 v3, 1, v3
	s_and_not1_b32 s78, s78, exec_lo
	s_and_not1_b32 s77, s77, exec_lo
	s_delay_alu instid0(VALU_DEP_1) | instskip(SKIP_1) | instid1(SALU_CYCLE_1)
	v_cmp_ge_i32_e32 vcc_lo, v3, v31
	s_and_b32 s80, vcc_lo, exec_lo
	s_or_b32 s78, s78, s80
	s_branch .LBB37_88
.LBB37_91:                              ;   in Loop: Header=BB37_12 Depth=3
	v_mov_b32_e32 v9, 0
	s_mov_b32 s75, exec_lo
	v_cmpx_neq_f32_e32 0, v10
	s_cbranch_execz .LBB37_93
; %bb.92:                               ;   in Loop: Header=BB37_12 Depth=3
	v_div_scale_f32 v9, null, v7, v7, v3
	v_div_scale_f32 v12, vcc_lo, v3, v7, v3
	s_delay_alu instid0(VALU_DEP_2) | instskip(SKIP_2) | instid1(VALU_DEP_1)
	v_rcp_f32_e32 v10, v9
	s_waitcnt_depctr 0xfff
	v_fma_f32 v11, -v9, v10, 1.0
	v_fmac_f32_e32 v10, v11, v10
	s_delay_alu instid0(VALU_DEP_1) | instskip(NEXT) | instid1(VALU_DEP_1)
	v_mul_f32_e32 v11, v12, v10
	v_fma_f32 v13, -v9, v11, v12
	s_delay_alu instid0(VALU_DEP_1) | instskip(NEXT) | instid1(VALU_DEP_1)
	v_fmac_f32_e32 v11, v13, v10
	v_fma_f32 v9, -v9, v11, v12
	s_delay_alu instid0(VALU_DEP_1) | instskip(NEXT) | instid1(VALU_DEP_1)
	v_div_fmas_f32 v9, v9, v10, v11
	v_div_fixup_f32 v3, v9, v7, v3
	s_delay_alu instid0(VALU_DEP_1) | instskip(NEXT) | instid1(VALU_DEP_1)
	v_fma_f32 v3, v3, v3, 1.0
	v_mul_f32_e32 v9, 0x4f800000, v3
	v_cmp_gt_f32_e32 vcc_lo, 0xf800000, v3
	s_delay_alu instid0(VALU_DEP_2) | instskip(NEXT) | instid1(VALU_DEP_1)
	v_cndmask_b32_e32 v3, v3, v9, vcc_lo
	v_sqrt_f32_e32 v9, v3
	s_waitcnt_depctr 0xfff
	v_add_nc_u32_e32 v10, -1, v9
	v_add_nc_u32_e32 v11, 1, v9
	s_delay_alu instid0(VALU_DEP_2) | instskip(NEXT) | instid1(VALU_DEP_2)
	v_fma_f32 v12, -v10, v9, v3
	v_fma_f32 v13, -v11, v9, v3
	s_delay_alu instid0(VALU_DEP_2) | instskip(NEXT) | instid1(VALU_DEP_1)
	v_cmp_ge_f32_e64 s14, 0, v12
	v_cndmask_b32_e64 v9, v9, v10, s14
	s_delay_alu instid0(VALU_DEP_3) | instskip(NEXT) | instid1(VALU_DEP_1)
	v_cmp_lt_f32_e64 s14, 0, v13
	v_cndmask_b32_e64 v9, v9, v11, s14
	s_delay_alu instid0(VALU_DEP_1) | instskip(NEXT) | instid1(VALU_DEP_1)
	v_mul_f32_e32 v10, 0x37800000, v9
	v_cndmask_b32_e32 v9, v9, v10, vcc_lo
	v_cmp_class_f32_e64 vcc_lo, v3, 0x260
	s_delay_alu instid0(VALU_DEP_2) | instskip(NEXT) | instid1(VALU_DEP_1)
	v_cndmask_b32_e32 v3, v9, v3, vcc_lo
	v_mul_f32_e32 v9, v7, v3
.LBB37_93:                              ;   in Loop: Header=BB37_12 Depth=3
	s_or_b32 exec_lo, exec_lo, s75
                                        ; implicit-def: $vgpr3
                                        ; implicit-def: $vgpr7
	s_and_not1_saveexec_b32 s74, s74
	s_cbranch_execz .LBB37_85
.LBB37_94:                              ;   in Loop: Header=BB37_12 Depth=3
	v_div_scale_f32 v9, null, v3, v3, v7
	v_div_scale_f32 v12, vcc_lo, v7, v3, v7
	s_delay_alu instid0(VALU_DEP_2) | instskip(SKIP_2) | instid1(VALU_DEP_1)
	v_rcp_f32_e32 v10, v9
	s_waitcnt_depctr 0xfff
	v_fma_f32 v11, -v9, v10, 1.0
	v_fmac_f32_e32 v10, v11, v10
	s_delay_alu instid0(VALU_DEP_1) | instskip(NEXT) | instid1(VALU_DEP_1)
	v_mul_f32_e32 v11, v12, v10
	v_fma_f32 v13, -v9, v11, v12
	s_delay_alu instid0(VALU_DEP_1) | instskip(NEXT) | instid1(VALU_DEP_1)
	v_fmac_f32_e32 v11, v13, v10
	v_fma_f32 v9, -v9, v11, v12
	s_delay_alu instid0(VALU_DEP_1) | instskip(NEXT) | instid1(VALU_DEP_1)
	v_div_fmas_f32 v9, v9, v10, v11
	v_div_fixup_f32 v7, v9, v3, v7
	s_delay_alu instid0(VALU_DEP_1) | instskip(NEXT) | instid1(VALU_DEP_1)
	v_fma_f32 v7, v7, v7, 1.0
	v_mul_f32_e32 v9, 0x4f800000, v7
	v_cmp_gt_f32_e32 vcc_lo, 0xf800000, v7
	s_delay_alu instid0(VALU_DEP_2) | instskip(NEXT) | instid1(VALU_DEP_1)
	v_cndmask_b32_e32 v7, v7, v9, vcc_lo
	v_sqrt_f32_e32 v9, v7
	s_waitcnt_depctr 0xfff
	v_add_nc_u32_e32 v10, -1, v9
	v_add_nc_u32_e32 v11, 1, v9
	s_delay_alu instid0(VALU_DEP_2) | instskip(NEXT) | instid1(VALU_DEP_2)
	v_fma_f32 v12, -v10, v9, v7
	v_fma_f32 v13, -v11, v9, v7
	s_delay_alu instid0(VALU_DEP_2) | instskip(NEXT) | instid1(VALU_DEP_1)
	v_cmp_ge_f32_e64 s14, 0, v12
	v_cndmask_b32_e64 v9, v9, v10, s14
	s_delay_alu instid0(VALU_DEP_3) | instskip(NEXT) | instid1(VALU_DEP_1)
	v_cmp_lt_f32_e64 s14, 0, v13
	v_cndmask_b32_e64 v9, v9, v11, s14
	s_delay_alu instid0(VALU_DEP_1) | instskip(NEXT) | instid1(VALU_DEP_1)
	v_mul_f32_e32 v10, 0x37800000, v9
	v_cndmask_b32_e32 v9, v9, v10, vcc_lo
	v_cmp_class_f32_e64 vcc_lo, v7, 0x260
	s_delay_alu instid0(VALU_DEP_2) | instskip(NEXT) | instid1(VALU_DEP_1)
	v_cndmask_b32_e32 v7, v9, v7, vcc_lo
	v_mul_f32_e32 v9, v3, v7
	s_or_b32 exec_lo, exec_lo, s74
	s_delay_alu instid0(VALU_DEP_1) | instskip(NEXT) | instid1(VALU_DEP_1)
	v_cmp_class_f32_e64 s74, v9, 0x1f8
	s_and_saveexec_b32 s14, s74
	s_cbranch_execz .LBB37_10
.LBB37_95:                              ;   in Loop: Header=BB37_12 Depth=3
	v_cmp_lt_f32_e32 vcc_lo, v1, v9
	v_cndmask_b32_e32 v1, v1, v9, vcc_lo
	s_branch .LBB37_10
.LBB37_96:                              ;   in Loop: Header=BB37_12 Depth=3
	s_set_inst_prefetch_distance 0x2
	s_or_b32 exec_lo, exec_lo, s76
	s_and_saveexec_b32 s76, s75
	s_delay_alu instid0(SALU_CYCLE_1)
	s_xor_b32 s75, exec_lo, s76
	s_cbranch_execz .LBB37_98
; %bb.97:                               ;   in Loop: Header=BB37_12 Depth=3
	v_lshlrev_b64 v[13:14], 3, v[13:14]
	v_lshlrev_b64 v[15:16], 3, v[9:10]
	s_delay_alu instid0(VALU_DEP_2) | instskip(NEXT) | instid1(VALU_DEP_3)
	v_add_co_u32 v13, vcc_lo, s30, v13
	v_add_co_ci_u32_e32 v14, vcc_lo, s31, v14, vcc_lo
	s_delay_alu instid0(VALU_DEP_3) | instskip(NEXT) | instid1(VALU_DEP_4)
	v_add_co_u32 v15, vcc_lo, s48, v15
	v_add_co_ci_u32_e32 v16, vcc_lo, s49, v16, vcc_lo
	global_load_b64 v[13:14], v[13:14], off
	global_load_b64 v[15:16], v[15:16], off
	s_waitcnt vmcnt(0)
	v_mul_f32_e64 v3, v16, -v14
	v_mul_f32_e32 v7, v16, v13
	s_delay_alu instid0(VALU_DEP_2) | instskip(NEXT) | instid1(VALU_DEP_2)
	v_fmac_f32_e32 v3, v13, v15
	v_fmac_f32_e32 v7, v14, v15
	s_delay_alu instid0(VALU_DEP_2) | instskip(NEXT) | instid1(VALU_DEP_2)
	v_add_f32_e32 v36, v36, v3
	v_add_f32_e32 v37, v37, v7
.LBB37_98:                              ;   in Loop: Header=BB37_12 Depth=3
	s_or_b32 exec_lo, exec_lo, s75
.LBB37_99:                              ;   in Loop: Header=BB37_12 Depth=3
	s_delay_alu instid0(SALU_CYCLE_1)
	s_or_b32 exec_lo, exec_lo, s74
                                        ; implicit-def: $vgpr15
                                        ; implicit-def: $vgpr13
                                        ; implicit-def: $vgpr38
	s_and_not1_saveexec_b32 s14, s14
	s_cbranch_execz .LBB37_81
.LBB37_100:                             ;   in Loop: Header=BB37_12 Depth=3
	s_mov_b32 s75, 0
                                        ; implicit-def: $sgpr74
                                        ; implicit-def: $sgpr77
                                        ; implicit-def: $sgpr76
	s_set_inst_prefetch_distance 0x1
	s_branch .LBB37_102
	.p2align	6
.LBB37_101:                             ;   in Loop: Header=BB37_102 Depth=4
	s_or_b32 exec_lo, exec_lo, s78
	s_delay_alu instid0(SALU_CYCLE_1) | instskip(NEXT) | instid1(SALU_CYCLE_1)
	s_and_b32 s78, exec_lo, s77
	s_or_b32 s75, s78, s75
	s_and_not1_b32 s74, s74, exec_lo
	s_and_b32 s78, s76, exec_lo
	s_delay_alu instid0(SALU_CYCLE_1)
	s_or_b32 s74, s74, s78
	s_and_not1_b32 exec_lo, exec_lo, s75
	s_cbranch_execz .LBB37_104
.LBB37_102:                             ;   Parent Loop BB37_3 Depth=1
                                        ;     Parent Loop BB37_7 Depth=2
                                        ;       Parent Loop BB37_12 Depth=3
                                        ; =>      This Inner Loop Header: Depth=4
	v_add_nc_u32_e32 v16, v13, v15
	s_or_b32 s76, s76, exec_lo
	s_or_b32 s77, s77, exec_lo
	s_mov_b32 s78, exec_lo
	s_delay_alu instid0(VALU_DEP_1) | instskip(NEXT) | instid1(VALU_DEP_1)
	v_ashrrev_i32_e32 v17, 31, v16
	v_lshlrev_b64 v[18:19], 2, v[16:17]
	s_delay_alu instid0(VALU_DEP_1) | instskip(NEXT) | instid1(VALU_DEP_2)
	v_add_co_u32 v18, vcc_lo, s20, v18
	v_add_co_ci_u32_e32 v19, vcc_lo, s21, v19, vcc_lo
	global_load_b32 v3, v[18:19], off
	s_waitcnt vmcnt(0)
	v_subrev_nc_u32_e32 v3, s65, v3
	s_delay_alu instid0(VALU_DEP_1)
	v_cmpx_ne_u32_e64 v3, v5
	s_cbranch_execz .LBB37_101
; %bb.103:                              ;   in Loop: Header=BB37_102 Depth=4
	v_add_nc_u32_e32 v15, 1, v15
	s_and_not1_b32 s77, s77, exec_lo
	s_and_not1_b32 s76, s76, exec_lo
	s_delay_alu instid0(VALU_DEP_1) | instskip(SKIP_1) | instid1(SALU_CYCLE_1)
	v_cmp_ge_i32_e32 vcc_lo, v15, v38
	s_and_b32 s79, vcc_lo, exec_lo
	s_or_b32 s77, s77, s79
	s_branch .LBB37_101
.LBB37_104:                             ;   in Loop: Header=BB37_12 Depth=3
	s_set_inst_prefetch_distance 0x2
	s_or_b32 exec_lo, exec_lo, s75
	s_and_saveexec_b32 s75, s74
	s_delay_alu instid0(SALU_CYCLE_1)
	s_xor_b32 s74, exec_lo, s75
	s_cbranch_execz .LBB37_106
; %bb.105:                              ;   in Loop: Header=BB37_12 Depth=3
	v_lshlrev_b64 v[13:14], 3, v[16:17]
	s_delay_alu instid0(VALU_DEP_1) | instskip(NEXT) | instid1(VALU_DEP_2)
	v_add_co_u32 v13, vcc_lo, s22, v13
	v_add_co_ci_u32_e32 v14, vcc_lo, s23, v14, vcc_lo
	global_load_b64 v[13:14], v[13:14], off
	s_waitcnt vmcnt(0)
	v_dual_add_f32 v36, v36, v13 :: v_dual_add_f32 v37, v37, v14
.LBB37_106:                             ;   in Loop: Header=BB37_12 Depth=3
	s_or_b32 exec_lo, exec_lo, s74
	s_delay_alu instid0(SALU_CYCLE_1) | instskip(NEXT) | instid1(SALU_CYCLE_1)
	s_or_b32 exec_lo, exec_lo, s14
	s_mov_b32 s14, exec_lo
	v_cmpx_eq_u32_e64 v5, v9
	s_cbranch_execnz .LBB37_82
	s_branch .LBB37_83
.LBB37_107:                             ;   in Loop: Header=BB37_12 Depth=3
	v_mov_b32_e32 v16, 0
	s_mov_b32 s78, exec_lo
	v_cmpx_neq_f32_e32 0, v17
	s_cbranch_execz .LBB37_109
; %bb.108:                              ;   in Loop: Header=BB37_12 Depth=3
	v_div_scale_f32 v16, null, v14, v14, v7
	v_div_scale_f32 v19, vcc_lo, v7, v14, v7
	s_delay_alu instid0(VALU_DEP_2) | instskip(SKIP_2) | instid1(VALU_DEP_1)
	v_rcp_f32_e32 v17, v16
	s_waitcnt_depctr 0xfff
	v_fma_f32 v18, -v16, v17, 1.0
	v_fmac_f32_e32 v17, v18, v17
	s_delay_alu instid0(VALU_DEP_1) | instskip(NEXT) | instid1(VALU_DEP_1)
	v_mul_f32_e32 v18, v19, v17
	v_fma_f32 v39, -v16, v18, v19
	s_delay_alu instid0(VALU_DEP_1) | instskip(NEXT) | instid1(VALU_DEP_1)
	v_fmac_f32_e32 v18, v39, v17
	v_fma_f32 v16, -v16, v18, v19
	s_delay_alu instid0(VALU_DEP_1) | instskip(NEXT) | instid1(VALU_DEP_1)
	v_div_fmas_f32 v16, v16, v17, v18
	v_div_fixup_f32 v7, v16, v14, v7
	s_delay_alu instid0(VALU_DEP_1) | instskip(NEXT) | instid1(VALU_DEP_1)
	v_fma_f32 v7, v7, v7, 1.0
	v_mul_f32_e32 v16, 0x4f800000, v7
	v_cmp_gt_f32_e32 vcc_lo, 0xf800000, v7
	s_delay_alu instid0(VALU_DEP_2) | instskip(NEXT) | instid1(VALU_DEP_1)
	v_cndmask_b32_e32 v7, v7, v16, vcc_lo
	v_sqrt_f32_e32 v16, v7
	s_waitcnt_depctr 0xfff
	v_add_nc_u32_e32 v17, -1, v16
	v_add_nc_u32_e32 v18, 1, v16
	s_delay_alu instid0(VALU_DEP_2) | instskip(NEXT) | instid1(VALU_DEP_2)
	v_fma_f32 v19, -v17, v16, v7
	v_fma_f32 v39, -v18, v16, v7
	s_delay_alu instid0(VALU_DEP_2) | instskip(NEXT) | instid1(VALU_DEP_1)
	v_cmp_ge_f32_e64 s14, 0, v19
	v_cndmask_b32_e64 v16, v16, v17, s14
	s_delay_alu instid0(VALU_DEP_3) | instskip(NEXT) | instid1(VALU_DEP_1)
	v_cmp_lt_f32_e64 s14, 0, v39
	v_cndmask_b32_e64 v16, v16, v18, s14
	s_delay_alu instid0(VALU_DEP_1) | instskip(NEXT) | instid1(VALU_DEP_1)
	v_mul_f32_e32 v17, 0x37800000, v16
	v_cndmask_b32_e32 v16, v16, v17, vcc_lo
	v_cmp_class_f32_e64 vcc_lo, v7, 0x260
	s_delay_alu instid0(VALU_DEP_2) | instskip(NEXT) | instid1(VALU_DEP_1)
	v_cndmask_b32_e32 v7, v16, v7, vcc_lo
	v_mul_f32_e32 v16, v14, v7
.LBB37_109:                             ;   in Loop: Header=BB37_12 Depth=3
	s_or_b32 exec_lo, exec_lo, s78
                                        ; implicit-def: $vgpr7
                                        ; implicit-def: $vgpr14
	s_and_not1_saveexec_b32 s77, s77
	s_cbranch_execz .LBB37_43
.LBB37_110:                             ;   in Loop: Header=BB37_12 Depth=3
	v_div_scale_f32 v16, null, v7, v7, v14
	v_div_scale_f32 v19, vcc_lo, v14, v7, v14
	s_delay_alu instid0(VALU_DEP_2) | instskip(SKIP_2) | instid1(VALU_DEP_1)
	v_rcp_f32_e32 v17, v16
	s_waitcnt_depctr 0xfff
	v_fma_f32 v18, -v16, v17, 1.0
	v_fmac_f32_e32 v17, v18, v17
	s_delay_alu instid0(VALU_DEP_1) | instskip(NEXT) | instid1(VALU_DEP_1)
	v_mul_f32_e32 v18, v19, v17
	v_fma_f32 v39, -v16, v18, v19
	s_delay_alu instid0(VALU_DEP_1) | instskip(NEXT) | instid1(VALU_DEP_1)
	v_fmac_f32_e32 v18, v39, v17
	v_fma_f32 v16, -v16, v18, v19
	s_delay_alu instid0(VALU_DEP_1) | instskip(NEXT) | instid1(VALU_DEP_1)
	v_div_fmas_f32 v16, v16, v17, v18
	v_div_fixup_f32 v14, v16, v7, v14
	s_delay_alu instid0(VALU_DEP_1) | instskip(NEXT) | instid1(VALU_DEP_1)
	v_fma_f32 v14, v14, v14, 1.0
	v_mul_f32_e32 v16, 0x4f800000, v14
	v_cmp_gt_f32_e32 vcc_lo, 0xf800000, v14
	s_delay_alu instid0(VALU_DEP_2) | instskip(NEXT) | instid1(VALU_DEP_1)
	v_cndmask_b32_e32 v14, v14, v16, vcc_lo
	v_sqrt_f32_e32 v16, v14
	s_waitcnt_depctr 0xfff
	v_add_nc_u32_e32 v17, -1, v16
	v_add_nc_u32_e32 v18, 1, v16
	s_delay_alu instid0(VALU_DEP_2) | instskip(NEXT) | instid1(VALU_DEP_2)
	v_fma_f32 v19, -v17, v16, v14
	v_fma_f32 v39, -v18, v16, v14
	s_delay_alu instid0(VALU_DEP_2) | instskip(NEXT) | instid1(VALU_DEP_1)
	v_cmp_ge_f32_e64 s14, 0, v19
	v_cndmask_b32_e64 v16, v16, v17, s14
	s_delay_alu instid0(VALU_DEP_3) | instskip(NEXT) | instid1(VALU_DEP_1)
	v_cmp_lt_f32_e64 s14, 0, v39
	v_cndmask_b32_e64 v16, v16, v18, s14
	s_delay_alu instid0(VALU_DEP_1) | instskip(NEXT) | instid1(VALU_DEP_1)
	v_mul_f32_e32 v17, 0x37800000, v16
	v_cndmask_b32_e32 v16, v16, v17, vcc_lo
	v_cmp_class_f32_e64 vcc_lo, v14, 0x260
	s_delay_alu instid0(VALU_DEP_2) | instskip(NEXT) | instid1(VALU_DEP_1)
	v_cndmask_b32_e32 v14, v16, v14, vcc_lo
	v_mul_f32_e32 v16, v7, v14
	s_or_b32 exec_lo, exec_lo, s77
	s_delay_alu instid0(VALU_DEP_1) | instskip(NEXT) | instid1(VALU_DEP_1)
	v_cmp_class_f32_e64 s77, v16, 0x1f8
	s_and_saveexec_b32 s14, s77
	s_cbranch_execnz .LBB37_44
	s_branch .LBB37_45
.LBB37_111:                             ;   in Loop: Header=BB37_12 Depth=3
	v_mov_b32_e32 v16, 0
	s_mov_b32 s79, exec_lo
	v_cmpx_neq_f32_e32 0, v17
	s_cbranch_execz .LBB37_113
; %bb.112:                              ;   in Loop: Header=BB37_12 Depth=3
	v_div_scale_f32 v16, null, v14, v14, v7
	v_div_scale_f32 v19, vcc_lo, v7, v14, v7
	s_delay_alu instid0(VALU_DEP_2) | instskip(SKIP_2) | instid1(VALU_DEP_1)
	v_rcp_f32_e32 v17, v16
	s_waitcnt_depctr 0xfff
	v_fma_f32 v18, -v16, v17, 1.0
	v_fmac_f32_e32 v17, v18, v17
	s_delay_alu instid0(VALU_DEP_1) | instskip(NEXT) | instid1(VALU_DEP_1)
	v_mul_f32_e32 v18, v19, v17
	v_fma_f32 v39, -v16, v18, v19
	s_delay_alu instid0(VALU_DEP_1) | instskip(NEXT) | instid1(VALU_DEP_1)
	v_fmac_f32_e32 v18, v39, v17
	v_fma_f32 v16, -v16, v18, v19
	s_delay_alu instid0(VALU_DEP_1) | instskip(NEXT) | instid1(VALU_DEP_1)
	v_div_fmas_f32 v16, v16, v17, v18
	v_div_fixup_f32 v7, v16, v14, v7
	s_delay_alu instid0(VALU_DEP_1) | instskip(NEXT) | instid1(VALU_DEP_1)
	v_fma_f32 v7, v7, v7, 1.0
	v_mul_f32_e32 v16, 0x4f800000, v7
	v_cmp_gt_f32_e32 vcc_lo, 0xf800000, v7
	s_delay_alu instid0(VALU_DEP_2) | instskip(NEXT) | instid1(VALU_DEP_1)
	v_cndmask_b32_e32 v7, v7, v16, vcc_lo
	v_sqrt_f32_e32 v16, v7
	s_waitcnt_depctr 0xfff
	v_add_nc_u32_e32 v17, -1, v16
	v_add_nc_u32_e32 v18, 1, v16
	s_delay_alu instid0(VALU_DEP_2) | instskip(NEXT) | instid1(VALU_DEP_2)
	v_fma_f32 v19, -v17, v16, v7
	v_fma_f32 v39, -v18, v16, v7
	s_delay_alu instid0(VALU_DEP_2) | instskip(NEXT) | instid1(VALU_DEP_1)
	v_cmp_ge_f32_e64 s14, 0, v19
	v_cndmask_b32_e64 v16, v16, v17, s14
	s_delay_alu instid0(VALU_DEP_3) | instskip(NEXT) | instid1(VALU_DEP_1)
	v_cmp_lt_f32_e64 s14, 0, v39
	v_cndmask_b32_e64 v16, v16, v18, s14
	s_delay_alu instid0(VALU_DEP_1) | instskip(NEXT) | instid1(VALU_DEP_1)
	v_mul_f32_e32 v17, 0x37800000, v16
	v_cndmask_b32_e32 v16, v16, v17, vcc_lo
	v_cmp_class_f32_e64 vcc_lo, v7, 0x260
	s_delay_alu instid0(VALU_DEP_2) | instskip(NEXT) | instid1(VALU_DEP_1)
	v_cndmask_b32_e32 v7, v16, v7, vcc_lo
	v_mul_f32_e32 v16, v14, v7
.LBB37_113:                             ;   in Loop: Header=BB37_12 Depth=3
	s_or_b32 exec_lo, exec_lo, s79
                                        ; implicit-def: $vgpr7
                                        ; implicit-def: $vgpr14
	s_and_not1_saveexec_b32 s78, s78
	s_cbranch_execz .LBB37_73
.LBB37_114:                             ;   in Loop: Header=BB37_12 Depth=3
	v_div_scale_f32 v16, null, v7, v7, v14
	v_div_scale_f32 v19, vcc_lo, v14, v7, v14
	s_delay_alu instid0(VALU_DEP_2) | instskip(SKIP_2) | instid1(VALU_DEP_1)
	v_rcp_f32_e32 v17, v16
	s_waitcnt_depctr 0xfff
	v_fma_f32 v18, -v16, v17, 1.0
	v_fmac_f32_e32 v17, v18, v17
	s_delay_alu instid0(VALU_DEP_1) | instskip(NEXT) | instid1(VALU_DEP_1)
	v_mul_f32_e32 v18, v19, v17
	v_fma_f32 v39, -v16, v18, v19
	s_delay_alu instid0(VALU_DEP_1) | instskip(NEXT) | instid1(VALU_DEP_1)
	v_fmac_f32_e32 v18, v39, v17
	v_fma_f32 v16, -v16, v18, v19
	s_delay_alu instid0(VALU_DEP_1) | instskip(NEXT) | instid1(VALU_DEP_1)
	v_div_fmas_f32 v16, v16, v17, v18
	v_div_fixup_f32 v14, v16, v7, v14
	s_delay_alu instid0(VALU_DEP_1) | instskip(NEXT) | instid1(VALU_DEP_1)
	v_fma_f32 v14, v14, v14, 1.0
	v_mul_f32_e32 v16, 0x4f800000, v14
	v_cmp_gt_f32_e32 vcc_lo, 0xf800000, v14
	s_delay_alu instid0(VALU_DEP_2) | instskip(NEXT) | instid1(VALU_DEP_1)
	v_cndmask_b32_e32 v14, v14, v16, vcc_lo
	v_sqrt_f32_e32 v16, v14
	s_waitcnt_depctr 0xfff
	v_add_nc_u32_e32 v17, -1, v16
	v_add_nc_u32_e32 v18, 1, v16
	s_delay_alu instid0(VALU_DEP_2) | instskip(NEXT) | instid1(VALU_DEP_2)
	v_fma_f32 v19, -v17, v16, v14
	v_fma_f32 v39, -v18, v16, v14
	s_delay_alu instid0(VALU_DEP_2) | instskip(NEXT) | instid1(VALU_DEP_1)
	v_cmp_ge_f32_e64 s14, 0, v19
	v_cndmask_b32_e64 v16, v16, v17, s14
	s_delay_alu instid0(VALU_DEP_3) | instskip(NEXT) | instid1(VALU_DEP_1)
	v_cmp_lt_f32_e64 s14, 0, v39
	v_cndmask_b32_e64 v16, v16, v18, s14
	s_delay_alu instid0(VALU_DEP_1) | instskip(NEXT) | instid1(VALU_DEP_1)
	v_mul_f32_e32 v17, 0x37800000, v16
	v_cndmask_b32_e32 v16, v16, v17, vcc_lo
	v_cmp_class_f32_e64 vcc_lo, v14, 0x260
	s_delay_alu instid0(VALU_DEP_2) | instskip(NEXT) | instid1(VALU_DEP_1)
	v_cndmask_b32_e32 v14, v16, v14, vcc_lo
	v_mul_f32_e32 v16, v7, v14
	s_or_b32 exec_lo, exec_lo, s78
	s_delay_alu instid0(VALU_DEP_1) | instskip(NEXT) | instid1(VALU_DEP_1)
	v_cmp_class_f32_e64 s78, v16, 0x1f8
	s_and_saveexec_b32 s14, s78
	s_cbranch_execnz .LBB37_74
	s_branch .LBB37_75
.LBB37_115:                             ;   in Loop: Header=BB37_12 Depth=3
	v_mov_b32_e32 v16, 0
	s_mov_b32 s80, exec_lo
	v_cmpx_neq_f32_e32 0, v17
	s_cbranch_execz .LBB37_117
; %bb.116:                              ;   in Loop: Header=BB37_12 Depth=3
	v_div_scale_f32 v16, null, v14, v14, v7
	v_div_scale_f32 v19, vcc_lo, v7, v14, v7
	s_delay_alu instid0(VALU_DEP_2) | instskip(SKIP_2) | instid1(VALU_DEP_1)
	v_rcp_f32_e32 v17, v16
	s_waitcnt_depctr 0xfff
	v_fma_f32 v18, -v16, v17, 1.0
	v_fmac_f32_e32 v17, v18, v17
	s_delay_alu instid0(VALU_DEP_1) | instskip(NEXT) | instid1(VALU_DEP_1)
	v_mul_f32_e32 v18, v19, v17
	v_fma_f32 v39, -v16, v18, v19
	s_delay_alu instid0(VALU_DEP_1) | instskip(NEXT) | instid1(VALU_DEP_1)
	v_fmac_f32_e32 v18, v39, v17
	v_fma_f32 v16, -v16, v18, v19
	s_delay_alu instid0(VALU_DEP_1) | instskip(NEXT) | instid1(VALU_DEP_1)
	v_div_fmas_f32 v16, v16, v17, v18
	v_div_fixup_f32 v7, v16, v14, v7
	s_delay_alu instid0(VALU_DEP_1) | instskip(NEXT) | instid1(VALU_DEP_1)
	v_fma_f32 v7, v7, v7, 1.0
	v_mul_f32_e32 v16, 0x4f800000, v7
	v_cmp_gt_f32_e32 vcc_lo, 0xf800000, v7
	s_delay_alu instid0(VALU_DEP_2) | instskip(NEXT) | instid1(VALU_DEP_1)
	v_cndmask_b32_e32 v7, v7, v16, vcc_lo
	v_sqrt_f32_e32 v16, v7
	s_waitcnt_depctr 0xfff
	v_add_nc_u32_e32 v17, -1, v16
	v_add_nc_u32_e32 v18, 1, v16
	s_delay_alu instid0(VALU_DEP_2) | instskip(NEXT) | instid1(VALU_DEP_2)
	v_fma_f32 v19, -v17, v16, v7
	v_fma_f32 v39, -v18, v16, v7
	s_delay_alu instid0(VALU_DEP_2) | instskip(NEXT) | instid1(VALU_DEP_1)
	v_cmp_ge_f32_e64 s14, 0, v19
	v_cndmask_b32_e64 v16, v16, v17, s14
	s_delay_alu instid0(VALU_DEP_3) | instskip(NEXT) | instid1(VALU_DEP_1)
	v_cmp_lt_f32_e64 s14, 0, v39
	v_cndmask_b32_e64 v16, v16, v18, s14
	s_delay_alu instid0(VALU_DEP_1) | instskip(NEXT) | instid1(VALU_DEP_1)
	v_mul_f32_e32 v17, 0x37800000, v16
	v_cndmask_b32_e32 v16, v16, v17, vcc_lo
	v_cmp_class_f32_e64 vcc_lo, v7, 0x260
	s_delay_alu instid0(VALU_DEP_2) | instskip(NEXT) | instid1(VALU_DEP_1)
	v_cndmask_b32_e32 v7, v16, v7, vcc_lo
	v_mul_f32_e32 v16, v14, v7
.LBB37_117:                             ;   in Loop: Header=BB37_12 Depth=3
	s_or_b32 exec_lo, exec_lo, s80
                                        ; implicit-def: $vgpr7
                                        ; implicit-def: $vgpr14
	s_and_not1_saveexec_b32 s79, s79
	s_cbranch_execz .LBB37_57
.LBB37_118:                             ;   in Loop: Header=BB37_12 Depth=3
	v_div_scale_f32 v16, null, v7, v7, v14
	v_div_scale_f32 v19, vcc_lo, v14, v7, v14
	s_delay_alu instid0(VALU_DEP_2) | instskip(SKIP_2) | instid1(VALU_DEP_1)
	v_rcp_f32_e32 v17, v16
	s_waitcnt_depctr 0xfff
	v_fma_f32 v18, -v16, v17, 1.0
	v_fmac_f32_e32 v17, v18, v17
	s_delay_alu instid0(VALU_DEP_1) | instskip(NEXT) | instid1(VALU_DEP_1)
	v_mul_f32_e32 v18, v19, v17
	v_fma_f32 v39, -v16, v18, v19
	s_delay_alu instid0(VALU_DEP_1) | instskip(NEXT) | instid1(VALU_DEP_1)
	v_fmac_f32_e32 v18, v39, v17
	v_fma_f32 v16, -v16, v18, v19
	s_delay_alu instid0(VALU_DEP_1) | instskip(NEXT) | instid1(VALU_DEP_1)
	v_div_fmas_f32 v16, v16, v17, v18
	v_div_fixup_f32 v14, v16, v7, v14
	s_delay_alu instid0(VALU_DEP_1) | instskip(NEXT) | instid1(VALU_DEP_1)
	v_fma_f32 v14, v14, v14, 1.0
	v_mul_f32_e32 v16, 0x4f800000, v14
	v_cmp_gt_f32_e32 vcc_lo, 0xf800000, v14
	s_delay_alu instid0(VALU_DEP_2) | instskip(NEXT) | instid1(VALU_DEP_1)
	v_cndmask_b32_e32 v14, v14, v16, vcc_lo
	v_sqrt_f32_e32 v16, v14
	s_waitcnt_depctr 0xfff
	v_add_nc_u32_e32 v17, -1, v16
	v_add_nc_u32_e32 v18, 1, v16
	s_delay_alu instid0(VALU_DEP_2) | instskip(NEXT) | instid1(VALU_DEP_2)
	v_fma_f32 v19, -v17, v16, v14
	v_fma_f32 v39, -v18, v16, v14
	s_delay_alu instid0(VALU_DEP_2) | instskip(NEXT) | instid1(VALU_DEP_1)
	v_cmp_ge_f32_e64 s14, 0, v19
	v_cndmask_b32_e64 v16, v16, v17, s14
	s_delay_alu instid0(VALU_DEP_3) | instskip(NEXT) | instid1(VALU_DEP_1)
	v_cmp_lt_f32_e64 s14, 0, v39
	v_cndmask_b32_e64 v16, v16, v18, s14
	s_delay_alu instid0(VALU_DEP_1) | instskip(NEXT) | instid1(VALU_DEP_1)
	v_mul_f32_e32 v17, 0x37800000, v16
	v_cndmask_b32_e32 v16, v16, v17, vcc_lo
	v_cmp_class_f32_e64 vcc_lo, v14, 0x260
	s_delay_alu instid0(VALU_DEP_2) | instskip(NEXT) | instid1(VALU_DEP_1)
	v_cndmask_b32_e32 v14, v16, v14, vcc_lo
	v_mul_f32_e32 v16, v7, v14
	s_or_b32 exec_lo, exec_lo, s79
	s_delay_alu instid0(VALU_DEP_1) | instskip(NEXT) | instid1(VALU_DEP_1)
	v_cmp_class_f32_e64 s79, v16, 0x1f8
	s_and_saveexec_b32 s14, s79
	s_cbranch_execnz .LBB37_58
	s_branch .LBB37_59
.LBB37_119:                             ;   in Loop: Header=BB37_3 Depth=1
	v_xor_b32_e32 v5, 2, v22
	v_xor_b32_e32 v3, 1, v22
	s_and_b32 vcc_lo, exec_lo, s60
	s_cbranch_vccnz .LBB37_122
; %bb.120:                              ;   in Loop: Header=BB37_3 Depth=1
	s_and_not1_b32 vcc_lo, exec_lo, s33
	s_cbranch_vccz .LBB37_141
.LBB37_121:                             ;   in Loop: Header=BB37_3 Depth=1
	s_and_saveexec_b32 s14, s9
	s_cbranch_execnz .LBB37_160
	s_branch .LBB37_171
.LBB37_122:                             ;   in Loop: Header=BB37_3 Depth=1
	s_delay_alu instid0(VALU_DEP_2) | instskip(SKIP_2) | instid1(VALU_DEP_2)
	v_cmp_gt_i32_e32 vcc_lo, 32, v5
	v_cndmask_b32_e32 v6, v22, v5, vcc_lo
	v_cmp_gt_i32_e32 vcc_lo, 32, v3
	v_dual_cndmask_b32 v7, v22, v3 :: v_dual_lshlrev_b32 v6, 2, v6
	ds_bpermute_b32 v6, v6, v2
	s_waitcnt lgkmcnt(0)
	v_cmp_lt_f32_e32 vcc_lo, v2, v6
	v_cndmask_b32_e32 v2, v2, v6, vcc_lo
	v_lshlrev_b32_e32 v6, 2, v7
	ds_bpermute_b32 v6, v6, v2
	s_and_saveexec_b32 s13, s2
	s_cbranch_execz .LBB37_124
; %bb.123:                              ;   in Loop: Header=BB37_3 Depth=1
	s_waitcnt lgkmcnt(0)
	v_cmp_lt_f32_e32 vcc_lo, v2, v6
	v_cndmask_b32_e32 v2, v2, v6, vcc_lo
	ds_store_b32 v25, v2
.LBB37_124:                             ;   in Loop: Header=BB37_3 Depth=1
	s_or_b32 exec_lo, exec_lo, s13
	s_waitcnt lgkmcnt(0)
	s_waitcnt_vscnt null, 0x0
	s_barrier
	buffer_gl0_inv
	s_and_saveexec_b32 s13, s3
	s_cbranch_execz .LBB37_126
; %bb.125:                              ;   in Loop: Header=BB37_3 Depth=1
	ds_load_2addr_stride64_b32 v[6:7], v20 offset1:2
	s_waitcnt lgkmcnt(0)
	v_cmp_lt_f32_e32 vcc_lo, v6, v7
	v_cndmask_b32_e32 v2, v6, v7, vcc_lo
	ds_store_b32 v20, v2
.LBB37_126:                             ;   in Loop: Header=BB37_3 Depth=1
	s_or_b32 exec_lo, exec_lo, s13
	s_waitcnt lgkmcnt(0)
	s_barrier
	buffer_gl0_inv
	s_and_saveexec_b32 s13, s4
	s_cbranch_execz .LBB37_128
; %bb.127:                              ;   in Loop: Header=BB37_3 Depth=1
	ds_load_2addr_stride64_b32 v[6:7], v20 offset1:1
	s_waitcnt lgkmcnt(0)
	v_cmp_lt_f32_e32 vcc_lo, v6, v7
	v_cndmask_b32_e32 v2, v6, v7, vcc_lo
	ds_store_b32 v20, v2
.LBB37_128:                             ;   in Loop: Header=BB37_3 Depth=1
	s_or_b32 exec_lo, exec_lo, s13
	s_waitcnt lgkmcnt(0)
	s_barrier
	buffer_gl0_inv
	s_and_saveexec_b32 s13, s5
	s_cbranch_execz .LBB37_130
; %bb.129:                              ;   in Loop: Header=BB37_3 Depth=1
	ds_load_2addr_b32 v[6:7], v20 offset1:32
	s_waitcnt lgkmcnt(0)
	v_cmp_lt_f32_e32 vcc_lo, v6, v7
	v_cndmask_b32_e32 v2, v6, v7, vcc_lo
	ds_store_b32 v20, v2
.LBB37_130:                             ;   in Loop: Header=BB37_3 Depth=1
	s_or_b32 exec_lo, exec_lo, s13
	s_waitcnt lgkmcnt(0)
	s_barrier
	buffer_gl0_inv
	s_and_saveexec_b32 s13, s6
	s_cbranch_execz .LBB37_132
; %bb.131:                              ;   in Loop: Header=BB37_3 Depth=1
	ds_load_2addr_b32 v[6:7], v20 offset1:16
	s_waitcnt lgkmcnt(0)
	v_cmp_lt_f32_e32 vcc_lo, v6, v7
	v_cndmask_b32_e32 v2, v6, v7, vcc_lo
	ds_store_b32 v20, v2
.LBB37_132:                             ;   in Loop: Header=BB37_3 Depth=1
	;; [unrolled: 13-line block ×5, first 2 shown]
	s_or_b32 exec_lo, exec_lo, s13
	s_waitcnt lgkmcnt(0)
	s_barrier
	buffer_gl0_inv
	s_and_saveexec_b32 s13, s11
	s_cbranch_execz .LBB37_140
; %bb.139:                              ;   in Loop: Header=BB37_3 Depth=1
	ds_load_b64 v[6:7], v29
	s_waitcnt lgkmcnt(0)
	v_cmp_lt_f32_e32 vcc_lo, v6, v7
	v_cndmask_b32_e32 v2, v6, v7, vcc_lo
	ds_store_b32 v29, v2
.LBB37_140:                             ;   in Loop: Header=BB37_3 Depth=1
	s_or_b32 exec_lo, exec_lo, s13
	s_waitcnt lgkmcnt(0)
	s_barrier
	buffer_gl0_inv
	ds_load_b32 v2, v29
	s_load_b32 s13, s[58:59], 0x0
	s_waitcnt lgkmcnt(0)
	v_div_scale_f32 v6, null, s13, s13, v2
	s_delay_alu instid0(VALU_DEP_1) | instskip(SKIP_2) | instid1(VALU_DEP_1)
	v_rcp_f32_e32 v7, v6
	s_waitcnt_depctr 0xfff
	v_fma_f32 v8, -v6, v7, 1.0
	v_fmac_f32_e32 v7, v8, v7
	v_div_scale_f32 v8, vcc_lo, v2, s13, v2
	s_delay_alu instid0(VALU_DEP_1) | instskip(NEXT) | instid1(VALU_DEP_1)
	v_mul_f32_e32 v9, v8, v7
	v_fma_f32 v10, -v6, v9, v8
	s_delay_alu instid0(VALU_DEP_1) | instskip(NEXT) | instid1(VALU_DEP_1)
	v_fmac_f32_e32 v9, v10, v7
	v_fma_f32 v6, -v6, v9, v8
	s_delay_alu instid0(VALU_DEP_1) | instskip(NEXT) | instid1(VALU_DEP_1)
	v_div_fmas_f32 v6, v6, v7, v9
	v_div_fixup_f32 v2, v6, s13, v2
	s_and_not1_b32 vcc_lo, exec_lo, s33
	s_cbranch_vccnz .LBB37_121
.LBB37_141:                             ;   in Loop: Header=BB37_3 Depth=1
	v_cmp_gt_i32_e32 vcc_lo, 32, v5
	v_cndmask_b32_e32 v5, v22, v5, vcc_lo
	v_cmp_gt_i32_e32 vcc_lo, 32, v3
	s_delay_alu instid0(VALU_DEP_2)
	v_lshlrev_b32_e32 v5, 2, v5
	v_cndmask_b32_e32 v3, v22, v3, vcc_lo
	ds_bpermute_b32 v5, v5, v1
	v_lshlrev_b32_e32 v3, 2, v3
	s_waitcnt lgkmcnt(0)
	v_cmp_lt_f32_e32 vcc_lo, v1, v5
	v_cndmask_b32_e32 v1, v1, v5, vcc_lo
	ds_bpermute_b32 v3, v3, v1
	s_and_saveexec_b32 s13, s2
	s_cbranch_execz .LBB37_143
; %bb.142:                              ;   in Loop: Header=BB37_3 Depth=1
	s_waitcnt lgkmcnt(0)
	v_cmp_lt_f32_e32 vcc_lo, v1, v3
	v_cndmask_b32_e32 v1, v1, v3, vcc_lo
	ds_store_b32 v25, v1
.LBB37_143:                             ;   in Loop: Header=BB37_3 Depth=1
	s_or_b32 exec_lo, exec_lo, s13
	s_waitcnt lgkmcnt(0)
	s_waitcnt_vscnt null, 0x0
	s_barrier
	buffer_gl0_inv
	s_and_saveexec_b32 s13, s3
	s_cbranch_execz .LBB37_145
; %bb.144:                              ;   in Loop: Header=BB37_3 Depth=1
	ds_load_2addr_stride64_b32 v[5:6], v20 offset1:2
	s_waitcnt lgkmcnt(0)
	v_cmp_lt_f32_e32 vcc_lo, v5, v6
	v_cndmask_b32_e32 v1, v5, v6, vcc_lo
	ds_store_b32 v20, v1
.LBB37_145:                             ;   in Loop: Header=BB37_3 Depth=1
	s_or_b32 exec_lo, exec_lo, s13
	s_waitcnt lgkmcnt(0)
	s_barrier
	buffer_gl0_inv
	s_and_saveexec_b32 s13, s4
	s_cbranch_execz .LBB37_147
; %bb.146:                              ;   in Loop: Header=BB37_3 Depth=1
	ds_load_2addr_stride64_b32 v[5:6], v20 offset1:1
	s_waitcnt lgkmcnt(0)
	v_cmp_lt_f32_e32 vcc_lo, v5, v6
	v_cndmask_b32_e32 v1, v5, v6, vcc_lo
	ds_store_b32 v20, v1
.LBB37_147:                             ;   in Loop: Header=BB37_3 Depth=1
	s_or_b32 exec_lo, exec_lo, s13
	s_waitcnt lgkmcnt(0)
	s_barrier
	buffer_gl0_inv
	s_and_saveexec_b32 s13, s5
	s_cbranch_execz .LBB37_149
; %bb.148:                              ;   in Loop: Header=BB37_3 Depth=1
	ds_load_2addr_b32 v[5:6], v20 offset1:32
	s_waitcnt lgkmcnt(0)
	v_cmp_lt_f32_e32 vcc_lo, v5, v6
	v_cndmask_b32_e32 v1, v5, v6, vcc_lo
	ds_store_b32 v20, v1
.LBB37_149:                             ;   in Loop: Header=BB37_3 Depth=1
	s_or_b32 exec_lo, exec_lo, s13
	s_waitcnt lgkmcnt(0)
	s_barrier
	buffer_gl0_inv
	s_and_saveexec_b32 s13, s6
	s_cbranch_execz .LBB37_151
; %bb.150:                              ;   in Loop: Header=BB37_3 Depth=1
	ds_load_2addr_b32 v[5:6], v20 offset1:16
	s_waitcnt lgkmcnt(0)
	v_cmp_lt_f32_e32 vcc_lo, v5, v6
	v_cndmask_b32_e32 v1, v5, v6, vcc_lo
	ds_store_b32 v20, v1
.LBB37_151:                             ;   in Loop: Header=BB37_3 Depth=1
	;; [unrolled: 13-line block ×5, first 2 shown]
	s_or_b32 exec_lo, exec_lo, s13
	s_waitcnt lgkmcnt(0)
	s_barrier
	buffer_gl0_inv
	s_and_saveexec_b32 s13, s11
	s_cbranch_execz .LBB37_159
; %bb.158:                              ;   in Loop: Header=BB37_3 Depth=1
	ds_load_b64 v[5:6], v29
	s_waitcnt lgkmcnt(0)
	v_cmp_lt_f32_e32 vcc_lo, v5, v6
	v_cndmask_b32_e32 v1, v5, v6, vcc_lo
	ds_store_b32 v29, v1
.LBB37_159:                             ;   in Loop: Header=BB37_3 Depth=1
	s_or_b32 exec_lo, exec_lo, s13
	s_waitcnt lgkmcnt(0)
	s_barrier
	buffer_gl0_inv
	ds_load_b32 v1, v29
	s_load_b32 s13, s[58:59], 0x0
	s_waitcnt lgkmcnt(0)
	v_div_scale_f32 v3, null, s13, s13, v1
	s_delay_alu instid0(VALU_DEP_1) | instskip(SKIP_2) | instid1(VALU_DEP_1)
	v_rcp_f32_e32 v5, v3
	s_waitcnt_depctr 0xfff
	v_fma_f32 v6, -v3, v5, 1.0
	v_fmac_f32_e32 v5, v6, v5
	v_div_scale_f32 v6, vcc_lo, v1, s13, v1
	s_delay_alu instid0(VALU_DEP_1) | instskip(NEXT) | instid1(VALU_DEP_1)
	v_mul_f32_e32 v7, v6, v5
	v_fma_f32 v8, -v3, v7, v6
	s_delay_alu instid0(VALU_DEP_1) | instskip(NEXT) | instid1(VALU_DEP_1)
	v_fmac_f32_e32 v7, v8, v5
	v_fma_f32 v3, -v3, v7, v6
	s_delay_alu instid0(VALU_DEP_1) | instskip(NEXT) | instid1(VALU_DEP_1)
	v_div_fmas_f32 v3, v3, v5, v7
	v_div_fixup_f32 v1, v3, s13, v1
	s_and_saveexec_b32 s14, s9
	s_cbranch_execz .LBB37_171
.LBB37_160:                             ;   in Loop: Header=BB37_3 Depth=1
	v_mov_b32_e32 v5, v24
	s_mov_b32 s15, 0
	s_branch .LBB37_162
.LBB37_161:                             ;   in Loop: Header=BB37_162 Depth=2
	s_or_b32 exec_lo, exec_lo, s70
	v_add_nc_u32_e32 v5, 0x100, v5
	s_delay_alu instid0(VALU_DEP_1) | instskip(SKIP_1) | instid1(SALU_CYCLE_1)
	v_cmp_le_u32_e32 vcc_lo, s66, v5
	s_or_b32 s15, vcc_lo, s15
	s_and_not1_b32 exec_lo, exec_lo, s15
	s_cbranch_execz .LBB37_171
.LBB37_162:                             ;   Parent Loop BB37_3 Depth=1
                                        ; =>  This Loop Header: Depth=2
                                        ;       Child Loop BB37_165 Depth 3
                                        ;       Child Loop BB37_168 Depth 3
	s_mov_b32 s70, exec_lo
	s_delay_alu instid0(VALU_DEP_1)
	v_cmpx_gt_i32_e64 s53, v5
	s_cbranch_execz .LBB37_161
; %bb.163:                              ;   in Loop: Header=BB37_162 Depth=2
	v_ashrrev_i32_e32 v6, 31, v5
	s_mov_b32 s71, exec_lo
	s_delay_alu instid0(VALU_DEP_1) | instskip(NEXT) | instid1(VALU_DEP_1)
	v_lshlrev_b64 v[7:8], 2, v[5:6]
	v_add_co_u32 v9, vcc_lo, s24, v7
	s_delay_alu instid0(VALU_DEP_2)
	v_add_co_ci_u32_e32 v10, vcc_lo, s25, v8, vcc_lo
	v_add_co_u32 v11, vcc_lo, s26, v7
	v_add_co_ci_u32_e32 v12, vcc_lo, s27, v8, vcc_lo
	global_load_b32 v3, v[9:10], off
	global_load_b32 v10, v[11:12], off
	s_waitcnt vmcnt(1)
	v_add_nc_u32_e32 v9, v27, v3
	s_waitcnt vmcnt(0)
	v_subrev_nc_u32_e32 v3, s64, v10
	s_delay_alu instid0(VALU_DEP_1)
	v_cmpx_lt_i32_e64 v9, v3
	s_cbranch_execz .LBB37_166
; %bb.164:                              ;   in Loop: Header=BB37_162 Depth=2
	v_ashrrev_i32_e32 v10, 31, v9
	s_mov_b32 s72, 0
	s_delay_alu instid0(VALU_DEP_1) | instskip(NEXT) | instid1(VALU_DEP_1)
	v_lshlrev_b64 v[12:13], 3, v[9:10]
	v_add_co_u32 v10, vcc_lo, s54, v12
	s_delay_alu instid0(VALU_DEP_2)
	v_add_co_ci_u32_e32 v11, vcc_lo, s55, v13, vcc_lo
	v_add_co_u32 v12, vcc_lo, s30, v12
	v_add_co_ci_u32_e32 v13, vcc_lo, s31, v13, vcc_lo
.LBB37_165:                             ;   Parent Loop BB37_3 Depth=1
                                        ;     Parent Loop BB37_162 Depth=2
                                        ; =>    This Inner Loop Header: Depth=3
	global_load_b64 v[14:15], v[10:11], off
	v_add_nc_u32_e32 v9, 4, v9
	v_add_co_u32 v10, vcc_lo, v10, 32
	v_add_co_ci_u32_e32 v11, vcc_lo, 0, v11, vcc_lo
	s_delay_alu instid0(VALU_DEP_3) | instskip(SKIP_4) | instid1(VALU_DEP_1)
	v_cmp_ge_i32_e32 vcc_lo, v9, v3
	s_or_b32 s72, vcc_lo, s72
	s_waitcnt vmcnt(0)
	global_store_b64 v[12:13], v[14:15], off
	v_add_co_u32 v12, s13, v12, 32
	v_add_co_ci_u32_e64 v13, s13, 0, v13, s13
	s_and_not1_b32 exec_lo, exec_lo, s72
	s_cbranch_execnz .LBB37_165
.LBB37_166:                             ;   in Loop: Header=BB37_162 Depth=2
	s_or_b32 exec_lo, exec_lo, s71
	v_add_co_u32 v9, vcc_lo, s16, v7
	v_add_co_ci_u32_e32 v10, vcc_lo, s17, v8, vcc_lo
	v_add_co_u32 v7, vcc_lo, s18, v7
	v_add_co_ci_u32_e32 v8, vcc_lo, s19, v8, vcc_lo
	s_mov_b32 s71, exec_lo
	global_load_b32 v3, v[9:10], off
	global_load_b32 v8, v[7:8], off
	s_waitcnt vmcnt(1)
	v_add_nc_u32_e32 v7, v28, v3
	s_waitcnt vmcnt(0)
	v_subrev_nc_u32_e32 v3, s65, v8
	s_delay_alu instid0(VALU_DEP_1)
	v_cmpx_lt_i32_e64 v7, v3
	s_cbranch_execz .LBB37_169
; %bb.167:                              ;   in Loop: Header=BB37_162 Depth=2
	v_ashrrev_i32_e32 v8, 31, v7
	s_mov_b32 s72, 0
	s_delay_alu instid0(VALU_DEP_1) | instskip(NEXT) | instid1(VALU_DEP_1)
	v_lshlrev_b64 v[10:11], 3, v[7:8]
	v_add_co_u32 v8, vcc_lo, s56, v10
	s_delay_alu instid0(VALU_DEP_2)
	v_add_co_ci_u32_e32 v9, vcc_lo, s57, v11, vcc_lo
	v_add_co_u32 v10, vcc_lo, s22, v10
	v_add_co_ci_u32_e32 v11, vcc_lo, s23, v11, vcc_lo
.LBB37_168:                             ;   Parent Loop BB37_3 Depth=1
                                        ;     Parent Loop BB37_162 Depth=2
                                        ; =>    This Inner Loop Header: Depth=3
	global_load_b64 v[12:13], v[8:9], off
	v_add_nc_u32_e32 v7, 4, v7
	v_add_co_u32 v8, vcc_lo, v8, 32
	v_add_co_ci_u32_e32 v9, vcc_lo, 0, v9, vcc_lo
	s_delay_alu instid0(VALU_DEP_3) | instskip(SKIP_4) | instid1(VALU_DEP_1)
	v_cmp_ge_i32_e32 vcc_lo, v7, v3
	s_or_b32 s72, vcc_lo, s72
	s_waitcnt vmcnt(0)
	global_store_b64 v[10:11], v[12:13], off
	v_add_co_u32 v10, s13, v10, 32
	v_add_co_ci_u32_e64 v11, s13, 0, v11, s13
	s_and_not1_b32 exec_lo, exec_lo, s72
	s_cbranch_execnz .LBB37_168
.LBB37_169:                             ;   in Loop: Header=BB37_162 Depth=2
	s_or_b32 exec_lo, exec_lo, s71
	s_delay_alu instid0(SALU_CYCLE_1)
	s_and_b32 exec_lo, exec_lo, s12
	s_cbranch_execz .LBB37_161
; %bb.170:                              ;   in Loop: Header=BB37_162 Depth=2
	v_lshlrev_b64 v[6:7], 3, v[5:6]
	s_delay_alu instid0(VALU_DEP_1) | instskip(NEXT) | instid1(VALU_DEP_2)
	v_add_co_u32 v8, vcc_lo, s50, v6
	v_add_co_ci_u32_e32 v9, vcc_lo, s51, v7, vcc_lo
	v_add_co_u32 v6, vcc_lo, s48, v6
	v_add_co_ci_u32_e32 v7, vcc_lo, s49, v7, vcc_lo
	global_load_b64 v[8:9], v[8:9], off
	s_waitcnt vmcnt(0)
	global_store_b64 v[6:7], v[8:9], off
	s_branch .LBB37_161
.LBB37_171:                             ;   in Loop: Header=BB37_3 Depth=1
	s_or_b32 exec_lo, exec_lo, s14
	s_mov_b32 s14, -1
	s_and_b32 vcc_lo, exec_lo, s61
	s_mov_b32 s13, -1
	s_cbranch_vccz .LBB37_181
; %bb.172:                              ;   in Loop: Header=BB37_3 Depth=1
	s_and_b32 vcc_lo, exec_lo, s68
                                        ; implicit-def: $sgpr15
	s_cbranch_vccz .LBB37_178
; %bb.173:                              ;   in Loop: Header=BB37_3 Depth=1
	s_and_b32 vcc_lo, exec_lo, s67
                                        ; implicit-def: $sgpr15
	s_cbranch_vccz .LBB37_175
; %bb.174:                              ;   in Loop: Header=BB37_3 Depth=1
	v_cmp_ge_f32_e32 vcc_lo, s52, v1
	s_mov_b32 s13, 0
	s_and_b32 s15, vcc_lo, exec_lo
.LBB37_175:                             ;   in Loop: Header=BB37_3 Depth=1
	s_and_not1_b32 vcc_lo, exec_lo, s13
	s_cbranch_vccnz .LBB37_177
; %bb.176:                              ;   in Loop: Header=BB37_3 Depth=1
	v_cmp_ge_f32_e32 vcc_lo, s52, v2
	s_and_not1_b32 s13, s15, exec_lo
	s_and_b32 s15, vcc_lo, exec_lo
	s_delay_alu instid0(SALU_CYCLE_1)
	s_or_b32 s15, s13, s15
.LBB37_177:                             ;   in Loop: Header=BB37_3 Depth=1
	s_mov_b32 s13, 0
.LBB37_178:                             ;   in Loop: Header=BB37_3 Depth=1
	s_delay_alu instid0(SALU_CYCLE_1)
	s_and_not1_b32 vcc_lo, exec_lo, s13
	s_cbranch_vccnz .LBB37_180
; %bb.179:                              ;   in Loop: Header=BB37_3 Depth=1
	v_cmp_ge_f32_e32 vcc_lo, s52, v2
	v_cmp_ge_f32_e64 s13, s52, v1
	s_and_not1_b32 s15, s15, exec_lo
	s_delay_alu instid0(VALU_DEP_1) | instskip(NEXT) | instid1(SALU_CYCLE_1)
	s_and_b32 s13, vcc_lo, s13
	s_and_b32 s13, s13, exec_lo
	s_delay_alu instid0(SALU_CYCLE_1)
	s_or_b32 s15, s15, s13
.LBB37_180:                             ;   in Loop: Header=BB37_3 Depth=1
	s_delay_alu instid0(SALU_CYCLE_1)
	s_xor_b32 s13, s15, -1
.LBB37_181:                             ;   in Loop: Header=BB37_3 Depth=1
	v_mov_b32_e32 v3, s69
	s_and_saveexec_b32 s15, s13
	s_cbranch_execz .LBB37_2
; %bb.182:                              ;   in Loop: Header=BB37_3 Depth=1
	s_add_i32 s69, s69, 1
	v_mov_b32_e32 v3, s35
	s_cmp_eq_u32 s69, s35
	s_cselect_b32 s13, -1, 0
	s_delay_alu instid0(SALU_CYCLE_1)
	s_or_not1_b32 s14, s13, exec_lo
	s_branch .LBB37_2
.LBB37_183:
	s_or_b32 exec_lo, exec_lo, s62
.LBB37_184:
	s_delay_alu instid0(SALU_CYCLE_1) | instskip(NEXT) | instid1(SALU_CYCLE_1)
	s_or_b32 exec_lo, exec_lo, s34
	s_and_not1_b32 vcc_lo, exec_lo, s61
	s_cbranch_vccnz .LBB37_207
; %bb.185:
	v_xor_b32_e32 v4, 2, v22
	v_xor_b32_e32 v5, 1, v22
	s_mov_b32 s2, exec_lo
	s_delay_alu instid0(VALU_DEP_2) | instskip(SKIP_1) | instid1(VALU_DEP_3)
	v_cmp_gt_i32_e32 vcc_lo, 32, v4
	v_cndmask_b32_e32 v4, v22, v4, vcc_lo
	v_cmp_gt_i32_e32 vcc_lo, 32, v5
	s_delay_alu instid0(VALU_DEP_2)
	v_dual_cndmask_b32 v5, v22, v5 :: v_dual_lshlrev_b32 v4, 2, v4
	ds_bpermute_b32 v4, v4, v3
	s_waitcnt lgkmcnt(0)
	v_max_i32_e32 v3, v3, v4
	v_lshlrev_b32_e32 v4, 2, v5
	ds_bpermute_b32 v4, v4, v3
	v_cmpx_eq_u32_e32 3, v23
	s_cbranch_execz .LBB37_187
; %bb.186:
	v_lshlrev_b32_e32 v5, 2, v21
	s_waitcnt lgkmcnt(0)
	v_max_i32_e32 v3, v3, v4
	ds_store_b32 v5, v3 offset:1024
.LBB37_187:
	s_or_b32 exec_lo, exec_lo, s2
	s_delay_alu instid0(SALU_CYCLE_1)
	s_mov_b32 s2, exec_lo
	s_waitcnt lgkmcnt(0)
	s_waitcnt_vscnt null, 0x0
	s_barrier
	buffer_gl0_inv
	v_cmpx_gt_u32_e32 0x80, v0
	s_cbranch_execz .LBB37_189
; %bb.188:
	ds_load_2addr_stride64_b32 v[3:4], v20 offset0:4 offset1:6
	s_waitcnt lgkmcnt(0)
	v_max_i32_e32 v3, v3, v4
	ds_store_b32 v20, v3 offset:1024
.LBB37_189:
	s_or_b32 exec_lo, exec_lo, s2
	s_delay_alu instid0(SALU_CYCLE_1)
	s_mov_b32 s2, exec_lo
	s_waitcnt lgkmcnt(0)
	s_barrier
	buffer_gl0_inv
	v_cmpx_gt_u32_e32 64, v0
	s_cbranch_execz .LBB37_191
; %bb.190:
	ds_load_2addr_stride64_b32 v[3:4], v20 offset0:4 offset1:5
	s_waitcnt lgkmcnt(0)
	v_max_i32_e32 v3, v3, v4
	ds_store_b32 v20, v3 offset:1024
.LBB37_191:
	s_or_b32 exec_lo, exec_lo, s2
	s_delay_alu instid0(SALU_CYCLE_1)
	s_mov_b32 s2, exec_lo
	s_waitcnt lgkmcnt(0)
	s_barrier
	buffer_gl0_inv
	v_cmpx_gt_u32_e32 32, v0
	s_cbranch_execz .LBB37_193
; %bb.192:
	v_add_nc_u32_e32 v3, 0x400, v20
	ds_load_2addr_b32 v[3:4], v3 offset1:32
	s_waitcnt lgkmcnt(0)
	v_max_i32_e32 v3, v3, v4
	ds_store_b32 v20, v3 offset:1024
.LBB37_193:
	s_or_b32 exec_lo, exec_lo, s2
	s_delay_alu instid0(SALU_CYCLE_1)
	s_mov_b32 s2, exec_lo
	s_waitcnt lgkmcnt(0)
	s_barrier
	buffer_gl0_inv
	v_cmpx_gt_u32_e32 16, v0
	s_cbranch_execz .LBB37_195
; %bb.194:
	v_add_nc_u32_e32 v3, 0x400, v20
	ds_load_2addr_b32 v[3:4], v3 offset1:16
	s_waitcnt lgkmcnt(0)
	v_max_i32_e32 v3, v3, v4
	ds_store_b32 v20, v3 offset:1024
.LBB37_195:
	;; [unrolled: 15-line block ×5, first 2 shown]
	s_or_b32 exec_lo, exec_lo, s2
	v_cmp_eq_u32_e32 vcc_lo, 0, v0
	s_waitcnt lgkmcnt(0)
	s_barrier
	buffer_gl0_inv
	s_and_saveexec_b32 s2, vcc_lo
	s_cbranch_execz .LBB37_203
; %bb.202:
	v_mov_b32_e32 v5, 0
	ds_load_b64 v[3:4], v5 offset:1024
	s_waitcnt lgkmcnt(0)
	v_max_i32_e32 v3, v3, v4
	ds_store_b32 v5, v3 offset:1024
.LBB37_203:
	s_or_b32 exec_lo, exec_lo, s2
	s_waitcnt lgkmcnt(0)
	s_barrier
	buffer_gl0_inv
	s_and_saveexec_b32 s2, vcc_lo
	s_cbranch_execz .LBB37_206
; %bb.204:
	v_mbcnt_lo_u32_b32 v3, exec_lo, 0
	s_delay_alu instid0(VALU_DEP_1)
	v_cmp_eq_u32_e32 vcc_lo, 0, v3
	s_and_b32 exec_lo, exec_lo, vcc_lo
	s_cbranch_execz .LBB37_206
; %bb.205:
	v_mov_b32_e32 v3, 0
	s_load_b64 s[0:1], s[0:1], 0x8
	ds_load_b32 v4, v3 offset:1024
	s_waitcnt lgkmcnt(0)
	v_add_nc_u32_e32 v4, 1, v4
	global_atomic_max_i32 v3, v4, s[0:1]
.LBB37_206:
	s_or_b32 exec_lo, exec_lo, s2
.LBB37_207:
	v_cmp_eq_u32_e32 vcc_lo, 0, v0
	s_mov_b32 s2, 0
	s_and_b32 s0, vcc_lo, s60
	s_delay_alu instid0(SALU_CYCLE_1)
	s_and_saveexec_b32 s3, s0
	s_cbranch_execz .LBB37_212
; %bb.208:
	v_mov_b32_e32 v0, 0
	v_cmp_eq_f32_e64 s0, 0, v2
                                        ; implicit-def: $sgpr4
                                        ; implicit-def: $sgpr5
	global_load_b32 v3, v0, s[44:45] glc
	s_waitcnt vmcnt(0)
	v_cmp_eq_u32_e64 s6, 0x80000000, v3
	s_set_inst_prefetch_distance 0x1
	s_branch .LBB37_210
	.p2align	6
.LBB37_209:                             ;   in Loop: Header=BB37_210 Depth=1
	s_or_b32 exec_lo, exec_lo, s7
	s_delay_alu instid0(SALU_CYCLE_1) | instskip(NEXT) | instid1(SALU_CYCLE_1)
	s_and_b32 s1, exec_lo, s4
	s_or_b32 s2, s1, s2
	s_and_not1_b32 s1, s6, exec_lo
	s_and_b32 s6, s5, exec_lo
	s_delay_alu instid0(SALU_CYCLE_1)
	s_or_b32 s6, s1, s6
	s_and_not1_b32 exec_lo, exec_lo, s2
	s_cbranch_execz .LBB37_212
.LBB37_210:                             ; =>This Inner Loop Header: Depth=1
	v_cmp_lt_f32_e64 s1, v3, v2
	s_delay_alu instid0(VALU_DEP_2) | instskip(SKIP_2) | instid1(VALU_DEP_1)
	s_and_b32 s7, s0, s6
	s_and_not1_b32 s5, s5, exec_lo
	s_or_b32 s4, s4, exec_lo
	s_or_b32 s1, s1, s7
	s_delay_alu instid0(SALU_CYCLE_1)
	s_and_saveexec_b32 s7, s1
	s_cbranch_execz .LBB37_209
; %bb.211:                              ;   in Loop: Header=BB37_210 Depth=1
	global_atomic_cmpswap_b32 v4, v0, v[2:3], s[44:45] glc
	s_and_not1_b32 s5, s5, exec_lo
	s_and_not1_b32 s4, s4, exec_lo
	s_waitcnt vmcnt(0)
	v_cmp_eq_u32_e64 s1, v4, v3
	s_delay_alu instid0(VALU_DEP_1) | instskip(SKIP_1) | instid1(SALU_CYCLE_1)
	v_cndmask_b32_e64 v3, v4, v3, s1
	s_and_b32 s1, s1, exec_lo
	s_or_b32 s4, s4, s1
	s_delay_alu instid0(VALU_DEP_1) | instskip(SKIP_1) | instid1(VALU_DEP_2)
	v_cmp_class_f32_e64 s6, v3, 32
	v_mov_b32_e32 v3, v4
	s_and_b32 s6, s6, exec_lo
	s_delay_alu instid0(SALU_CYCLE_1)
	s_or_b32 s5, s5, s6
                                        ; implicit-def: $sgpr6
	s_branch .LBB37_209
.LBB37_212:
	s_set_inst_prefetch_distance 0x2
	s_or_b32 exec_lo, exec_lo, s3
	s_and_b32 s0, vcc_lo, s33
	s_delay_alu instid0(SALU_CYCLE_1)
	s_and_saveexec_b32 s1, s0
	s_cbranch_execz .LBB37_217
; %bb.213:
	v_mov_b32_e32 v0, 0
	v_cmp_eq_f32_e32 vcc_lo, 0, v1
	s_mov_b32 s1, 0
                                        ; implicit-def: $sgpr2
                                        ; implicit-def: $sgpr3
	global_load_b32 v2, v0, s[46:47] glc
	s_waitcnt vmcnt(0)
	v_cmp_eq_u32_e64 s4, 0x80000000, v2
	s_set_inst_prefetch_distance 0x1
	s_branch .LBB37_215
	.p2align	6
.LBB37_214:                             ;   in Loop: Header=BB37_215 Depth=1
	s_or_b32 exec_lo, exec_lo, s5
	s_delay_alu instid0(SALU_CYCLE_1) | instskip(NEXT) | instid1(SALU_CYCLE_1)
	s_and_b32 s0, exec_lo, s2
	s_or_b32 s1, s0, s1
	s_and_not1_b32 s0, s4, exec_lo
	s_and_b32 s4, s3, exec_lo
	s_delay_alu instid0(SALU_CYCLE_1)
	s_or_b32 s4, s0, s4
	s_and_not1_b32 exec_lo, exec_lo, s1
	s_cbranch_execz .LBB37_217
.LBB37_215:                             ; =>This Inner Loop Header: Depth=1
	v_cmp_lt_f32_e64 s0, v2, v1
	s_delay_alu instid0(VALU_DEP_2) | instskip(SKIP_2) | instid1(VALU_DEP_1)
	s_and_b32 s5, vcc_lo, s4
	s_and_not1_b32 s3, s3, exec_lo
	s_or_b32 s2, s2, exec_lo
	s_or_b32 s0, s0, s5
	s_delay_alu instid0(SALU_CYCLE_1)
	s_and_saveexec_b32 s5, s0
	s_cbranch_execz .LBB37_214
; %bb.216:                              ;   in Loop: Header=BB37_215 Depth=1
	global_atomic_cmpswap_b32 v3, v0, v[1:2], s[46:47] glc
	s_and_not1_b32 s3, s3, exec_lo
	s_and_not1_b32 s2, s2, exec_lo
	s_waitcnt vmcnt(0)
	v_cmp_eq_u32_e64 s0, v3, v2
	s_delay_alu instid0(VALU_DEP_1) | instskip(SKIP_1) | instid1(SALU_CYCLE_1)
	v_cndmask_b32_e64 v2, v3, v2, s0
	s_and_b32 s0, s0, exec_lo
	s_or_b32 s2, s2, s0
	s_delay_alu instid0(VALU_DEP_1) | instskip(SKIP_1) | instid1(VALU_DEP_2)
	v_cmp_class_f32_e64 s4, v2, 32
	v_mov_b32_e32 v2, v3
	s_and_b32 s4, s4, exec_lo
	s_delay_alu instid0(SALU_CYCLE_1)
	s_or_b32 s3, s3, s4
                                        ; implicit-def: $sgpr4
	s_branch .LBB37_214
.LBB37_217:
	s_set_inst_prefetch_distance 0x2
	s_nop 0
	s_sendmsg sendmsg(MSG_DEALLOC_VGPRS)
	s_endpgm
	.section	.rodata,"a",@progbits
	.p2align	6, 0x0
	.amdhsa_kernel _ZN9rocsparseL6kernelILi1024ELi4E21rocsparse_complex_numIfEiiEEvbbbT3_PS3_NS_15floating_traitsIT1_E6data_tES3_T2_PKS9_SB_PKS3_PKS6_21rocsparse_index_base_SB_SB_SD_PS6_SH_SG_SB_SB_SD_SH_SH_SG_SH_SH_PS8_SI_PKS8_
		.amdhsa_group_segment_fixed_size 2048
		.amdhsa_private_segment_fixed_size 0
		.amdhsa_kernarg_size 208
		.amdhsa_user_sgpr_count 15
		.amdhsa_user_sgpr_dispatch_ptr 0
		.amdhsa_user_sgpr_queue_ptr 0
		.amdhsa_user_sgpr_kernarg_segment_ptr 1
		.amdhsa_user_sgpr_dispatch_id 0
		.amdhsa_user_sgpr_private_segment_size 0
		.amdhsa_wavefront_size32 1
		.amdhsa_uses_dynamic_stack 0
		.amdhsa_enable_private_segment 0
		.amdhsa_system_sgpr_workgroup_id_x 1
		.amdhsa_system_sgpr_workgroup_id_y 0
		.amdhsa_system_sgpr_workgroup_id_z 0
		.amdhsa_system_sgpr_workgroup_info 0
		.amdhsa_system_vgpr_workitem_id 0
		.amdhsa_next_free_vgpr 44
		.amdhsa_next_free_sgpr 83
		.amdhsa_reserve_vcc 1
		.amdhsa_float_round_mode_32 0
		.amdhsa_float_round_mode_16_64 0
		.amdhsa_float_denorm_mode_32 3
		.amdhsa_float_denorm_mode_16_64 3
		.amdhsa_dx10_clamp 1
		.amdhsa_ieee_mode 1
		.amdhsa_fp16_overflow 0
		.amdhsa_workgroup_processor_mode 1
		.amdhsa_memory_ordered 1
		.amdhsa_forward_progress 0
		.amdhsa_shared_vgpr_count 0
		.amdhsa_exception_fp_ieee_invalid_op 0
		.amdhsa_exception_fp_denorm_src 0
		.amdhsa_exception_fp_ieee_div_zero 0
		.amdhsa_exception_fp_ieee_overflow 0
		.amdhsa_exception_fp_ieee_underflow 0
		.amdhsa_exception_fp_ieee_inexact 0
		.amdhsa_exception_int_div_zero 0
	.end_amdhsa_kernel
	.section	.text._ZN9rocsparseL6kernelILi1024ELi4E21rocsparse_complex_numIfEiiEEvbbbT3_PS3_NS_15floating_traitsIT1_E6data_tES3_T2_PKS9_SB_PKS3_PKS6_21rocsparse_index_base_SB_SB_SD_PS6_SH_SG_SB_SB_SD_SH_SH_SG_SH_SH_PS8_SI_PKS8_,"axG",@progbits,_ZN9rocsparseL6kernelILi1024ELi4E21rocsparse_complex_numIfEiiEEvbbbT3_PS3_NS_15floating_traitsIT1_E6data_tES3_T2_PKS9_SB_PKS3_PKS6_21rocsparse_index_base_SB_SB_SD_PS6_SH_SG_SB_SB_SD_SH_SH_SG_SH_SH_PS8_SI_PKS8_,comdat
.Lfunc_end37:
	.size	_ZN9rocsparseL6kernelILi1024ELi4E21rocsparse_complex_numIfEiiEEvbbbT3_PS3_NS_15floating_traitsIT1_E6data_tES3_T2_PKS9_SB_PKS3_PKS6_21rocsparse_index_base_SB_SB_SD_PS6_SH_SG_SB_SB_SD_SH_SH_SG_SH_SH_PS8_SI_PKS8_, .Lfunc_end37-_ZN9rocsparseL6kernelILi1024ELi4E21rocsparse_complex_numIfEiiEEvbbbT3_PS3_NS_15floating_traitsIT1_E6data_tES3_T2_PKS9_SB_PKS3_PKS6_21rocsparse_index_base_SB_SB_SD_PS6_SH_SG_SB_SB_SD_SH_SH_SG_SH_SH_PS8_SI_PKS8_
                                        ; -- End function
	.section	.AMDGPU.csdata,"",@progbits
; Kernel info:
; codeLenInByte = 10152
; NumSgprs: 85
; NumVgprs: 44
; ScratchSize: 0
; MemoryBound: 0
; FloatMode: 240
; IeeeMode: 1
; LDSByteSize: 2048 bytes/workgroup (compile time only)
; SGPRBlocks: 10
; VGPRBlocks: 5
; NumSGPRsForWavesPerEU: 85
; NumVGPRsForWavesPerEU: 44
; Occupancy: 16
; WaveLimiterHint : 1
; COMPUTE_PGM_RSRC2:SCRATCH_EN: 0
; COMPUTE_PGM_RSRC2:USER_SGPR: 15
; COMPUTE_PGM_RSRC2:TRAP_HANDLER: 0
; COMPUTE_PGM_RSRC2:TGID_X_EN: 1
; COMPUTE_PGM_RSRC2:TGID_Y_EN: 0
; COMPUTE_PGM_RSRC2:TGID_Z_EN: 0
; COMPUTE_PGM_RSRC2:TIDIG_COMP_CNT: 0
	.section	.text._ZN9rocsparseL6kernelILi1024ELi8E21rocsparse_complex_numIfEiiEEvbbbT3_PS3_NS_15floating_traitsIT1_E6data_tES3_T2_PKS9_SB_PKS3_PKS6_21rocsparse_index_base_SB_SB_SD_PS6_SH_SG_SB_SB_SD_SH_SH_SG_SH_SH_PS8_SI_PKS8_,"axG",@progbits,_ZN9rocsparseL6kernelILi1024ELi8E21rocsparse_complex_numIfEiiEEvbbbT3_PS3_NS_15floating_traitsIT1_E6data_tES3_T2_PKS9_SB_PKS3_PKS6_21rocsparse_index_base_SB_SB_SD_PS6_SH_SG_SB_SB_SD_SH_SH_SG_SH_SH_PS8_SI_PKS8_,comdat
	.globl	_ZN9rocsparseL6kernelILi1024ELi8E21rocsparse_complex_numIfEiiEEvbbbT3_PS3_NS_15floating_traitsIT1_E6data_tES3_T2_PKS9_SB_PKS3_PKS6_21rocsparse_index_base_SB_SB_SD_PS6_SH_SG_SB_SB_SD_SH_SH_SG_SH_SH_PS8_SI_PKS8_ ; -- Begin function _ZN9rocsparseL6kernelILi1024ELi8E21rocsparse_complex_numIfEiiEEvbbbT3_PS3_NS_15floating_traitsIT1_E6data_tES3_T2_PKS9_SB_PKS3_PKS6_21rocsparse_index_base_SB_SB_SD_PS6_SH_SG_SB_SB_SD_SH_SH_SG_SH_SH_PS8_SI_PKS8_
	.p2align	8
	.type	_ZN9rocsparseL6kernelILi1024ELi8E21rocsparse_complex_numIfEiiEEvbbbT3_PS3_NS_15floating_traitsIT1_E6data_tES3_T2_PKS9_SB_PKS3_PKS6_21rocsparse_index_base_SB_SB_SD_PS6_SH_SG_SB_SB_SD_SH_SH_SG_SH_SH_PS8_SI_PKS8_,@function
_ZN9rocsparseL6kernelILi1024ELi8E21rocsparse_complex_numIfEiiEEvbbbT3_PS3_NS_15floating_traitsIT1_E6data_tES3_T2_PKS9_SB_PKS3_PKS6_21rocsparse_index_base_SB_SB_SD_PS6_SH_SG_SB_SB_SD_SH_SH_SG_SH_SH_PS8_SI_PKS8_: ; @_ZN9rocsparseL6kernelILi1024ELi8E21rocsparse_complex_numIfEiiEEvbbbT3_PS3_NS_15floating_traitsIT1_E6data_tES3_T2_PKS9_SB_PKS3_PKS6_21rocsparse_index_base_SB_SB_SD_PS6_SH_SG_SB_SB_SD_SH_SH_SG_SH_SH_PS8_SI_PKS8_
; %bb.0:
	s_clause 0x3
	s_load_b32 s2, s[0:1], 0x0
	s_load_b64 s[34:35], s[0:1], 0x0
	s_load_b64 s[52:53], s[0:1], 0x10
	s_load_b128 s[44:47], s[0:1], 0xb8
	v_lshrrev_b32_e32 v21, 3, v0
	v_dual_mov_b32 v3, 0 :: v_dual_lshlrev_b32 v20, 2, v0
	v_mbcnt_lo_u32_b32 v22, -1, 0
	v_dual_mov_b32 v2, 0 :: v_dual_mov_b32 v1, 0
	v_and_b32_e32 v23, 7, v0
	ds_store_b32 v20, v3
	s_waitcnt lgkmcnt(0)
	s_barrier
	buffer_gl0_inv
	s_bitcmp1_b32 s2, 0
	s_cselect_b32 s61, -1, 0
	s_bitcmp1_b32 s2, 8
	s_cselect_b32 s60, -1, 0
	s_bitcmp1_b32 s34, 16
	s_mov_b32 s34, 0
	s_cselect_b32 s33, -1, 0
	s_lshl_b32 s65, s15, 10
	s_cmp_gt_i32 s35, 0
	v_or_b32_e32 v24, s65, v21
	s_cselect_b32 s2, -1, 0
	s_delay_alu instid0(VALU_DEP_1) | instskip(SKIP_1) | instid1(SALU_CYCLE_1)
	v_cmp_gt_i32_e32 vcc_lo, s53, v24
	s_and_b32 s2, s2, vcc_lo
	s_and_saveexec_b32 s15, s2
	s_cbranch_execz .LBB38_180
; %bb.1:
	s_clause 0x9
	s_load_b32 s62, s[0:1], 0x40
	s_load_b32 s63, s[0:1], 0x70
	s_load_b64 s[54:55], s[0:1], 0x98
	s_load_b32 s64, s[0:1], 0xa0
	s_load_b64 s[56:57], s[0:1], 0x68
	s_load_b64 s[58:59], s[0:1], 0xc8
	s_load_b128 s[48:51], s[0:1], 0xa8
	s_load_b256 s[16:23], s[0:1], 0x78
	s_load_b256 s[24:31], s[0:1], 0x48
	;; [unrolled: 1-line block ×3, first 2 shown]
	s_addk_i32 s65, 0x400
	v_cmp_eq_u32_e64 s2, 7, v23
	v_dual_mov_b32 v4, 0 :: v_dual_lshlrev_b32 v25, 2, v21
	v_cmp_gt_u32_e64 s3, 64, v0
	v_cmp_gt_u32_e64 s4, 32, v0
	;; [unrolled: 1-line block ×7, first 2 shown]
	s_waitcnt lgkmcnt(0)
	v_subrev_nc_u32_e32 v26, s62, v23
	v_cmp_eq_u32_e64 s10, 0, v0
	v_subrev_nc_u32_e32 v27, s63, v23
	v_subrev_nc_u32_e32 v28, s64, v23
	v_cmp_eq_u32_e64 s11, 0, v23
	v_dual_mov_b32 v29, 0 :: v_dual_mov_b32 v2, 0
	v_mov_b32_e32 v1, 0
	s_and_b32 s12, s60, s33
	s_xor_b32 s66, s60, -1
	s_xor_b32 s67, s12, -1
	s_mov_b32 s68, 0
	s_branch .LBB38_3
.LBB38_2:                               ;   in Loop: Header=BB38_3 Depth=1
	s_or_b32 exec_lo, exec_lo, s14
	s_delay_alu instid0(SALU_CYCLE_1) | instskip(NEXT) | instid1(SALU_CYCLE_1)
	s_and_b32 s12, exec_lo, s13
	s_or_b32 s34, s12, s34
	s_delay_alu instid0(SALU_CYCLE_1)
	s_and_not1_b32 exec_lo, exec_lo, s34
	s_cbranch_execz .LBB38_179
.LBB38_3:                               ; =>This Loop Header: Depth=1
                                        ;     Child Loop BB38_7 Depth 2
                                        ;       Child Loop BB38_12 Depth 3
                                        ;         Child Loop BB38_16 Depth 4
                                        ;         Child Loop BB38_51 Depth 4
	;; [unrolled: 1-line block ×5, first 2 shown]
                                        ;     Child Loop BB38_158 Depth 2
                                        ;       Child Loop BB38_161 Depth 3
                                        ;       Child Loop BB38_164 Depth 3
	v_cndmask_b32_e64 v2, v2, 0, s60
	v_cndmask_b32_e64 v1, v1, 0, s33
	s_mov_b32 s69, 0
	s_branch .LBB38_7
.LBB38_4:                               ;   in Loop: Header=BB38_7 Depth=2
	s_or_b32 exec_lo, exec_lo, s72
.LBB38_5:                               ;   in Loop: Header=BB38_7 Depth=2
	s_delay_alu instid0(SALU_CYCLE_1)
	s_or_b32 exec_lo, exec_lo, s71
.LBB38_6:                               ;   in Loop: Header=BB38_7 Depth=2
	s_delay_alu instid0(SALU_CYCLE_1) | instskip(SKIP_1) | instid1(SALU_CYCLE_1)
	s_or_b32 exec_lo, exec_lo, s70
	s_add_i32 s69, s69, 1
	s_cmp_eq_u32 s69, 8
	s_cbranch_scc1 .LBB38_119
.LBB38_7:                               ;   Parent Loop BB38_3 Depth=1
                                        ; =>  This Loop Header: Depth=2
                                        ;       Child Loop BB38_12 Depth 3
                                        ;         Child Loop BB38_16 Depth 4
                                        ;         Child Loop BB38_51 Depth 4
	;; [unrolled: 1-line block ×5, first 2 shown]
	v_lshl_add_u32 v5, s69, 7, v24
	s_mov_b32 s70, exec_lo
	s_delay_alu instid0(VALU_DEP_1)
	v_cmpx_gt_i32_e64 s53, v5
	s_cbranch_execz .LBB38_6
; %bb.8:                                ;   in Loop: Header=BB38_7 Depth=2
	v_ashrrev_i32_e32 v6, 31, v5
	s_mov_b32 s71, exec_lo
	s_delay_alu instid0(VALU_DEP_1) | instskip(NEXT) | instid1(VALU_DEP_1)
	v_lshlrev_b64 v[7:8], 2, v[5:6]
	v_add_co_u32 v9, vcc_lo, s36, v7
	s_delay_alu instid0(VALU_DEP_2)
	v_add_co_ci_u32_e32 v10, vcc_lo, s37, v8, vcc_lo
	v_add_co_u32 v11, vcc_lo, s38, v7
	v_add_co_ci_u32_e32 v12, vcc_lo, s39, v8, vcc_lo
	global_load_b32 v3, v[9:10], off
	global_load_b32 v9, v[11:12], off
	s_waitcnt vmcnt(1)
	v_add_nc_u32_e32 v6, v26, v3
	s_waitcnt vmcnt(0)
	v_subrev_nc_u32_e32 v30, s62, v9
	s_delay_alu instid0(VALU_DEP_1)
	v_cmpx_lt_i32_e64 v6, v30
	s_cbranch_execz .LBB38_5
; %bb.9:                                ;   in Loop: Header=BB38_7 Depth=2
	v_add_co_u32 v9, vcc_lo, s24, v7
	v_add_co_ci_u32_e32 v10, vcc_lo, s25, v8, vcc_lo
	v_add_co_u32 v7, vcc_lo, s26, v7
	v_add_co_ci_u32_e32 v8, vcc_lo, s27, v8, vcc_lo
	global_load_b32 v3, v[9:10], off
	s_mov_b32 s72, 0
	global_load_b32 v7, v[7:8], off
	s_waitcnt vmcnt(1)
	v_subrev_nc_u32_e32 v8, s63, v3
	s_waitcnt vmcnt(0)
	v_sub_nc_u32_e32 v31, v7, v3
	s_delay_alu instid0(VALU_DEP_2) | instskip(NEXT) | instid1(VALU_DEP_2)
	v_ashrrev_i32_e32 v9, 31, v8
	v_cmp_lt_i32_e64 s12, 0, v31
	s_delay_alu instid0(VALU_DEP_2) | instskip(SKIP_1) | instid1(VALU_DEP_2)
	v_lshlrev_b64 v[10:11], 2, v[8:9]
	v_lshlrev_b64 v[12:13], 3, v[8:9]
	v_add_co_u32 v32, vcc_lo, s28, v10
	s_delay_alu instid0(VALU_DEP_3) | instskip(NEXT) | instid1(VALU_DEP_3)
	v_add_co_ci_u32_e32 v33, vcc_lo, s29, v11, vcc_lo
	v_add_co_u32 v34, vcc_lo, s30, v12
	s_delay_alu instid0(VALU_DEP_4)
	v_add_co_ci_u32_e32 v35, vcc_lo, s31, v13, vcc_lo
	s_branch .LBB38_12
.LBB38_10:                              ;   in Loop: Header=BB38_12 Depth=3
	s_or_b32 exec_lo, exec_lo, s13
.LBB38_11:                              ;   in Loop: Header=BB38_12 Depth=3
	s_delay_alu instid0(SALU_CYCLE_1) | instskip(SKIP_1) | instid1(VALU_DEP_1)
	s_or_b32 exec_lo, exec_lo, s14
	v_add_nc_u32_e32 v6, 8, v6
	v_cmp_ge_i32_e32 vcc_lo, v6, v30
	s_or_b32 s72, vcc_lo, s72
	s_delay_alu instid0(SALU_CYCLE_1)
	s_and_not1_b32 exec_lo, exec_lo, s72
	s_cbranch_execz .LBB38_4
.LBB38_12:                              ;   Parent Loop BB38_3 Depth=1
                                        ;     Parent Loop BB38_7 Depth=2
                                        ; =>    This Loop Header: Depth=3
                                        ;         Child Loop BB38_16 Depth 4
                                        ;         Child Loop BB38_51 Depth 4
	;; [unrolled: 1-line block ×5, first 2 shown]
	v_ashrrev_i32_e32 v7, 31, v6
	v_dual_mov_b32 v36, 0 :: v_dual_mov_b32 v37, 0
	v_mov_b32_e32 v15, 0
	s_delay_alu instid0(VALU_DEP_3) | instskip(NEXT) | instid1(VALU_DEP_1)
	v_lshlrev_b64 v[9:10], 2, v[6:7]
	v_add_co_u32 v9, vcc_lo, s40, v9
	s_delay_alu instid0(VALU_DEP_2) | instskip(SKIP_4) | instid1(VALU_DEP_2)
	v_add_co_ci_u32_e32 v10, vcc_lo, s41, v10, vcc_lo
	global_load_b32 v3, v[9:10], off
	s_waitcnt vmcnt(0)
	v_subrev_nc_u32_e32 v9, s62, v3
	v_mov_b32_e32 v3, 0
	v_ashrrev_i32_e32 v10, 31, v9
	s_delay_alu instid0(VALU_DEP_1) | instskip(NEXT) | instid1(VALU_DEP_1)
	v_lshlrev_b64 v[11:12], 2, v[9:10]
	v_add_co_u32 v13, vcc_lo, s16, v11
	s_delay_alu instid0(VALU_DEP_2)
	v_add_co_ci_u32_e32 v14, vcc_lo, s17, v12, vcc_lo
	v_add_co_u32 v11, vcc_lo, s18, v11
	v_add_co_ci_u32_e32 v12, vcc_lo, s19, v12, vcc_lo
	global_load_b32 v14, v[13:14], off
	global_load_b32 v11, v[11:12], off
	s_waitcnt vmcnt(1)
	v_subrev_nc_u32_e32 v13, s64, v14
	s_waitcnt vmcnt(0)
	v_sub_nc_u32_e32 v38, v11, v14
	s_and_saveexec_b32 s14, s12
	s_cbranch_execz .LBB38_20
; %bb.13:                               ;   in Loop: Header=BB38_12 Depth=3
	v_ashrrev_i32_e32 v14, 31, v13
	v_dual_mov_b32 v15, 0 :: v_dual_mov_b32 v36, 0
	v_mov_b32_e32 v37, 0
	s_mov_b32 s73, 0
	s_delay_alu instid0(VALU_DEP_3) | instskip(SKIP_2) | instid1(VALU_DEP_3)
	v_lshlrev_b64 v[11:12], 2, v[13:14]
	v_lshlrev_b64 v[16:17], 3, v[13:14]
	v_mov_b32_e32 v3, v15
                                        ; implicit-def: $sgpr74
	v_add_co_u32 v11, vcc_lo, s20, v11
	s_delay_alu instid0(VALU_DEP_4) | instskip(NEXT) | instid1(VALU_DEP_4)
	v_add_co_ci_u32_e32 v12, vcc_lo, s21, v12, vcc_lo
	v_add_co_u32 v14, vcc_lo, s22, v16
	v_add_co_ci_u32_e32 v17, vcc_lo, s23, v17, vcc_lo
	s_branch .LBB38_16
.LBB38_14:                              ;   in Loop: Header=BB38_16 Depth=4
	s_or_b32 exec_lo, exec_lo, s13
	v_cmp_le_i32_e32 vcc_lo, v18, v19
	v_cmp_ge_i32_e64 s13, v18, v19
	v_add_co_ci_u32_e32 v3, vcc_lo, 0, v3, vcc_lo
	s_delay_alu instid0(VALU_DEP_2) | instskip(SKIP_1) | instid1(VALU_DEP_2)
	v_add_co_ci_u32_e64 v15, s13, 0, v15, s13
	s_and_not1_b32 s13, s74, exec_lo
	v_cmp_ge_i32_e32 vcc_lo, v3, v31
	s_and_b32 s74, vcc_lo, exec_lo
	s_delay_alu instid0(SALU_CYCLE_1)
	s_or_b32 s74, s13, s74
.LBB38_15:                              ;   in Loop: Header=BB38_16 Depth=4
	s_or_b32 exec_lo, exec_lo, s75
	s_delay_alu instid0(SALU_CYCLE_1) | instskip(NEXT) | instid1(SALU_CYCLE_1)
	s_and_b32 s13, exec_lo, s74
	s_or_b32 s73, s13, s73
	s_delay_alu instid0(SALU_CYCLE_1)
	s_and_not1_b32 exec_lo, exec_lo, s73
	s_cbranch_execz .LBB38_19
.LBB38_16:                              ;   Parent Loop BB38_3 Depth=1
                                        ;     Parent Loop BB38_7 Depth=2
                                        ;       Parent Loop BB38_12 Depth=3
                                        ; =>      This Inner Loop Header: Depth=4
	s_or_b32 s74, s74, exec_lo
	s_mov_b32 s75, exec_lo
	v_cmpx_lt_i32_e64 v15, v38
	s_cbranch_execz .LBB38_15
; %bb.17:                               ;   in Loop: Header=BB38_16 Depth=4
	v_mov_b32_e32 v16, v4
	v_lshlrev_b64 v[18:19], 2, v[3:4]
	s_mov_b32 s13, exec_lo
	s_delay_alu instid0(VALU_DEP_2) | instskip(NEXT) | instid1(VALU_DEP_2)
	v_lshlrev_b64 v[39:40], 2, v[15:16]
	v_add_co_u32 v18, vcc_lo, v32, v18
	s_delay_alu instid0(VALU_DEP_3) | instskip(NEXT) | instid1(VALU_DEP_3)
	v_add_co_ci_u32_e32 v19, vcc_lo, v33, v19, vcc_lo
	v_add_co_u32 v39, vcc_lo, v11, v39
	s_delay_alu instid0(VALU_DEP_4)
	v_add_co_ci_u32_e32 v40, vcc_lo, v12, v40, vcc_lo
	global_load_b32 v18, v[18:19], off
	global_load_b32 v19, v[39:40], off
	s_waitcnt vmcnt(1)
	v_subrev_nc_u32_e32 v18, s63, v18
	s_waitcnt vmcnt(0)
	v_subrev_nc_u32_e32 v19, s64, v19
	s_delay_alu instid0(VALU_DEP_1)
	v_cmpx_eq_u32_e64 v18, v19
	s_cbranch_execz .LBB38_14
; %bb.18:                               ;   in Loop: Header=BB38_16 Depth=4
	v_lshlrev_b64 v[39:40], 3, v[3:4]
	v_lshlrev_b64 v[41:42], 3, v[15:16]
	s_delay_alu instid0(VALU_DEP_2) | instskip(NEXT) | instid1(VALU_DEP_3)
	v_add_co_u32 v39, vcc_lo, v34, v39
	v_add_co_ci_u32_e32 v40, vcc_lo, v35, v40, vcc_lo
	s_delay_alu instid0(VALU_DEP_3) | instskip(NEXT) | instid1(VALU_DEP_4)
	v_add_co_u32 v41, vcc_lo, v14, v41
	v_add_co_ci_u32_e32 v42, vcc_lo, v17, v42, vcc_lo
	global_load_b64 v[39:40], v[39:40], off
	global_load_b64 v[41:42], v[41:42], off
	s_waitcnt vmcnt(0)
	v_fmac_f32_e32 v36, v39, v41
	v_fmac_f32_e32 v37, v40, v41
	s_delay_alu instid0(VALU_DEP_2) | instskip(NEXT) | instid1(VALU_DEP_2)
	v_fma_f32 v36, -v40, v42, v36
	v_fmac_f32_e32 v37, v39, v42
	s_branch .LBB38_14
.LBB38_19:                              ;   in Loop: Header=BB38_12 Depth=3
	s_or_b32 exec_lo, exec_lo, s73
.LBB38_20:                              ;   in Loop: Header=BB38_12 Depth=3
	s_delay_alu instid0(SALU_CYCLE_1) | instskip(SKIP_3) | instid1(VALU_DEP_2)
	s_or_b32 exec_lo, exec_lo, s14
	v_lshlrev_b64 v[11:12], 3, v[6:7]
	v_cmp_le_i32_e64 s13, v5, v9
	s_mov_b32 s73, exec_lo
	v_add_co_u32 v11, vcc_lo, s42, v11
	s_delay_alu instid0(VALU_DEP_3)
	v_add_co_ci_u32_e32 v12, vcc_lo, s43, v12, vcc_lo
	global_load_b64 v[11:12], v[11:12], off
	s_waitcnt vmcnt(0)
	v_dual_sub_f32 v16, v11, v36 :: v_dual_sub_f32 v17, v12, v37
	v_cmpx_gt_i32_e64 v5, v9
	s_cbranch_execz .LBB38_30
; %bb.21:                               ;   in Loop: Header=BB38_12 Depth=3
	v_lshlrev_b64 v[18:19], 3, v[9:10]
                                        ; implicit-def: $vgpr39
	s_mov_b32 s14, exec_lo
	s_delay_alu instid0(VALU_DEP_1) | instskip(NEXT) | instid1(VALU_DEP_2)
	v_add_co_u32 v18, vcc_lo, s48, v18
	v_add_co_ci_u32_e32 v19, vcc_lo, s49, v19, vcc_lo
	global_load_b64 v[18:19], v[18:19], off
	s_waitcnt vmcnt(0)
	v_cmp_gt_f32_e32 vcc_lo, 0, v18
	v_cndmask_b32_e64 v7, v18, -v18, vcc_lo
	v_cmp_gt_f32_e32 vcc_lo, 0, v19
	v_cndmask_b32_e64 v14, v19, -v19, vcc_lo
	s_delay_alu instid0(VALU_DEP_1)
	v_cmpx_ngt_f32_e32 v7, v14
	s_xor_b32 s74, exec_lo, s14
	s_cbranch_execz .LBB38_25
; %bb.22:                               ;   in Loop: Header=BB38_12 Depth=3
	v_mov_b32_e32 v39, 0
	s_mov_b32 s75, exec_lo
	v_cmpx_neq_f32_e32 0, v19
	s_cbranch_execz .LBB38_24
; %bb.23:                               ;   in Loop: Header=BB38_12 Depth=3
	v_div_scale_f32 v39, null, v14, v14, v7
	v_div_scale_f32 v42, vcc_lo, v7, v14, v7
	s_delay_alu instid0(VALU_DEP_2) | instskip(SKIP_2) | instid1(VALU_DEP_1)
	v_rcp_f32_e32 v40, v39
	s_waitcnt_depctr 0xfff
	v_fma_f32 v41, -v39, v40, 1.0
	v_fmac_f32_e32 v40, v41, v40
	s_delay_alu instid0(VALU_DEP_1) | instskip(NEXT) | instid1(VALU_DEP_1)
	v_mul_f32_e32 v41, v42, v40
	v_fma_f32 v43, -v39, v41, v42
	s_delay_alu instid0(VALU_DEP_1) | instskip(NEXT) | instid1(VALU_DEP_1)
	v_fmac_f32_e32 v41, v43, v40
	v_fma_f32 v39, -v39, v41, v42
	s_delay_alu instid0(VALU_DEP_1) | instskip(NEXT) | instid1(VALU_DEP_1)
	v_div_fmas_f32 v39, v39, v40, v41
	v_div_fixup_f32 v7, v39, v14, v7
	s_delay_alu instid0(VALU_DEP_1) | instskip(NEXT) | instid1(VALU_DEP_1)
	v_fma_f32 v7, v7, v7, 1.0
	v_mul_f32_e32 v39, 0x4f800000, v7
	v_cmp_gt_f32_e32 vcc_lo, 0xf800000, v7
	s_delay_alu instid0(VALU_DEP_2) | instskip(NEXT) | instid1(VALU_DEP_1)
	v_cndmask_b32_e32 v7, v7, v39, vcc_lo
	v_sqrt_f32_e32 v39, v7
	s_waitcnt_depctr 0xfff
	v_add_nc_u32_e32 v40, -1, v39
	v_add_nc_u32_e32 v41, 1, v39
	s_delay_alu instid0(VALU_DEP_2) | instskip(NEXT) | instid1(VALU_DEP_2)
	v_fma_f32 v42, -v40, v39, v7
	v_fma_f32 v43, -v41, v39, v7
	s_delay_alu instid0(VALU_DEP_2) | instskip(NEXT) | instid1(VALU_DEP_1)
	v_cmp_ge_f32_e64 s14, 0, v42
	v_cndmask_b32_e64 v39, v39, v40, s14
	s_delay_alu instid0(VALU_DEP_3) | instskip(NEXT) | instid1(VALU_DEP_1)
	v_cmp_lt_f32_e64 s14, 0, v43
	v_cndmask_b32_e64 v39, v39, v41, s14
	s_delay_alu instid0(VALU_DEP_1) | instskip(NEXT) | instid1(VALU_DEP_1)
	v_mul_f32_e32 v40, 0x37800000, v39
	v_cndmask_b32_e32 v39, v39, v40, vcc_lo
	v_cmp_class_f32_e64 vcc_lo, v7, 0x260
	s_delay_alu instid0(VALU_DEP_2) | instskip(NEXT) | instid1(VALU_DEP_1)
	v_cndmask_b32_e32 v7, v39, v7, vcc_lo
	v_mul_f32_e32 v39, v14, v7
.LBB38_24:                              ;   in Loop: Header=BB38_12 Depth=3
	s_or_b32 exec_lo, exec_lo, s75
                                        ; implicit-def: $vgpr7
                                        ; implicit-def: $vgpr14
.LBB38_25:                              ;   in Loop: Header=BB38_12 Depth=3
	s_and_not1_saveexec_b32 s74, s74
	s_cbranch_execz .LBB38_27
; %bb.26:                               ;   in Loop: Header=BB38_12 Depth=3
	v_div_scale_f32 v39, null, v7, v7, v14
	v_div_scale_f32 v42, vcc_lo, v14, v7, v14
	s_delay_alu instid0(VALU_DEP_2) | instskip(SKIP_2) | instid1(VALU_DEP_1)
	v_rcp_f32_e32 v40, v39
	s_waitcnt_depctr 0xfff
	v_fma_f32 v41, -v39, v40, 1.0
	v_fmac_f32_e32 v40, v41, v40
	s_delay_alu instid0(VALU_DEP_1) | instskip(NEXT) | instid1(VALU_DEP_1)
	v_mul_f32_e32 v41, v42, v40
	v_fma_f32 v43, -v39, v41, v42
	s_delay_alu instid0(VALU_DEP_1) | instskip(NEXT) | instid1(VALU_DEP_1)
	v_fmac_f32_e32 v41, v43, v40
	v_fma_f32 v39, -v39, v41, v42
	s_delay_alu instid0(VALU_DEP_1) | instskip(NEXT) | instid1(VALU_DEP_1)
	v_div_fmas_f32 v39, v39, v40, v41
	v_div_fixup_f32 v14, v39, v7, v14
	s_delay_alu instid0(VALU_DEP_1) | instskip(NEXT) | instid1(VALU_DEP_1)
	v_fma_f32 v14, v14, v14, 1.0
	v_mul_f32_e32 v39, 0x4f800000, v14
	v_cmp_gt_f32_e32 vcc_lo, 0xf800000, v14
	s_delay_alu instid0(VALU_DEP_2) | instskip(NEXT) | instid1(VALU_DEP_1)
	v_cndmask_b32_e32 v14, v14, v39, vcc_lo
	v_sqrt_f32_e32 v39, v14
	s_waitcnt_depctr 0xfff
	v_add_nc_u32_e32 v40, -1, v39
	v_add_nc_u32_e32 v41, 1, v39
	s_delay_alu instid0(VALU_DEP_2) | instskip(NEXT) | instid1(VALU_DEP_2)
	v_fma_f32 v42, -v40, v39, v14
	v_fma_f32 v43, -v41, v39, v14
	s_delay_alu instid0(VALU_DEP_2) | instskip(NEXT) | instid1(VALU_DEP_1)
	v_cmp_ge_f32_e64 s14, 0, v42
	v_cndmask_b32_e64 v39, v39, v40, s14
	s_delay_alu instid0(VALU_DEP_3) | instskip(NEXT) | instid1(VALU_DEP_1)
	v_cmp_lt_f32_e64 s14, 0, v43
	v_cndmask_b32_e64 v39, v39, v41, s14
	s_delay_alu instid0(VALU_DEP_1) | instskip(NEXT) | instid1(VALU_DEP_1)
	v_mul_f32_e32 v40, 0x37800000, v39
	v_cndmask_b32_e32 v39, v39, v40, vcc_lo
	v_cmp_class_f32_e64 vcc_lo, v14, 0x260
	s_delay_alu instid0(VALU_DEP_2) | instskip(NEXT) | instid1(VALU_DEP_1)
	v_cndmask_b32_e32 v14, v39, v14, vcc_lo
	v_mul_f32_e32 v39, v7, v14
.LBB38_27:                              ;   in Loop: Header=BB38_12 Depth=3
	s_or_b32 exec_lo, exec_lo, s74
	v_dual_mov_b32 v7, 0 :: v_dual_mov_b32 v14, 0
	s_mov_b32 s14, exec_lo
	s_delay_alu instid0(VALU_DEP_2)
	v_cmpx_lt_f32_e32 0, v39
	s_cbranch_execz .LBB38_29
; %bb.28:                               ;   in Loop: Header=BB38_12 Depth=3
	v_mul_f32_e32 v7, v19, v19
	s_delay_alu instid0(VALU_DEP_1) | instskip(NEXT) | instid1(VALU_DEP_1)
	v_fmac_f32_e32 v7, v18, v18
	v_div_scale_f32 v14, null, v7, v7, 1.0
	v_div_scale_f32 v41, vcc_lo, 1.0, v7, 1.0
	s_delay_alu instid0(VALU_DEP_2) | instskip(SKIP_2) | instid1(VALU_DEP_1)
	v_rcp_f32_e32 v39, v14
	s_waitcnt_depctr 0xfff
	v_fma_f32 v40, -v14, v39, 1.0
	v_fmac_f32_e32 v39, v40, v39
	s_delay_alu instid0(VALU_DEP_1) | instskip(NEXT) | instid1(VALU_DEP_1)
	v_mul_f32_e32 v40, v41, v39
	v_fma_f32 v42, -v14, v40, v41
	s_delay_alu instid0(VALU_DEP_1) | instskip(NEXT) | instid1(VALU_DEP_1)
	v_fmac_f32_e32 v40, v42, v39
	v_fma_f32 v14, -v14, v40, v41
	v_mul_f32_e32 v41, v17, v19
	v_mul_f32_e64 v19, v19, -v16
	s_delay_alu instid0(VALU_DEP_2) | instskip(NEXT) | instid1(VALU_DEP_4)
	v_fmac_f32_e32 v41, v16, v18
	v_div_fmas_f32 v14, v14, v39, v40
	s_delay_alu instid0(VALU_DEP_3) | instskip(NEXT) | instid1(VALU_DEP_2)
	v_fmac_f32_e32 v19, v17, v18
	v_div_fixup_f32 v7, v14, v7, 1.0
	s_delay_alu instid0(VALU_DEP_1) | instskip(NEXT) | instid1(VALU_DEP_3)
	v_mul_f32_e32 v14, v41, v7
	v_mul_f32_e32 v7, v19, v7
.LBB38_29:                              ;   in Loop: Header=BB38_12 Depth=3
	s_or_b32 exec_lo, exec_lo, s14
	s_delay_alu instid0(VALU_DEP_1)
	v_dual_mov_b32 v17, v7 :: v_dual_mov_b32 v16, v14
.LBB38_30:                              ;   in Loop: Header=BB38_12 Depth=3
	s_or_b32 exec_lo, exec_lo, s73
	s_delay_alu instid0(VALU_DEP_1) | instskip(SKIP_4) | instid1(VALU_DEP_1)
	v_cmp_gt_f32_e32 vcc_lo, 0, v16
                                        ; implicit-def: $vgpr18
	s_mov_b32 s14, exec_lo
	v_cndmask_b32_e64 v7, v16, -v16, vcc_lo
	v_cmp_gt_f32_e32 vcc_lo, 0, v17
	v_cndmask_b32_e64 v14, v17, -v17, vcc_lo
	v_cmpx_ngt_f32_e32 v7, v14
	s_xor_b32 s73, exec_lo, s14
	s_cbranch_execnz .LBB38_34
; %bb.31:                               ;   in Loop: Header=BB38_12 Depth=3
	s_and_not1_saveexec_b32 s73, s73
	s_cbranch_execnz .LBB38_37
.LBB38_32:                              ;   in Loop: Header=BB38_12 Depth=3
	s_or_b32 exec_lo, exec_lo, s73
	v_cmp_class_f32_e64 s14, v18, 0x1f8
	s_delay_alu instid0(VALU_DEP_1)
	s_and_saveexec_b32 s73, s14
	s_cbranch_execnz .LBB38_38
.LBB38_33:                              ;   in Loop: Header=BB38_12 Depth=3
	s_or_b32 exec_lo, exec_lo, s73
	s_and_b32 s13, s14, s33
	s_delay_alu instid0(SALU_CYCLE_1)
	s_and_saveexec_b32 s14, s13
	s_cbranch_execz .LBB38_11
	s_branch .LBB38_79
.LBB38_34:                              ;   in Loop: Header=BB38_12 Depth=3
	v_mov_b32_e32 v18, 0
	s_mov_b32 s74, exec_lo
	v_cmpx_neq_f32_e32 0, v17
	s_cbranch_execz .LBB38_36
; %bb.35:                               ;   in Loop: Header=BB38_12 Depth=3
	v_div_scale_f32 v18, null, v14, v14, v7
	v_div_scale_f32 v40, vcc_lo, v7, v14, v7
	s_delay_alu instid0(VALU_DEP_2) | instskip(SKIP_2) | instid1(VALU_DEP_1)
	v_rcp_f32_e32 v19, v18
	s_waitcnt_depctr 0xfff
	v_fma_f32 v39, -v18, v19, 1.0
	v_fmac_f32_e32 v19, v39, v19
	s_delay_alu instid0(VALU_DEP_1) | instskip(NEXT) | instid1(VALU_DEP_1)
	v_mul_f32_e32 v39, v40, v19
	v_fma_f32 v41, -v18, v39, v40
	s_delay_alu instid0(VALU_DEP_1) | instskip(NEXT) | instid1(VALU_DEP_1)
	v_fmac_f32_e32 v39, v41, v19
	v_fma_f32 v18, -v18, v39, v40
	s_delay_alu instid0(VALU_DEP_1) | instskip(NEXT) | instid1(VALU_DEP_1)
	v_div_fmas_f32 v18, v18, v19, v39
	v_div_fixup_f32 v7, v18, v14, v7
	s_delay_alu instid0(VALU_DEP_1) | instskip(NEXT) | instid1(VALU_DEP_1)
	v_fma_f32 v7, v7, v7, 1.0
	v_mul_f32_e32 v18, 0x4f800000, v7
	v_cmp_gt_f32_e32 vcc_lo, 0xf800000, v7
	s_delay_alu instid0(VALU_DEP_2) | instskip(NEXT) | instid1(VALU_DEP_1)
	v_cndmask_b32_e32 v7, v7, v18, vcc_lo
	v_sqrt_f32_e32 v18, v7
	s_waitcnt_depctr 0xfff
	v_add_nc_u32_e32 v19, -1, v18
	v_add_nc_u32_e32 v39, 1, v18
	s_delay_alu instid0(VALU_DEP_2) | instskip(NEXT) | instid1(VALU_DEP_2)
	v_fma_f32 v40, -v19, v18, v7
	v_fma_f32 v41, -v39, v18, v7
	s_delay_alu instid0(VALU_DEP_2) | instskip(NEXT) | instid1(VALU_DEP_1)
	v_cmp_ge_f32_e64 s14, 0, v40
	v_cndmask_b32_e64 v18, v18, v19, s14
	s_delay_alu instid0(VALU_DEP_3) | instskip(NEXT) | instid1(VALU_DEP_1)
	v_cmp_lt_f32_e64 s14, 0, v41
	v_cndmask_b32_e64 v18, v18, v39, s14
	s_delay_alu instid0(VALU_DEP_1) | instskip(NEXT) | instid1(VALU_DEP_1)
	v_mul_f32_e32 v19, 0x37800000, v18
	v_cndmask_b32_e32 v18, v18, v19, vcc_lo
	v_cmp_class_f32_e64 vcc_lo, v7, 0x260
	s_delay_alu instid0(VALU_DEP_2) | instskip(NEXT) | instid1(VALU_DEP_1)
	v_cndmask_b32_e32 v7, v18, v7, vcc_lo
	v_mul_f32_e32 v18, v14, v7
.LBB38_36:                              ;   in Loop: Header=BB38_12 Depth=3
	s_or_b32 exec_lo, exec_lo, s74
                                        ; implicit-def: $vgpr7
                                        ; implicit-def: $vgpr14
	s_and_not1_saveexec_b32 s73, s73
	s_cbranch_execz .LBB38_32
.LBB38_37:                              ;   in Loop: Header=BB38_12 Depth=3
	v_div_scale_f32 v18, null, v7, v7, v14
	v_div_scale_f32 v40, vcc_lo, v14, v7, v14
	s_delay_alu instid0(VALU_DEP_2) | instskip(SKIP_2) | instid1(VALU_DEP_1)
	v_rcp_f32_e32 v19, v18
	s_waitcnt_depctr 0xfff
	v_fma_f32 v39, -v18, v19, 1.0
	v_fmac_f32_e32 v19, v39, v19
	s_delay_alu instid0(VALU_DEP_1) | instskip(NEXT) | instid1(VALU_DEP_1)
	v_mul_f32_e32 v39, v40, v19
	v_fma_f32 v41, -v18, v39, v40
	s_delay_alu instid0(VALU_DEP_1) | instskip(NEXT) | instid1(VALU_DEP_1)
	v_fmac_f32_e32 v39, v41, v19
	v_fma_f32 v18, -v18, v39, v40
	s_delay_alu instid0(VALU_DEP_1) | instskip(NEXT) | instid1(VALU_DEP_1)
	v_div_fmas_f32 v18, v18, v19, v39
	v_div_fixup_f32 v14, v18, v7, v14
	s_delay_alu instid0(VALU_DEP_1) | instskip(NEXT) | instid1(VALU_DEP_1)
	v_fma_f32 v14, v14, v14, 1.0
	v_mul_f32_e32 v18, 0x4f800000, v14
	v_cmp_gt_f32_e32 vcc_lo, 0xf800000, v14
	s_delay_alu instid0(VALU_DEP_2) | instskip(NEXT) | instid1(VALU_DEP_1)
	v_cndmask_b32_e32 v14, v14, v18, vcc_lo
	v_sqrt_f32_e32 v18, v14
	s_waitcnt_depctr 0xfff
	v_add_nc_u32_e32 v19, -1, v18
	v_add_nc_u32_e32 v39, 1, v18
	s_delay_alu instid0(VALU_DEP_2) | instskip(NEXT) | instid1(VALU_DEP_2)
	v_fma_f32 v40, -v19, v18, v14
	v_fma_f32 v41, -v39, v18, v14
	s_delay_alu instid0(VALU_DEP_2) | instskip(NEXT) | instid1(VALU_DEP_1)
	v_cmp_ge_f32_e64 s14, 0, v40
	v_cndmask_b32_e64 v18, v18, v19, s14
	s_delay_alu instid0(VALU_DEP_3) | instskip(NEXT) | instid1(VALU_DEP_1)
	v_cmp_lt_f32_e64 s14, 0, v41
	v_cndmask_b32_e64 v18, v18, v39, s14
	s_delay_alu instid0(VALU_DEP_1) | instskip(NEXT) | instid1(VALU_DEP_1)
	v_mul_f32_e32 v19, 0x37800000, v18
	v_cndmask_b32_e32 v18, v18, v19, vcc_lo
	v_cmp_class_f32_e64 vcc_lo, v14, 0x260
	s_delay_alu instid0(VALU_DEP_2) | instskip(NEXT) | instid1(VALU_DEP_1)
	v_cndmask_b32_e32 v14, v18, v14, vcc_lo
	v_mul_f32_e32 v18, v7, v14
	s_or_b32 exec_lo, exec_lo, s73
	s_delay_alu instid0(VALU_DEP_1) | instskip(NEXT) | instid1(VALU_DEP_1)
	v_cmp_class_f32_e64 s14, v18, 0x1f8
	s_and_saveexec_b32 s73, s14
	s_cbranch_execz .LBB38_33
.LBB38_38:                              ;   in Loop: Header=BB38_12 Depth=3
	s_and_saveexec_b32 s74, s13
	s_delay_alu instid0(SALU_CYCLE_1)
	s_xor_b32 s74, exec_lo, s74
	s_cbranch_execz .LBB38_63
; %bb.39:                               ;   in Loop: Header=BB38_12 Depth=3
	s_mov_b32 s13, exec_lo
	v_cmpx_ge_i32_e64 v5, v9
	s_xor_b32 s75, exec_lo, s13
	s_cbranch_execz .LBB38_47
; %bb.40:                               ;   in Loop: Header=BB38_12 Depth=3
	v_lshlrev_b64 v[18:19], 3, v[9:10]
	s_delay_alu instid0(VALU_DEP_1) | instskip(NEXT) | instid1(VALU_DEP_2)
	v_add_co_u32 v39, vcc_lo, s50, v18
	v_add_co_ci_u32_e32 v40, vcc_lo, s51, v19, vcc_lo
	s_and_not1_b32 vcc_lo, exec_lo, s60
	global_store_b64 v[39:40], v[16:17], off
	s_cbranch_vccnz .LBB38_46
; %bb.41:                               ;   in Loop: Header=BB38_12 Depth=3
	v_add_co_u32 v18, vcc_lo, s48, v18
	v_add_co_ci_u32_e32 v19, vcc_lo, s49, v19, vcc_lo
	s_mov_b32 s13, exec_lo
	global_load_b64 v[18:19], v[18:19], off
	s_waitcnt vmcnt(0)
	v_sub_f32_e32 v7, v18, v16
	v_sub_f32_e32 v17, v19, v17
                                        ; implicit-def: $vgpr16
	s_delay_alu instid0(VALU_DEP_2) | instskip(SKIP_1) | instid1(VALU_DEP_3)
	v_cmp_gt_f32_e32 vcc_lo, 0, v7
	v_cndmask_b32_e64 v7, v7, -v7, vcc_lo
	v_cmp_gt_f32_e32 vcc_lo, 0, v17
	v_cndmask_b32_e64 v14, v17, -v17, vcc_lo
	s_delay_alu instid0(VALU_DEP_1)
	v_cmpx_ngt_f32_e32 v7, v14
	s_xor_b32 s76, exec_lo, s13
	s_cbranch_execnz .LBB38_107
; %bb.42:                               ;   in Loop: Header=BB38_12 Depth=3
	s_and_not1_saveexec_b32 s76, s76
	s_cbranch_execnz .LBB38_110
.LBB38_43:                              ;   in Loop: Header=BB38_12 Depth=3
	s_or_b32 exec_lo, exec_lo, s76
	v_cmp_class_f32_e64 s76, v16, 0x1f8
	s_delay_alu instid0(VALU_DEP_1)
	s_and_saveexec_b32 s13, s76
.LBB38_44:                              ;   in Loop: Header=BB38_12 Depth=3
	v_cmp_lt_f32_e32 vcc_lo, v2, v16
	v_cndmask_b32_e32 v2, v2, v16, vcc_lo
.LBB38_45:                              ;   in Loop: Header=BB38_12 Depth=3
	s_or_b32 exec_lo, exec_lo, s13
.LBB38_46:                              ;   in Loop: Header=BB38_12 Depth=3
                                        ; implicit-def: $vgpr16
.LBB38_47:                              ;   in Loop: Header=BB38_12 Depth=3
	s_and_not1_saveexec_b32 s75, s75
	s_cbranch_execz .LBB38_62
; %bb.48:                               ;   in Loop: Header=BB38_12 Depth=3
	s_mov_b32 s76, exec_lo
	v_cmpx_lt_i32_e64 v15, v38
	s_cbranch_execz .LBB38_61
; %bb.49:                               ;   in Loop: Header=BB38_12 Depth=3
	v_mov_b32_e32 v7, v15
	s_mov_b32 s13, 0
                                        ; implicit-def: $sgpr77
                                        ; implicit-def: $sgpr79
                                        ; implicit-def: $sgpr78
	s_set_inst_prefetch_distance 0x1
	s_branch .LBB38_51
	.p2align	6
.LBB38_50:                              ;   in Loop: Header=BB38_51 Depth=4
	s_or_b32 exec_lo, exec_lo, s80
	s_delay_alu instid0(SALU_CYCLE_1) | instskip(NEXT) | instid1(SALU_CYCLE_1)
	s_and_b32 s80, exec_lo, s79
	s_or_b32 s13, s80, s13
	s_and_not1_b32 s77, s77, exec_lo
	s_and_b32 s80, s78, exec_lo
	s_delay_alu instid0(SALU_CYCLE_1)
	s_or_b32 s77, s77, s80
	s_and_not1_b32 exec_lo, exec_lo, s13
	s_cbranch_execz .LBB38_53
.LBB38_51:                              ;   Parent Loop BB38_3 Depth=1
                                        ;     Parent Loop BB38_7 Depth=2
                                        ;       Parent Loop BB38_12 Depth=3
                                        ; =>      This Inner Loop Header: Depth=4
	s_delay_alu instid0(VALU_DEP_1) | instskip(SKIP_3) | instid1(VALU_DEP_1)
	v_add_nc_u32_e32 v18, v13, v7
	s_or_b32 s78, s78, exec_lo
	s_or_b32 s79, s79, exec_lo
	s_mov_b32 s80, exec_lo
	v_ashrrev_i32_e32 v19, 31, v18
	s_delay_alu instid0(VALU_DEP_1) | instskip(NEXT) | instid1(VALU_DEP_1)
	v_lshlrev_b64 v[39:40], 2, v[18:19]
	v_add_co_u32 v39, vcc_lo, s20, v39
	s_delay_alu instid0(VALU_DEP_2) | instskip(SKIP_3) | instid1(VALU_DEP_1)
	v_add_co_ci_u32_e32 v40, vcc_lo, s21, v40, vcc_lo
	global_load_b32 v14, v[39:40], off
	s_waitcnt vmcnt(0)
	v_subrev_nc_u32_e32 v14, s64, v14
	v_cmpx_ne_u32_e64 v14, v5
	s_cbranch_execz .LBB38_50
; %bb.52:                               ;   in Loop: Header=BB38_51 Depth=4
	v_add_nc_u32_e32 v7, 1, v7
	s_and_not1_b32 s79, s79, exec_lo
	s_and_not1_b32 s78, s78, exec_lo
	s_delay_alu instid0(VALU_DEP_1) | instskip(SKIP_1) | instid1(SALU_CYCLE_1)
	v_cmp_ge_i32_e32 vcc_lo, v7, v38
	s_and_b32 s81, vcc_lo, exec_lo
	s_or_b32 s79, s79, s81
	s_branch .LBB38_50
.LBB38_53:                              ;   in Loop: Header=BB38_12 Depth=3
	s_set_inst_prefetch_distance 0x2
	s_or_b32 exec_lo, exec_lo, s13
	s_and_saveexec_b32 s13, s77
	s_delay_alu instid0(SALU_CYCLE_1)
	s_xor_b32 s77, exec_lo, s13
	s_cbranch_execz .LBB38_60
; %bb.54:                               ;   in Loop: Header=BB38_12 Depth=3
	v_lshlrev_b64 v[18:19], 3, v[18:19]
	s_delay_alu instid0(VALU_DEP_1) | instskip(NEXT) | instid1(VALU_DEP_2)
	v_add_co_u32 v39, vcc_lo, s54, v18
	v_add_co_ci_u32_e32 v40, vcc_lo, s55, v19, vcc_lo
	s_and_not1_b32 vcc_lo, exec_lo, s60
	global_store_b64 v[39:40], v[16:17], off
	s_cbranch_vccnz .LBB38_60
; %bb.55:                               ;   in Loop: Header=BB38_12 Depth=3
	v_add_co_u32 v18, vcc_lo, s22, v18
	v_add_co_ci_u32_e32 v19, vcc_lo, s23, v19, vcc_lo
	s_mov_b32 s13, exec_lo
	global_load_b64 v[18:19], v[18:19], off
	s_waitcnt vmcnt(0)
	v_sub_f32_e32 v7, v18, v16
	v_sub_f32_e32 v17, v19, v17
                                        ; implicit-def: $vgpr16
	s_delay_alu instid0(VALU_DEP_2) | instskip(SKIP_1) | instid1(VALU_DEP_3)
	v_cmp_gt_f32_e32 vcc_lo, 0, v7
	v_cndmask_b32_e64 v7, v7, -v7, vcc_lo
	v_cmp_gt_f32_e32 vcc_lo, 0, v17
	v_cndmask_b32_e64 v14, v17, -v17, vcc_lo
	s_delay_alu instid0(VALU_DEP_1)
	v_cmpx_ngt_f32_e32 v7, v14
	s_xor_b32 s78, exec_lo, s13
	s_cbranch_execnz .LBB38_115
; %bb.56:                               ;   in Loop: Header=BB38_12 Depth=3
	s_and_not1_saveexec_b32 s78, s78
	s_cbranch_execnz .LBB38_118
.LBB38_57:                              ;   in Loop: Header=BB38_12 Depth=3
	s_or_b32 exec_lo, exec_lo, s78
	v_cmp_class_f32_e64 s78, v16, 0x1f8
	s_delay_alu instid0(VALU_DEP_1)
	s_and_saveexec_b32 s13, s78
.LBB38_58:                              ;   in Loop: Header=BB38_12 Depth=3
	v_cmp_lt_f32_e32 vcc_lo, v2, v16
	v_cndmask_b32_e32 v2, v2, v16, vcc_lo
.LBB38_59:                              ;   in Loop: Header=BB38_12 Depth=3
	s_or_b32 exec_lo, exec_lo, s13
.LBB38_60:                              ;   in Loop: Header=BB38_12 Depth=3
	s_delay_alu instid0(SALU_CYCLE_1)
	s_or_b32 exec_lo, exec_lo, s77
.LBB38_61:                              ;   in Loop: Header=BB38_12 Depth=3
	s_delay_alu instid0(SALU_CYCLE_1)
	s_or_b32 exec_lo, exec_lo, s76
.LBB38_62:                              ;   in Loop: Header=BB38_12 Depth=3
	s_delay_alu instid0(SALU_CYCLE_1)
	s_or_b32 exec_lo, exec_lo, s75
                                        ; implicit-def: $vgpr16
.LBB38_63:                              ;   in Loop: Header=BB38_12 Depth=3
	s_and_not1_saveexec_b32 s74, s74
	s_cbranch_execz .LBB38_78
; %bb.64:                               ;   in Loop: Header=BB38_12 Depth=3
	s_mov_b32 s75, exec_lo
	v_cmpx_lt_i32_e64 v3, v31
	s_cbranch_execz .LBB38_77
; %bb.65:                               ;   in Loop: Header=BB38_12 Depth=3
	v_mov_b32_e32 v7, v3
	s_mov_b32 s13, 0
                                        ; implicit-def: $sgpr76
                                        ; implicit-def: $sgpr78
                                        ; implicit-def: $sgpr77
	s_set_inst_prefetch_distance 0x1
	s_branch .LBB38_67
	.p2align	6
.LBB38_66:                              ;   in Loop: Header=BB38_67 Depth=4
	s_or_b32 exec_lo, exec_lo, s79
	s_delay_alu instid0(SALU_CYCLE_1) | instskip(NEXT) | instid1(SALU_CYCLE_1)
	s_and_b32 s79, exec_lo, s78
	s_or_b32 s13, s79, s13
	s_and_not1_b32 s76, s76, exec_lo
	s_and_b32 s79, s77, exec_lo
	s_delay_alu instid0(SALU_CYCLE_1)
	s_or_b32 s76, s76, s79
	s_and_not1_b32 exec_lo, exec_lo, s13
	s_cbranch_execz .LBB38_69
.LBB38_67:                              ;   Parent Loop BB38_3 Depth=1
                                        ;     Parent Loop BB38_7 Depth=2
                                        ;       Parent Loop BB38_12 Depth=3
                                        ; =>      This Inner Loop Header: Depth=4
	s_delay_alu instid0(VALU_DEP_1) | instskip(SKIP_3) | instid1(VALU_DEP_1)
	v_add_nc_u32_e32 v18, v8, v7
	s_or_b32 s77, s77, exec_lo
	s_or_b32 s78, s78, exec_lo
	s_mov_b32 s79, exec_lo
	v_ashrrev_i32_e32 v19, 31, v18
	s_delay_alu instid0(VALU_DEP_1) | instskip(NEXT) | instid1(VALU_DEP_1)
	v_lshlrev_b64 v[39:40], 2, v[18:19]
	v_add_co_u32 v39, vcc_lo, s28, v39
	s_delay_alu instid0(VALU_DEP_2) | instskip(SKIP_3) | instid1(VALU_DEP_1)
	v_add_co_ci_u32_e32 v40, vcc_lo, s29, v40, vcc_lo
	global_load_b32 v14, v[39:40], off
	s_waitcnt vmcnt(0)
	v_subrev_nc_u32_e32 v14, s63, v14
	v_cmpx_ne_u32_e64 v14, v9
	s_cbranch_execz .LBB38_66
; %bb.68:                               ;   in Loop: Header=BB38_67 Depth=4
	v_add_nc_u32_e32 v7, 1, v7
	s_and_not1_b32 s78, s78, exec_lo
	s_and_not1_b32 s77, s77, exec_lo
	s_delay_alu instid0(VALU_DEP_1) | instskip(SKIP_1) | instid1(SALU_CYCLE_1)
	v_cmp_ge_i32_e32 vcc_lo, v7, v31
	s_and_b32 s80, vcc_lo, exec_lo
	s_or_b32 s78, s78, s80
	s_branch .LBB38_66
.LBB38_69:                              ;   in Loop: Header=BB38_12 Depth=3
	s_set_inst_prefetch_distance 0x2
	s_or_b32 exec_lo, exec_lo, s13
	s_and_saveexec_b32 s13, s76
	s_delay_alu instid0(SALU_CYCLE_1)
	s_xor_b32 s76, exec_lo, s13
	s_cbranch_execz .LBB38_76
; %bb.70:                               ;   in Loop: Header=BB38_12 Depth=3
	v_lshlrev_b64 v[18:19], 3, v[18:19]
	s_delay_alu instid0(VALU_DEP_1) | instskip(NEXT) | instid1(VALU_DEP_2)
	v_add_co_u32 v39, vcc_lo, s56, v18
	v_add_co_ci_u32_e32 v40, vcc_lo, s57, v19, vcc_lo
	s_and_not1_b32 vcc_lo, exec_lo, s60
	global_store_b64 v[39:40], v[16:17], off
	s_cbranch_vccnz .LBB38_76
; %bb.71:                               ;   in Loop: Header=BB38_12 Depth=3
	v_add_co_u32 v18, vcc_lo, s30, v18
	v_add_co_ci_u32_e32 v19, vcc_lo, s31, v19, vcc_lo
	s_mov_b32 s13, exec_lo
	global_load_b64 v[18:19], v[18:19], off
	s_waitcnt vmcnt(0)
	v_sub_f32_e32 v7, v18, v16
	v_sub_f32_e32 v17, v19, v17
                                        ; implicit-def: $vgpr16
	s_delay_alu instid0(VALU_DEP_2) | instskip(SKIP_1) | instid1(VALU_DEP_3)
	v_cmp_gt_f32_e32 vcc_lo, 0, v7
	v_cndmask_b32_e64 v7, v7, -v7, vcc_lo
	v_cmp_gt_f32_e32 vcc_lo, 0, v17
	v_cndmask_b32_e64 v14, v17, -v17, vcc_lo
	s_delay_alu instid0(VALU_DEP_1)
	v_cmpx_ngt_f32_e32 v7, v14
	s_xor_b32 s77, exec_lo, s13
	s_cbranch_execnz .LBB38_111
; %bb.72:                               ;   in Loop: Header=BB38_12 Depth=3
	s_and_not1_saveexec_b32 s77, s77
	s_cbranch_execnz .LBB38_114
.LBB38_73:                              ;   in Loop: Header=BB38_12 Depth=3
	s_or_b32 exec_lo, exec_lo, s77
	v_cmp_class_f32_e64 s77, v16, 0x1f8
	s_delay_alu instid0(VALU_DEP_1)
	s_and_saveexec_b32 s13, s77
.LBB38_74:                              ;   in Loop: Header=BB38_12 Depth=3
	v_cmp_lt_f32_e32 vcc_lo, v2, v16
	v_cndmask_b32_e32 v2, v2, v16, vcc_lo
.LBB38_75:                              ;   in Loop: Header=BB38_12 Depth=3
	s_or_b32 exec_lo, exec_lo, s13
.LBB38_76:                              ;   in Loop: Header=BB38_12 Depth=3
	s_delay_alu instid0(SALU_CYCLE_1)
	s_or_b32 exec_lo, exec_lo, s76
.LBB38_77:                              ;   in Loop: Header=BB38_12 Depth=3
	s_delay_alu instid0(SALU_CYCLE_1)
	s_or_b32 exec_lo, exec_lo, s75
.LBB38_78:                              ;   in Loop: Header=BB38_12 Depth=3
	s_delay_alu instid0(SALU_CYCLE_1) | instskip(NEXT) | instid1(SALU_CYCLE_1)
	s_or_b32 exec_lo, exec_lo, s74
	s_or_b32 exec_lo, exec_lo, s73
	s_and_b32 s13, s14, s33
	s_delay_alu instid0(SALU_CYCLE_1)
	s_and_saveexec_b32 s14, s13
	s_cbranch_execz .LBB38_11
.LBB38_79:                              ;   in Loop: Header=BB38_12 Depth=3
	s_mov_b32 s13, exec_lo
	v_cmpx_ge_i32_e64 v15, v38
	s_xor_b32 s13, exec_lo, s13
	s_cbranch_execnz .LBB38_86
; %bb.80:                               ;   in Loop: Header=BB38_12 Depth=3
	s_and_not1_saveexec_b32 s13, s13
	s_cbranch_execnz .LBB38_100
.LBB38_81:                              ;   in Loop: Header=BB38_12 Depth=3
	s_or_b32 exec_lo, exec_lo, s13
	s_delay_alu instid0(SALU_CYCLE_1)
	s_mov_b32 s13, exec_lo
	v_cmpx_eq_u32_e64 v5, v9
	s_cbranch_execz .LBB38_83
.LBB38_82:                              ;   in Loop: Header=BB38_12 Depth=3
	v_lshlrev_b64 v[9:10], 3, v[9:10]
	s_delay_alu instid0(VALU_DEP_1) | instskip(NEXT) | instid1(VALU_DEP_2)
	v_add_co_u32 v9, vcc_lo, s48, v9
	v_add_co_ci_u32_e32 v10, vcc_lo, s49, v10, vcc_lo
	global_load_b64 v[9:10], v[9:10], off
	s_waitcnt vmcnt(0)
	v_dual_add_f32 v36, v36, v9 :: v_dual_add_f32 v37, v37, v10
.LBB38_83:                              ;   in Loop: Header=BB38_12 Depth=3
	s_or_b32 exec_lo, exec_lo, s13
	s_delay_alu instid0(VALU_DEP_1) | instskip(SKIP_1) | instid1(VALU_DEP_1)
	v_dual_sub_f32 v3, v11, v36 :: v_dual_sub_f32 v10, v12, v37
                                        ; implicit-def: $vgpr9
	s_mov_b32 s13, exec_lo
	v_cmp_gt_f32_e32 vcc_lo, 0, v3
	v_cndmask_b32_e64 v3, v3, -v3, vcc_lo
	s_delay_alu instid0(VALU_DEP_3) | instskip(SKIP_1) | instid1(VALU_DEP_1)
	v_cmp_gt_f32_e32 vcc_lo, 0, v10
	v_cndmask_b32_e64 v7, v10, -v10, vcc_lo
	v_cmpx_ngt_f32_e32 v3, v7
	s_xor_b32 s73, exec_lo, s13
	s_cbranch_execnz .LBB38_91
; %bb.84:                               ;   in Loop: Header=BB38_12 Depth=3
	s_and_not1_saveexec_b32 s73, s73
	s_cbranch_execnz .LBB38_94
.LBB38_85:                              ;   in Loop: Header=BB38_12 Depth=3
	s_or_b32 exec_lo, exec_lo, s73
	v_cmp_class_f32_e64 s73, v9, 0x1f8
	s_delay_alu instid0(VALU_DEP_1)
	s_and_saveexec_b32 s13, s73
	s_cbranch_execz .LBB38_10
	s_branch .LBB38_95
.LBB38_86:                              ;   in Loop: Header=BB38_12 Depth=3
	s_mov_b32 s73, exec_lo
	v_cmpx_lt_i32_e64 v3, v31
	s_cbranch_execz .LBB38_99
; %bb.87:                               ;   in Loop: Header=BB38_12 Depth=3
	s_mov_b32 s75, 0
                                        ; implicit-def: $sgpr74
                                        ; implicit-def: $sgpr77
                                        ; implicit-def: $sgpr76
	s_set_inst_prefetch_distance 0x1
	s_branch .LBB38_89
	.p2align	6
.LBB38_88:                              ;   in Loop: Header=BB38_89 Depth=4
	s_or_b32 exec_lo, exec_lo, s78
	s_delay_alu instid0(SALU_CYCLE_1) | instskip(NEXT) | instid1(SALU_CYCLE_1)
	s_and_b32 s78, exec_lo, s77
	s_or_b32 s75, s78, s75
	s_and_not1_b32 s74, s74, exec_lo
	s_and_b32 s78, s76, exec_lo
	s_delay_alu instid0(SALU_CYCLE_1)
	s_or_b32 s74, s74, s78
	s_and_not1_b32 exec_lo, exec_lo, s75
	s_cbranch_execz .LBB38_96
.LBB38_89:                              ;   Parent Loop BB38_3 Depth=1
                                        ;     Parent Loop BB38_7 Depth=2
                                        ;       Parent Loop BB38_12 Depth=3
                                        ; =>      This Inner Loop Header: Depth=4
	v_add_nc_u32_e32 v13, v8, v3
	s_or_b32 s76, s76, exec_lo
	s_or_b32 s77, s77, exec_lo
	s_mov_b32 s78, exec_lo
	s_delay_alu instid0(VALU_DEP_1) | instskip(NEXT) | instid1(VALU_DEP_1)
	v_ashrrev_i32_e32 v14, 31, v13
	v_lshlrev_b64 v[15:16], 2, v[13:14]
	s_delay_alu instid0(VALU_DEP_1) | instskip(NEXT) | instid1(VALU_DEP_2)
	v_add_co_u32 v15, vcc_lo, s28, v15
	v_add_co_ci_u32_e32 v16, vcc_lo, s29, v16, vcc_lo
	global_load_b32 v7, v[15:16], off
	s_waitcnt vmcnt(0)
	v_subrev_nc_u32_e32 v7, s63, v7
	s_delay_alu instid0(VALU_DEP_1)
	v_cmpx_ne_u32_e64 v7, v9
	s_cbranch_execz .LBB38_88
; %bb.90:                               ;   in Loop: Header=BB38_89 Depth=4
	v_add_nc_u32_e32 v3, 1, v3
	s_and_not1_b32 s77, s77, exec_lo
	s_and_not1_b32 s76, s76, exec_lo
	s_delay_alu instid0(VALU_DEP_1) | instskip(SKIP_1) | instid1(SALU_CYCLE_1)
	v_cmp_ge_i32_e32 vcc_lo, v3, v31
	s_and_b32 s79, vcc_lo, exec_lo
	s_or_b32 s77, s77, s79
	s_branch .LBB38_88
.LBB38_91:                              ;   in Loop: Header=BB38_12 Depth=3
	v_mov_b32_e32 v9, 0
	s_mov_b32 s74, exec_lo
	v_cmpx_neq_f32_e32 0, v10
	s_cbranch_execz .LBB38_93
; %bb.92:                               ;   in Loop: Header=BB38_12 Depth=3
	v_div_scale_f32 v9, null, v7, v7, v3
	v_div_scale_f32 v12, vcc_lo, v3, v7, v3
	s_delay_alu instid0(VALU_DEP_2) | instskip(SKIP_2) | instid1(VALU_DEP_1)
	v_rcp_f32_e32 v10, v9
	s_waitcnt_depctr 0xfff
	v_fma_f32 v11, -v9, v10, 1.0
	v_fmac_f32_e32 v10, v11, v10
	s_delay_alu instid0(VALU_DEP_1) | instskip(NEXT) | instid1(VALU_DEP_1)
	v_mul_f32_e32 v11, v12, v10
	v_fma_f32 v13, -v9, v11, v12
	s_delay_alu instid0(VALU_DEP_1) | instskip(NEXT) | instid1(VALU_DEP_1)
	v_fmac_f32_e32 v11, v13, v10
	v_fma_f32 v9, -v9, v11, v12
	s_delay_alu instid0(VALU_DEP_1) | instskip(NEXT) | instid1(VALU_DEP_1)
	v_div_fmas_f32 v9, v9, v10, v11
	v_div_fixup_f32 v3, v9, v7, v3
	s_delay_alu instid0(VALU_DEP_1) | instskip(NEXT) | instid1(VALU_DEP_1)
	v_fma_f32 v3, v3, v3, 1.0
	v_mul_f32_e32 v9, 0x4f800000, v3
	v_cmp_gt_f32_e32 vcc_lo, 0xf800000, v3
	s_delay_alu instid0(VALU_DEP_2) | instskip(NEXT) | instid1(VALU_DEP_1)
	v_cndmask_b32_e32 v3, v3, v9, vcc_lo
	v_sqrt_f32_e32 v9, v3
	s_waitcnt_depctr 0xfff
	v_add_nc_u32_e32 v10, -1, v9
	v_add_nc_u32_e32 v11, 1, v9
	s_delay_alu instid0(VALU_DEP_2) | instskip(NEXT) | instid1(VALU_DEP_2)
	v_fma_f32 v12, -v10, v9, v3
	v_fma_f32 v13, -v11, v9, v3
	s_delay_alu instid0(VALU_DEP_2) | instskip(NEXT) | instid1(VALU_DEP_1)
	v_cmp_ge_f32_e64 s13, 0, v12
	v_cndmask_b32_e64 v9, v9, v10, s13
	s_delay_alu instid0(VALU_DEP_3) | instskip(NEXT) | instid1(VALU_DEP_1)
	v_cmp_lt_f32_e64 s13, 0, v13
	v_cndmask_b32_e64 v9, v9, v11, s13
	s_delay_alu instid0(VALU_DEP_1) | instskip(NEXT) | instid1(VALU_DEP_1)
	v_mul_f32_e32 v10, 0x37800000, v9
	v_cndmask_b32_e32 v9, v9, v10, vcc_lo
	v_cmp_class_f32_e64 vcc_lo, v3, 0x260
	s_delay_alu instid0(VALU_DEP_2) | instskip(NEXT) | instid1(VALU_DEP_1)
	v_cndmask_b32_e32 v3, v9, v3, vcc_lo
	v_mul_f32_e32 v9, v7, v3
.LBB38_93:                              ;   in Loop: Header=BB38_12 Depth=3
	s_or_b32 exec_lo, exec_lo, s74
                                        ; implicit-def: $vgpr3
                                        ; implicit-def: $vgpr7
	s_and_not1_saveexec_b32 s73, s73
	s_cbranch_execz .LBB38_85
.LBB38_94:                              ;   in Loop: Header=BB38_12 Depth=3
	v_div_scale_f32 v9, null, v3, v3, v7
	v_div_scale_f32 v12, vcc_lo, v7, v3, v7
	s_delay_alu instid0(VALU_DEP_2) | instskip(SKIP_2) | instid1(VALU_DEP_1)
	v_rcp_f32_e32 v10, v9
	s_waitcnt_depctr 0xfff
	v_fma_f32 v11, -v9, v10, 1.0
	v_fmac_f32_e32 v10, v11, v10
	s_delay_alu instid0(VALU_DEP_1) | instskip(NEXT) | instid1(VALU_DEP_1)
	v_mul_f32_e32 v11, v12, v10
	v_fma_f32 v13, -v9, v11, v12
	s_delay_alu instid0(VALU_DEP_1) | instskip(NEXT) | instid1(VALU_DEP_1)
	v_fmac_f32_e32 v11, v13, v10
	v_fma_f32 v9, -v9, v11, v12
	s_delay_alu instid0(VALU_DEP_1) | instskip(NEXT) | instid1(VALU_DEP_1)
	v_div_fmas_f32 v9, v9, v10, v11
	v_div_fixup_f32 v7, v9, v3, v7
	s_delay_alu instid0(VALU_DEP_1) | instskip(NEXT) | instid1(VALU_DEP_1)
	v_fma_f32 v7, v7, v7, 1.0
	v_mul_f32_e32 v9, 0x4f800000, v7
	v_cmp_gt_f32_e32 vcc_lo, 0xf800000, v7
	s_delay_alu instid0(VALU_DEP_2) | instskip(NEXT) | instid1(VALU_DEP_1)
	v_cndmask_b32_e32 v7, v7, v9, vcc_lo
	v_sqrt_f32_e32 v9, v7
	s_waitcnt_depctr 0xfff
	v_add_nc_u32_e32 v10, -1, v9
	v_add_nc_u32_e32 v11, 1, v9
	s_delay_alu instid0(VALU_DEP_2) | instskip(NEXT) | instid1(VALU_DEP_2)
	v_fma_f32 v12, -v10, v9, v7
	v_fma_f32 v13, -v11, v9, v7
	s_delay_alu instid0(VALU_DEP_2) | instskip(NEXT) | instid1(VALU_DEP_1)
	v_cmp_ge_f32_e64 s13, 0, v12
	v_cndmask_b32_e64 v9, v9, v10, s13
	s_delay_alu instid0(VALU_DEP_3) | instskip(NEXT) | instid1(VALU_DEP_1)
	v_cmp_lt_f32_e64 s13, 0, v13
	v_cndmask_b32_e64 v9, v9, v11, s13
	s_delay_alu instid0(VALU_DEP_1) | instskip(NEXT) | instid1(VALU_DEP_1)
	v_mul_f32_e32 v10, 0x37800000, v9
	v_cndmask_b32_e32 v9, v9, v10, vcc_lo
	v_cmp_class_f32_e64 vcc_lo, v7, 0x260
	s_delay_alu instid0(VALU_DEP_2) | instskip(NEXT) | instid1(VALU_DEP_1)
	v_cndmask_b32_e32 v7, v9, v7, vcc_lo
	v_mul_f32_e32 v9, v3, v7
	s_or_b32 exec_lo, exec_lo, s73
	s_delay_alu instid0(VALU_DEP_1) | instskip(NEXT) | instid1(VALU_DEP_1)
	v_cmp_class_f32_e64 s73, v9, 0x1f8
	s_and_saveexec_b32 s13, s73
	s_cbranch_execz .LBB38_10
.LBB38_95:                              ;   in Loop: Header=BB38_12 Depth=3
	v_cmp_lt_f32_e32 vcc_lo, v1, v9
	v_cndmask_b32_e32 v1, v1, v9, vcc_lo
	s_branch .LBB38_10
.LBB38_96:                              ;   in Loop: Header=BB38_12 Depth=3
	s_set_inst_prefetch_distance 0x2
	s_or_b32 exec_lo, exec_lo, s75
	s_and_saveexec_b32 s75, s74
	s_delay_alu instid0(SALU_CYCLE_1)
	s_xor_b32 s74, exec_lo, s75
	s_cbranch_execz .LBB38_98
; %bb.97:                               ;   in Loop: Header=BB38_12 Depth=3
	v_lshlrev_b64 v[13:14], 3, v[13:14]
	v_lshlrev_b64 v[15:16], 3, v[9:10]
	s_delay_alu instid0(VALU_DEP_2) | instskip(NEXT) | instid1(VALU_DEP_3)
	v_add_co_u32 v13, vcc_lo, s30, v13
	v_add_co_ci_u32_e32 v14, vcc_lo, s31, v14, vcc_lo
	s_delay_alu instid0(VALU_DEP_3) | instskip(NEXT) | instid1(VALU_DEP_4)
	v_add_co_u32 v15, vcc_lo, s48, v15
	v_add_co_ci_u32_e32 v16, vcc_lo, s49, v16, vcc_lo
	global_load_b64 v[13:14], v[13:14], off
	global_load_b64 v[15:16], v[15:16], off
	s_waitcnt vmcnt(0)
	v_mul_f32_e64 v3, v16, -v14
	v_mul_f32_e32 v7, v16, v13
	s_delay_alu instid0(VALU_DEP_2) | instskip(NEXT) | instid1(VALU_DEP_2)
	v_fmac_f32_e32 v3, v13, v15
	v_fmac_f32_e32 v7, v14, v15
	s_delay_alu instid0(VALU_DEP_2) | instskip(NEXT) | instid1(VALU_DEP_2)
	v_add_f32_e32 v36, v36, v3
	v_add_f32_e32 v37, v37, v7
.LBB38_98:                              ;   in Loop: Header=BB38_12 Depth=3
	s_or_b32 exec_lo, exec_lo, s74
.LBB38_99:                              ;   in Loop: Header=BB38_12 Depth=3
	s_delay_alu instid0(SALU_CYCLE_1)
	s_or_b32 exec_lo, exec_lo, s73
                                        ; implicit-def: $vgpr15
                                        ; implicit-def: $vgpr13
                                        ; implicit-def: $vgpr38
	s_and_not1_saveexec_b32 s13, s13
	s_cbranch_execz .LBB38_81
.LBB38_100:                             ;   in Loop: Header=BB38_12 Depth=3
	s_mov_b32 s74, 0
                                        ; implicit-def: $sgpr73
                                        ; implicit-def: $sgpr76
                                        ; implicit-def: $sgpr75
	s_set_inst_prefetch_distance 0x1
	s_branch .LBB38_102
	.p2align	6
.LBB38_101:                             ;   in Loop: Header=BB38_102 Depth=4
	s_or_b32 exec_lo, exec_lo, s77
	s_delay_alu instid0(SALU_CYCLE_1) | instskip(NEXT) | instid1(SALU_CYCLE_1)
	s_and_b32 s77, exec_lo, s76
	s_or_b32 s74, s77, s74
	s_and_not1_b32 s73, s73, exec_lo
	s_and_b32 s77, s75, exec_lo
	s_delay_alu instid0(SALU_CYCLE_1)
	s_or_b32 s73, s73, s77
	s_and_not1_b32 exec_lo, exec_lo, s74
	s_cbranch_execz .LBB38_104
.LBB38_102:                             ;   Parent Loop BB38_3 Depth=1
                                        ;     Parent Loop BB38_7 Depth=2
                                        ;       Parent Loop BB38_12 Depth=3
                                        ; =>      This Inner Loop Header: Depth=4
	v_add_nc_u32_e32 v16, v13, v15
	s_or_b32 s75, s75, exec_lo
	s_or_b32 s76, s76, exec_lo
	s_mov_b32 s77, exec_lo
	s_delay_alu instid0(VALU_DEP_1) | instskip(NEXT) | instid1(VALU_DEP_1)
	v_ashrrev_i32_e32 v17, 31, v16
	v_lshlrev_b64 v[18:19], 2, v[16:17]
	s_delay_alu instid0(VALU_DEP_1) | instskip(NEXT) | instid1(VALU_DEP_2)
	v_add_co_u32 v18, vcc_lo, s20, v18
	v_add_co_ci_u32_e32 v19, vcc_lo, s21, v19, vcc_lo
	global_load_b32 v3, v[18:19], off
	s_waitcnt vmcnt(0)
	v_subrev_nc_u32_e32 v3, s64, v3
	s_delay_alu instid0(VALU_DEP_1)
	v_cmpx_ne_u32_e64 v3, v5
	s_cbranch_execz .LBB38_101
; %bb.103:                              ;   in Loop: Header=BB38_102 Depth=4
	v_add_nc_u32_e32 v15, 1, v15
	s_and_not1_b32 s76, s76, exec_lo
	s_and_not1_b32 s75, s75, exec_lo
	s_delay_alu instid0(VALU_DEP_1) | instskip(SKIP_1) | instid1(SALU_CYCLE_1)
	v_cmp_ge_i32_e32 vcc_lo, v15, v38
	s_and_b32 s78, vcc_lo, exec_lo
	s_or_b32 s76, s76, s78
	s_branch .LBB38_101
.LBB38_104:                             ;   in Loop: Header=BB38_12 Depth=3
	s_set_inst_prefetch_distance 0x2
	s_or_b32 exec_lo, exec_lo, s74
	s_and_saveexec_b32 s74, s73
	s_delay_alu instid0(SALU_CYCLE_1)
	s_xor_b32 s73, exec_lo, s74
	s_cbranch_execz .LBB38_106
; %bb.105:                              ;   in Loop: Header=BB38_12 Depth=3
	v_lshlrev_b64 v[13:14], 3, v[16:17]
	s_delay_alu instid0(VALU_DEP_1) | instskip(NEXT) | instid1(VALU_DEP_2)
	v_add_co_u32 v13, vcc_lo, s22, v13
	v_add_co_ci_u32_e32 v14, vcc_lo, s23, v14, vcc_lo
	global_load_b64 v[13:14], v[13:14], off
	s_waitcnt vmcnt(0)
	v_dual_add_f32 v36, v36, v13 :: v_dual_add_f32 v37, v37, v14
.LBB38_106:                             ;   in Loop: Header=BB38_12 Depth=3
	s_or_b32 exec_lo, exec_lo, s73
	s_delay_alu instid0(SALU_CYCLE_1) | instskip(NEXT) | instid1(SALU_CYCLE_1)
	s_or_b32 exec_lo, exec_lo, s13
	s_mov_b32 s13, exec_lo
	v_cmpx_eq_u32_e64 v5, v9
	s_cbranch_execnz .LBB38_82
	s_branch .LBB38_83
.LBB38_107:                             ;   in Loop: Header=BB38_12 Depth=3
	v_mov_b32_e32 v16, 0
	s_mov_b32 s77, exec_lo
	v_cmpx_neq_f32_e32 0, v17
	s_cbranch_execz .LBB38_109
; %bb.108:                              ;   in Loop: Header=BB38_12 Depth=3
	v_div_scale_f32 v16, null, v14, v14, v7
	v_div_scale_f32 v19, vcc_lo, v7, v14, v7
	s_delay_alu instid0(VALU_DEP_2) | instskip(SKIP_2) | instid1(VALU_DEP_1)
	v_rcp_f32_e32 v17, v16
	s_waitcnt_depctr 0xfff
	v_fma_f32 v18, -v16, v17, 1.0
	v_fmac_f32_e32 v17, v18, v17
	s_delay_alu instid0(VALU_DEP_1) | instskip(NEXT) | instid1(VALU_DEP_1)
	v_mul_f32_e32 v18, v19, v17
	v_fma_f32 v39, -v16, v18, v19
	s_delay_alu instid0(VALU_DEP_1) | instskip(NEXT) | instid1(VALU_DEP_1)
	v_fmac_f32_e32 v18, v39, v17
	v_fma_f32 v16, -v16, v18, v19
	s_delay_alu instid0(VALU_DEP_1) | instskip(NEXT) | instid1(VALU_DEP_1)
	v_div_fmas_f32 v16, v16, v17, v18
	v_div_fixup_f32 v7, v16, v14, v7
	s_delay_alu instid0(VALU_DEP_1) | instskip(NEXT) | instid1(VALU_DEP_1)
	v_fma_f32 v7, v7, v7, 1.0
	v_mul_f32_e32 v16, 0x4f800000, v7
	v_cmp_gt_f32_e32 vcc_lo, 0xf800000, v7
	s_delay_alu instid0(VALU_DEP_2) | instskip(NEXT) | instid1(VALU_DEP_1)
	v_cndmask_b32_e32 v7, v7, v16, vcc_lo
	v_sqrt_f32_e32 v16, v7
	s_waitcnt_depctr 0xfff
	v_add_nc_u32_e32 v17, -1, v16
	v_add_nc_u32_e32 v18, 1, v16
	s_delay_alu instid0(VALU_DEP_2) | instskip(NEXT) | instid1(VALU_DEP_2)
	v_fma_f32 v19, -v17, v16, v7
	v_fma_f32 v39, -v18, v16, v7
	s_delay_alu instid0(VALU_DEP_2) | instskip(NEXT) | instid1(VALU_DEP_1)
	v_cmp_ge_f32_e64 s13, 0, v19
	v_cndmask_b32_e64 v16, v16, v17, s13
	s_delay_alu instid0(VALU_DEP_3) | instskip(NEXT) | instid1(VALU_DEP_1)
	v_cmp_lt_f32_e64 s13, 0, v39
	v_cndmask_b32_e64 v16, v16, v18, s13
	s_delay_alu instid0(VALU_DEP_1) | instskip(NEXT) | instid1(VALU_DEP_1)
	v_mul_f32_e32 v17, 0x37800000, v16
	v_cndmask_b32_e32 v16, v16, v17, vcc_lo
	v_cmp_class_f32_e64 vcc_lo, v7, 0x260
	s_delay_alu instid0(VALU_DEP_2) | instskip(NEXT) | instid1(VALU_DEP_1)
	v_cndmask_b32_e32 v7, v16, v7, vcc_lo
	v_mul_f32_e32 v16, v14, v7
.LBB38_109:                             ;   in Loop: Header=BB38_12 Depth=3
	s_or_b32 exec_lo, exec_lo, s77
                                        ; implicit-def: $vgpr7
                                        ; implicit-def: $vgpr14
	s_and_not1_saveexec_b32 s76, s76
	s_cbranch_execz .LBB38_43
.LBB38_110:                             ;   in Loop: Header=BB38_12 Depth=3
	v_div_scale_f32 v16, null, v7, v7, v14
	v_div_scale_f32 v19, vcc_lo, v14, v7, v14
	s_delay_alu instid0(VALU_DEP_2) | instskip(SKIP_2) | instid1(VALU_DEP_1)
	v_rcp_f32_e32 v17, v16
	s_waitcnt_depctr 0xfff
	v_fma_f32 v18, -v16, v17, 1.0
	v_fmac_f32_e32 v17, v18, v17
	s_delay_alu instid0(VALU_DEP_1) | instskip(NEXT) | instid1(VALU_DEP_1)
	v_mul_f32_e32 v18, v19, v17
	v_fma_f32 v39, -v16, v18, v19
	s_delay_alu instid0(VALU_DEP_1) | instskip(NEXT) | instid1(VALU_DEP_1)
	v_fmac_f32_e32 v18, v39, v17
	v_fma_f32 v16, -v16, v18, v19
	s_delay_alu instid0(VALU_DEP_1) | instskip(NEXT) | instid1(VALU_DEP_1)
	v_div_fmas_f32 v16, v16, v17, v18
	v_div_fixup_f32 v14, v16, v7, v14
	s_delay_alu instid0(VALU_DEP_1) | instskip(NEXT) | instid1(VALU_DEP_1)
	v_fma_f32 v14, v14, v14, 1.0
	v_mul_f32_e32 v16, 0x4f800000, v14
	v_cmp_gt_f32_e32 vcc_lo, 0xf800000, v14
	s_delay_alu instid0(VALU_DEP_2) | instskip(NEXT) | instid1(VALU_DEP_1)
	v_cndmask_b32_e32 v14, v14, v16, vcc_lo
	v_sqrt_f32_e32 v16, v14
	s_waitcnt_depctr 0xfff
	v_add_nc_u32_e32 v17, -1, v16
	v_add_nc_u32_e32 v18, 1, v16
	s_delay_alu instid0(VALU_DEP_2) | instskip(NEXT) | instid1(VALU_DEP_2)
	v_fma_f32 v19, -v17, v16, v14
	v_fma_f32 v39, -v18, v16, v14
	s_delay_alu instid0(VALU_DEP_2) | instskip(NEXT) | instid1(VALU_DEP_1)
	v_cmp_ge_f32_e64 s13, 0, v19
	v_cndmask_b32_e64 v16, v16, v17, s13
	s_delay_alu instid0(VALU_DEP_3) | instskip(NEXT) | instid1(VALU_DEP_1)
	v_cmp_lt_f32_e64 s13, 0, v39
	v_cndmask_b32_e64 v16, v16, v18, s13
	s_delay_alu instid0(VALU_DEP_1) | instskip(NEXT) | instid1(VALU_DEP_1)
	v_mul_f32_e32 v17, 0x37800000, v16
	v_cndmask_b32_e32 v16, v16, v17, vcc_lo
	v_cmp_class_f32_e64 vcc_lo, v14, 0x260
	s_delay_alu instid0(VALU_DEP_2) | instskip(NEXT) | instid1(VALU_DEP_1)
	v_cndmask_b32_e32 v14, v16, v14, vcc_lo
	v_mul_f32_e32 v16, v7, v14
	s_or_b32 exec_lo, exec_lo, s76
	s_delay_alu instid0(VALU_DEP_1) | instskip(NEXT) | instid1(VALU_DEP_1)
	v_cmp_class_f32_e64 s76, v16, 0x1f8
	s_and_saveexec_b32 s13, s76
	s_cbranch_execnz .LBB38_44
	s_branch .LBB38_45
.LBB38_111:                             ;   in Loop: Header=BB38_12 Depth=3
	v_mov_b32_e32 v16, 0
	s_mov_b32 s78, exec_lo
	v_cmpx_neq_f32_e32 0, v17
	s_cbranch_execz .LBB38_113
; %bb.112:                              ;   in Loop: Header=BB38_12 Depth=3
	v_div_scale_f32 v16, null, v14, v14, v7
	v_div_scale_f32 v19, vcc_lo, v7, v14, v7
	s_delay_alu instid0(VALU_DEP_2) | instskip(SKIP_2) | instid1(VALU_DEP_1)
	v_rcp_f32_e32 v17, v16
	s_waitcnt_depctr 0xfff
	v_fma_f32 v18, -v16, v17, 1.0
	v_fmac_f32_e32 v17, v18, v17
	s_delay_alu instid0(VALU_DEP_1) | instskip(NEXT) | instid1(VALU_DEP_1)
	v_mul_f32_e32 v18, v19, v17
	v_fma_f32 v39, -v16, v18, v19
	s_delay_alu instid0(VALU_DEP_1) | instskip(NEXT) | instid1(VALU_DEP_1)
	v_fmac_f32_e32 v18, v39, v17
	v_fma_f32 v16, -v16, v18, v19
	s_delay_alu instid0(VALU_DEP_1) | instskip(NEXT) | instid1(VALU_DEP_1)
	v_div_fmas_f32 v16, v16, v17, v18
	v_div_fixup_f32 v7, v16, v14, v7
	s_delay_alu instid0(VALU_DEP_1) | instskip(NEXT) | instid1(VALU_DEP_1)
	v_fma_f32 v7, v7, v7, 1.0
	v_mul_f32_e32 v16, 0x4f800000, v7
	v_cmp_gt_f32_e32 vcc_lo, 0xf800000, v7
	s_delay_alu instid0(VALU_DEP_2) | instskip(NEXT) | instid1(VALU_DEP_1)
	v_cndmask_b32_e32 v7, v7, v16, vcc_lo
	v_sqrt_f32_e32 v16, v7
	s_waitcnt_depctr 0xfff
	v_add_nc_u32_e32 v17, -1, v16
	v_add_nc_u32_e32 v18, 1, v16
	s_delay_alu instid0(VALU_DEP_2) | instskip(NEXT) | instid1(VALU_DEP_2)
	v_fma_f32 v19, -v17, v16, v7
	v_fma_f32 v39, -v18, v16, v7
	s_delay_alu instid0(VALU_DEP_2) | instskip(NEXT) | instid1(VALU_DEP_1)
	v_cmp_ge_f32_e64 s13, 0, v19
	v_cndmask_b32_e64 v16, v16, v17, s13
	s_delay_alu instid0(VALU_DEP_3) | instskip(NEXT) | instid1(VALU_DEP_1)
	v_cmp_lt_f32_e64 s13, 0, v39
	v_cndmask_b32_e64 v16, v16, v18, s13
	s_delay_alu instid0(VALU_DEP_1) | instskip(NEXT) | instid1(VALU_DEP_1)
	v_mul_f32_e32 v17, 0x37800000, v16
	v_cndmask_b32_e32 v16, v16, v17, vcc_lo
	v_cmp_class_f32_e64 vcc_lo, v7, 0x260
	s_delay_alu instid0(VALU_DEP_2) | instskip(NEXT) | instid1(VALU_DEP_1)
	v_cndmask_b32_e32 v7, v16, v7, vcc_lo
	v_mul_f32_e32 v16, v14, v7
.LBB38_113:                             ;   in Loop: Header=BB38_12 Depth=3
	s_or_b32 exec_lo, exec_lo, s78
                                        ; implicit-def: $vgpr7
                                        ; implicit-def: $vgpr14
	s_and_not1_saveexec_b32 s77, s77
	s_cbranch_execz .LBB38_73
.LBB38_114:                             ;   in Loop: Header=BB38_12 Depth=3
	v_div_scale_f32 v16, null, v7, v7, v14
	v_div_scale_f32 v19, vcc_lo, v14, v7, v14
	s_delay_alu instid0(VALU_DEP_2) | instskip(SKIP_2) | instid1(VALU_DEP_1)
	v_rcp_f32_e32 v17, v16
	s_waitcnt_depctr 0xfff
	v_fma_f32 v18, -v16, v17, 1.0
	v_fmac_f32_e32 v17, v18, v17
	s_delay_alu instid0(VALU_DEP_1) | instskip(NEXT) | instid1(VALU_DEP_1)
	v_mul_f32_e32 v18, v19, v17
	v_fma_f32 v39, -v16, v18, v19
	s_delay_alu instid0(VALU_DEP_1) | instskip(NEXT) | instid1(VALU_DEP_1)
	v_fmac_f32_e32 v18, v39, v17
	v_fma_f32 v16, -v16, v18, v19
	s_delay_alu instid0(VALU_DEP_1) | instskip(NEXT) | instid1(VALU_DEP_1)
	v_div_fmas_f32 v16, v16, v17, v18
	v_div_fixup_f32 v14, v16, v7, v14
	s_delay_alu instid0(VALU_DEP_1) | instskip(NEXT) | instid1(VALU_DEP_1)
	v_fma_f32 v14, v14, v14, 1.0
	v_mul_f32_e32 v16, 0x4f800000, v14
	v_cmp_gt_f32_e32 vcc_lo, 0xf800000, v14
	s_delay_alu instid0(VALU_DEP_2) | instskip(NEXT) | instid1(VALU_DEP_1)
	v_cndmask_b32_e32 v14, v14, v16, vcc_lo
	v_sqrt_f32_e32 v16, v14
	s_waitcnt_depctr 0xfff
	v_add_nc_u32_e32 v17, -1, v16
	v_add_nc_u32_e32 v18, 1, v16
	s_delay_alu instid0(VALU_DEP_2) | instskip(NEXT) | instid1(VALU_DEP_2)
	v_fma_f32 v19, -v17, v16, v14
	v_fma_f32 v39, -v18, v16, v14
	s_delay_alu instid0(VALU_DEP_2) | instskip(NEXT) | instid1(VALU_DEP_1)
	v_cmp_ge_f32_e64 s13, 0, v19
	v_cndmask_b32_e64 v16, v16, v17, s13
	s_delay_alu instid0(VALU_DEP_3) | instskip(NEXT) | instid1(VALU_DEP_1)
	v_cmp_lt_f32_e64 s13, 0, v39
	v_cndmask_b32_e64 v16, v16, v18, s13
	s_delay_alu instid0(VALU_DEP_1) | instskip(NEXT) | instid1(VALU_DEP_1)
	v_mul_f32_e32 v17, 0x37800000, v16
	v_cndmask_b32_e32 v16, v16, v17, vcc_lo
	v_cmp_class_f32_e64 vcc_lo, v14, 0x260
	s_delay_alu instid0(VALU_DEP_2) | instskip(NEXT) | instid1(VALU_DEP_1)
	v_cndmask_b32_e32 v14, v16, v14, vcc_lo
	v_mul_f32_e32 v16, v7, v14
	s_or_b32 exec_lo, exec_lo, s77
	s_delay_alu instid0(VALU_DEP_1) | instskip(NEXT) | instid1(VALU_DEP_1)
	v_cmp_class_f32_e64 s77, v16, 0x1f8
	s_and_saveexec_b32 s13, s77
	s_cbranch_execnz .LBB38_74
	s_branch .LBB38_75
.LBB38_115:                             ;   in Loop: Header=BB38_12 Depth=3
	v_mov_b32_e32 v16, 0
	s_mov_b32 s79, exec_lo
	v_cmpx_neq_f32_e32 0, v17
	s_cbranch_execz .LBB38_117
; %bb.116:                              ;   in Loop: Header=BB38_12 Depth=3
	v_div_scale_f32 v16, null, v14, v14, v7
	v_div_scale_f32 v19, vcc_lo, v7, v14, v7
	s_delay_alu instid0(VALU_DEP_2) | instskip(SKIP_2) | instid1(VALU_DEP_1)
	v_rcp_f32_e32 v17, v16
	s_waitcnt_depctr 0xfff
	v_fma_f32 v18, -v16, v17, 1.0
	v_fmac_f32_e32 v17, v18, v17
	s_delay_alu instid0(VALU_DEP_1) | instskip(NEXT) | instid1(VALU_DEP_1)
	v_mul_f32_e32 v18, v19, v17
	v_fma_f32 v39, -v16, v18, v19
	s_delay_alu instid0(VALU_DEP_1) | instskip(NEXT) | instid1(VALU_DEP_1)
	v_fmac_f32_e32 v18, v39, v17
	v_fma_f32 v16, -v16, v18, v19
	s_delay_alu instid0(VALU_DEP_1) | instskip(NEXT) | instid1(VALU_DEP_1)
	v_div_fmas_f32 v16, v16, v17, v18
	v_div_fixup_f32 v7, v16, v14, v7
	s_delay_alu instid0(VALU_DEP_1) | instskip(NEXT) | instid1(VALU_DEP_1)
	v_fma_f32 v7, v7, v7, 1.0
	v_mul_f32_e32 v16, 0x4f800000, v7
	v_cmp_gt_f32_e32 vcc_lo, 0xf800000, v7
	s_delay_alu instid0(VALU_DEP_2) | instskip(NEXT) | instid1(VALU_DEP_1)
	v_cndmask_b32_e32 v7, v7, v16, vcc_lo
	v_sqrt_f32_e32 v16, v7
	s_waitcnt_depctr 0xfff
	v_add_nc_u32_e32 v17, -1, v16
	v_add_nc_u32_e32 v18, 1, v16
	s_delay_alu instid0(VALU_DEP_2) | instskip(NEXT) | instid1(VALU_DEP_2)
	v_fma_f32 v19, -v17, v16, v7
	v_fma_f32 v39, -v18, v16, v7
	s_delay_alu instid0(VALU_DEP_2) | instskip(NEXT) | instid1(VALU_DEP_1)
	v_cmp_ge_f32_e64 s13, 0, v19
	v_cndmask_b32_e64 v16, v16, v17, s13
	s_delay_alu instid0(VALU_DEP_3) | instskip(NEXT) | instid1(VALU_DEP_1)
	v_cmp_lt_f32_e64 s13, 0, v39
	v_cndmask_b32_e64 v16, v16, v18, s13
	s_delay_alu instid0(VALU_DEP_1) | instskip(NEXT) | instid1(VALU_DEP_1)
	v_mul_f32_e32 v17, 0x37800000, v16
	v_cndmask_b32_e32 v16, v16, v17, vcc_lo
	v_cmp_class_f32_e64 vcc_lo, v7, 0x260
	s_delay_alu instid0(VALU_DEP_2) | instskip(NEXT) | instid1(VALU_DEP_1)
	v_cndmask_b32_e32 v7, v16, v7, vcc_lo
	v_mul_f32_e32 v16, v14, v7
.LBB38_117:                             ;   in Loop: Header=BB38_12 Depth=3
	s_or_b32 exec_lo, exec_lo, s79
                                        ; implicit-def: $vgpr7
                                        ; implicit-def: $vgpr14
	s_and_not1_saveexec_b32 s78, s78
	s_cbranch_execz .LBB38_57
.LBB38_118:                             ;   in Loop: Header=BB38_12 Depth=3
	v_div_scale_f32 v16, null, v7, v7, v14
	v_div_scale_f32 v19, vcc_lo, v14, v7, v14
	s_delay_alu instid0(VALU_DEP_2) | instskip(SKIP_2) | instid1(VALU_DEP_1)
	v_rcp_f32_e32 v17, v16
	s_waitcnt_depctr 0xfff
	v_fma_f32 v18, -v16, v17, 1.0
	v_fmac_f32_e32 v17, v18, v17
	s_delay_alu instid0(VALU_DEP_1) | instskip(NEXT) | instid1(VALU_DEP_1)
	v_mul_f32_e32 v18, v19, v17
	v_fma_f32 v39, -v16, v18, v19
	s_delay_alu instid0(VALU_DEP_1) | instskip(NEXT) | instid1(VALU_DEP_1)
	v_fmac_f32_e32 v18, v39, v17
	v_fma_f32 v16, -v16, v18, v19
	s_delay_alu instid0(VALU_DEP_1) | instskip(NEXT) | instid1(VALU_DEP_1)
	v_div_fmas_f32 v16, v16, v17, v18
	v_div_fixup_f32 v14, v16, v7, v14
	s_delay_alu instid0(VALU_DEP_1) | instskip(NEXT) | instid1(VALU_DEP_1)
	v_fma_f32 v14, v14, v14, 1.0
	v_mul_f32_e32 v16, 0x4f800000, v14
	v_cmp_gt_f32_e32 vcc_lo, 0xf800000, v14
	s_delay_alu instid0(VALU_DEP_2) | instskip(NEXT) | instid1(VALU_DEP_1)
	v_cndmask_b32_e32 v14, v14, v16, vcc_lo
	v_sqrt_f32_e32 v16, v14
	s_waitcnt_depctr 0xfff
	v_add_nc_u32_e32 v17, -1, v16
	v_add_nc_u32_e32 v18, 1, v16
	s_delay_alu instid0(VALU_DEP_2) | instskip(NEXT) | instid1(VALU_DEP_2)
	v_fma_f32 v19, -v17, v16, v14
	v_fma_f32 v39, -v18, v16, v14
	s_delay_alu instid0(VALU_DEP_2) | instskip(NEXT) | instid1(VALU_DEP_1)
	v_cmp_ge_f32_e64 s13, 0, v19
	v_cndmask_b32_e64 v16, v16, v17, s13
	s_delay_alu instid0(VALU_DEP_3) | instskip(NEXT) | instid1(VALU_DEP_1)
	v_cmp_lt_f32_e64 s13, 0, v39
	v_cndmask_b32_e64 v16, v16, v18, s13
	s_delay_alu instid0(VALU_DEP_1) | instskip(NEXT) | instid1(VALU_DEP_1)
	v_mul_f32_e32 v17, 0x37800000, v16
	v_cndmask_b32_e32 v16, v16, v17, vcc_lo
	v_cmp_class_f32_e64 vcc_lo, v14, 0x260
	s_delay_alu instid0(VALU_DEP_2) | instskip(NEXT) | instid1(VALU_DEP_1)
	v_cndmask_b32_e32 v14, v16, v14, vcc_lo
	v_mul_f32_e32 v16, v7, v14
	s_or_b32 exec_lo, exec_lo, s78
	s_delay_alu instid0(VALU_DEP_1) | instskip(NEXT) | instid1(VALU_DEP_1)
	v_cmp_class_f32_e64 s78, v16, 0x1f8
	s_and_saveexec_b32 s13, s78
	s_cbranch_execnz .LBB38_58
	s_branch .LBB38_59
.LBB38_119:                             ;   in Loop: Header=BB38_3 Depth=1
	v_xor_b32_e32 v6, 4, v22
	v_xor_b32_e32 v5, 2, v22
	;; [unrolled: 1-line block ×3, first 2 shown]
	s_and_b32 vcc_lo, exec_lo, s60
	s_cbranch_vccnz .LBB38_122
; %bb.120:                              ;   in Loop: Header=BB38_3 Depth=1
	s_and_not1_b32 vcc_lo, exec_lo, s33
	s_cbranch_vccz .LBB38_139
.LBB38_121:                             ;   in Loop: Header=BB38_3 Depth=1
	s_and_saveexec_b32 s13, s9
	s_cbranch_execnz .LBB38_156
	s_branch .LBB38_167
.LBB38_122:                             ;   in Loop: Header=BB38_3 Depth=1
	v_cmp_gt_i32_e32 vcc_lo, 32, v6
	v_cndmask_b32_e32 v7, v22, v6, vcc_lo
	v_cmp_gt_i32_e32 vcc_lo, 32, v5
	v_cndmask_b32_e32 v8, v22, v5, vcc_lo
	s_delay_alu instid0(VALU_DEP_1) | instskip(NEXT) | instid1(VALU_DEP_4)
	v_lshlrev_b32_e32 v8, 2, v8
	v_lshlrev_b32_e32 v7, 2, v7
	ds_bpermute_b32 v7, v7, v2
	s_waitcnt lgkmcnt(0)
	v_cmp_lt_f32_e32 vcc_lo, v2, v7
	v_cndmask_b32_e32 v2, v2, v7, vcc_lo
	v_cmp_gt_i32_e32 vcc_lo, 32, v3
	ds_bpermute_b32 v7, v8, v2
	v_cndmask_b32_e32 v8, v22, v3, vcc_lo
	s_waitcnt lgkmcnt(0)
	v_cmp_lt_f32_e32 vcc_lo, v2, v7
	s_delay_alu instid0(VALU_DEP_2)
	v_dual_cndmask_b32 v2, v2, v7 :: v_dual_lshlrev_b32 v7, 2, v8
	ds_bpermute_b32 v7, v7, v2
	s_and_saveexec_b32 s12, s2
	s_cbranch_execz .LBB38_124
; %bb.123:                              ;   in Loop: Header=BB38_3 Depth=1
	s_waitcnt lgkmcnt(0)
	v_cmp_lt_f32_e32 vcc_lo, v2, v7
	v_cndmask_b32_e32 v2, v2, v7, vcc_lo
	ds_store_b32 v25, v2
.LBB38_124:                             ;   in Loop: Header=BB38_3 Depth=1
	s_or_b32 exec_lo, exec_lo, s12
	s_waitcnt lgkmcnt(0)
	s_waitcnt_vscnt null, 0x0
	s_barrier
	buffer_gl0_inv
	s_and_saveexec_b32 s12, s3
	s_cbranch_execz .LBB38_126
; %bb.125:                              ;   in Loop: Header=BB38_3 Depth=1
	ds_load_2addr_stride64_b32 v[7:8], v20 offset1:1
	s_waitcnt lgkmcnt(0)
	v_cmp_lt_f32_e32 vcc_lo, v7, v8
	v_cndmask_b32_e32 v2, v7, v8, vcc_lo
	ds_store_b32 v20, v2
.LBB38_126:                             ;   in Loop: Header=BB38_3 Depth=1
	s_or_b32 exec_lo, exec_lo, s12
	s_waitcnt lgkmcnt(0)
	s_barrier
	buffer_gl0_inv
	s_and_saveexec_b32 s12, s4
	s_cbranch_execz .LBB38_128
; %bb.127:                              ;   in Loop: Header=BB38_3 Depth=1
	ds_load_2addr_b32 v[7:8], v20 offset1:32
	s_waitcnt lgkmcnt(0)
	v_cmp_lt_f32_e32 vcc_lo, v7, v8
	v_cndmask_b32_e32 v2, v7, v8, vcc_lo
	ds_store_b32 v20, v2
.LBB38_128:                             ;   in Loop: Header=BB38_3 Depth=1
	s_or_b32 exec_lo, exec_lo, s12
	s_waitcnt lgkmcnt(0)
	s_barrier
	buffer_gl0_inv
	s_and_saveexec_b32 s12, s5
	s_cbranch_execz .LBB38_130
; %bb.129:                              ;   in Loop: Header=BB38_3 Depth=1
	ds_load_2addr_b32 v[7:8], v20 offset1:16
	s_waitcnt lgkmcnt(0)
	v_cmp_lt_f32_e32 vcc_lo, v7, v8
	v_cndmask_b32_e32 v2, v7, v8, vcc_lo
	ds_store_b32 v20, v2
.LBB38_130:                             ;   in Loop: Header=BB38_3 Depth=1
	;; [unrolled: 13-line block ×5, first 2 shown]
	s_or_b32 exec_lo, exec_lo, s12
	s_waitcnt lgkmcnt(0)
	s_barrier
	buffer_gl0_inv
	s_and_saveexec_b32 s12, s10
	s_cbranch_execz .LBB38_138
; %bb.137:                              ;   in Loop: Header=BB38_3 Depth=1
	ds_load_b64 v[7:8], v29
	s_waitcnt lgkmcnt(0)
	v_cmp_lt_f32_e32 vcc_lo, v7, v8
	v_cndmask_b32_e32 v2, v7, v8, vcc_lo
	ds_store_b32 v29, v2
.LBB38_138:                             ;   in Loop: Header=BB38_3 Depth=1
	s_or_b32 exec_lo, exec_lo, s12
	s_waitcnt lgkmcnt(0)
	s_barrier
	buffer_gl0_inv
	ds_load_b32 v2, v29
	s_load_b32 s12, s[58:59], 0x0
	s_waitcnt lgkmcnt(0)
	v_div_scale_f32 v7, null, s12, s12, v2
	s_delay_alu instid0(VALU_DEP_1) | instskip(SKIP_2) | instid1(VALU_DEP_1)
	v_rcp_f32_e32 v8, v7
	s_waitcnt_depctr 0xfff
	v_fma_f32 v9, -v7, v8, 1.0
	v_fmac_f32_e32 v8, v9, v8
	v_div_scale_f32 v9, vcc_lo, v2, s12, v2
	s_delay_alu instid0(VALU_DEP_1) | instskip(NEXT) | instid1(VALU_DEP_1)
	v_mul_f32_e32 v10, v9, v8
	v_fma_f32 v11, -v7, v10, v9
	s_delay_alu instid0(VALU_DEP_1) | instskip(NEXT) | instid1(VALU_DEP_1)
	v_fmac_f32_e32 v10, v11, v8
	v_fma_f32 v7, -v7, v10, v9
	s_delay_alu instid0(VALU_DEP_1) | instskip(NEXT) | instid1(VALU_DEP_1)
	v_div_fmas_f32 v7, v7, v8, v10
	v_div_fixup_f32 v2, v7, s12, v2
	s_and_not1_b32 vcc_lo, exec_lo, s33
	s_cbranch_vccnz .LBB38_121
.LBB38_139:                             ;   in Loop: Header=BB38_3 Depth=1
	v_cmp_gt_i32_e32 vcc_lo, 32, v6
	v_cndmask_b32_e32 v6, v22, v6, vcc_lo
	v_cmp_gt_i32_e32 vcc_lo, 32, v5
	v_cndmask_b32_e32 v5, v22, v5, vcc_lo
	s_delay_alu instid0(VALU_DEP_1) | instskip(NEXT) | instid1(VALU_DEP_4)
	v_lshlrev_b32_e32 v5, 2, v5
	v_lshlrev_b32_e32 v6, 2, v6
	ds_bpermute_b32 v6, v6, v1
	s_waitcnt lgkmcnt(0)
	v_cmp_lt_f32_e32 vcc_lo, v1, v6
	v_cndmask_b32_e32 v1, v1, v6, vcc_lo
	v_cmp_gt_i32_e32 vcc_lo, 32, v3
	ds_bpermute_b32 v5, v5, v1
	v_cndmask_b32_e32 v3, v22, v3, vcc_lo
	s_delay_alu instid0(VALU_DEP_1)
	v_lshlrev_b32_e32 v3, 2, v3
	s_waitcnt lgkmcnt(0)
	v_cmp_lt_f32_e32 vcc_lo, v1, v5
	v_cndmask_b32_e32 v1, v1, v5, vcc_lo
	ds_bpermute_b32 v3, v3, v1
	s_and_saveexec_b32 s12, s2
	s_cbranch_execz .LBB38_141
; %bb.140:                              ;   in Loop: Header=BB38_3 Depth=1
	s_waitcnt lgkmcnt(0)
	v_cmp_lt_f32_e32 vcc_lo, v1, v3
	v_cndmask_b32_e32 v1, v1, v3, vcc_lo
	ds_store_b32 v25, v1
.LBB38_141:                             ;   in Loop: Header=BB38_3 Depth=1
	s_or_b32 exec_lo, exec_lo, s12
	s_waitcnt lgkmcnt(0)
	s_waitcnt_vscnt null, 0x0
	s_barrier
	buffer_gl0_inv
	s_and_saveexec_b32 s12, s3
	s_cbranch_execz .LBB38_143
; %bb.142:                              ;   in Loop: Header=BB38_3 Depth=1
	ds_load_2addr_stride64_b32 v[5:6], v20 offset1:1
	s_waitcnt lgkmcnt(0)
	v_cmp_lt_f32_e32 vcc_lo, v5, v6
	v_cndmask_b32_e32 v1, v5, v6, vcc_lo
	ds_store_b32 v20, v1
.LBB38_143:                             ;   in Loop: Header=BB38_3 Depth=1
	s_or_b32 exec_lo, exec_lo, s12
	s_waitcnt lgkmcnt(0)
	s_barrier
	buffer_gl0_inv
	s_and_saveexec_b32 s12, s4
	s_cbranch_execz .LBB38_145
; %bb.144:                              ;   in Loop: Header=BB38_3 Depth=1
	ds_load_2addr_b32 v[5:6], v20 offset1:32
	s_waitcnt lgkmcnt(0)
	v_cmp_lt_f32_e32 vcc_lo, v5, v6
	v_cndmask_b32_e32 v1, v5, v6, vcc_lo
	ds_store_b32 v20, v1
.LBB38_145:                             ;   in Loop: Header=BB38_3 Depth=1
	s_or_b32 exec_lo, exec_lo, s12
	s_waitcnt lgkmcnt(0)
	s_barrier
	buffer_gl0_inv
	s_and_saveexec_b32 s12, s5
	s_cbranch_execz .LBB38_147
; %bb.146:                              ;   in Loop: Header=BB38_3 Depth=1
	ds_load_2addr_b32 v[5:6], v20 offset1:16
	s_waitcnt lgkmcnt(0)
	v_cmp_lt_f32_e32 vcc_lo, v5, v6
	v_cndmask_b32_e32 v1, v5, v6, vcc_lo
	ds_store_b32 v20, v1
.LBB38_147:                             ;   in Loop: Header=BB38_3 Depth=1
	;; [unrolled: 13-line block ×5, first 2 shown]
	s_or_b32 exec_lo, exec_lo, s12
	s_waitcnt lgkmcnt(0)
	s_barrier
	buffer_gl0_inv
	s_and_saveexec_b32 s12, s10
	s_cbranch_execz .LBB38_155
; %bb.154:                              ;   in Loop: Header=BB38_3 Depth=1
	ds_load_b64 v[5:6], v29
	s_waitcnt lgkmcnt(0)
	v_cmp_lt_f32_e32 vcc_lo, v5, v6
	v_cndmask_b32_e32 v1, v5, v6, vcc_lo
	ds_store_b32 v29, v1
.LBB38_155:                             ;   in Loop: Header=BB38_3 Depth=1
	s_or_b32 exec_lo, exec_lo, s12
	s_waitcnt lgkmcnt(0)
	s_barrier
	buffer_gl0_inv
	ds_load_b32 v1, v29
	s_load_b32 s12, s[58:59], 0x0
	s_waitcnt lgkmcnt(0)
	v_div_scale_f32 v3, null, s12, s12, v1
	s_delay_alu instid0(VALU_DEP_1) | instskip(SKIP_2) | instid1(VALU_DEP_1)
	v_rcp_f32_e32 v5, v3
	s_waitcnt_depctr 0xfff
	v_fma_f32 v6, -v3, v5, 1.0
	v_fmac_f32_e32 v5, v6, v5
	v_div_scale_f32 v6, vcc_lo, v1, s12, v1
	s_delay_alu instid0(VALU_DEP_1) | instskip(NEXT) | instid1(VALU_DEP_1)
	v_mul_f32_e32 v7, v6, v5
	v_fma_f32 v8, -v3, v7, v6
	s_delay_alu instid0(VALU_DEP_1) | instskip(NEXT) | instid1(VALU_DEP_1)
	v_fmac_f32_e32 v7, v8, v5
	v_fma_f32 v3, -v3, v7, v6
	s_delay_alu instid0(VALU_DEP_1) | instskip(NEXT) | instid1(VALU_DEP_1)
	v_div_fmas_f32 v3, v3, v5, v7
	v_div_fixup_f32 v1, v3, s12, v1
	s_and_saveexec_b32 s13, s9
	s_cbranch_execz .LBB38_167
.LBB38_156:                             ;   in Loop: Header=BB38_3 Depth=1
	v_mov_b32_e32 v5, v24
	s_mov_b32 s14, 0
	s_branch .LBB38_158
.LBB38_157:                             ;   in Loop: Header=BB38_158 Depth=2
	s_or_b32 exec_lo, exec_lo, s69
	v_add_nc_u32_e32 v5, 0x80, v5
	s_delay_alu instid0(VALU_DEP_1) | instskip(SKIP_1) | instid1(SALU_CYCLE_1)
	v_cmp_le_u32_e32 vcc_lo, s65, v5
	s_or_b32 s14, vcc_lo, s14
	s_and_not1_b32 exec_lo, exec_lo, s14
	s_cbranch_execz .LBB38_167
.LBB38_158:                             ;   Parent Loop BB38_3 Depth=1
                                        ; =>  This Loop Header: Depth=2
                                        ;       Child Loop BB38_161 Depth 3
                                        ;       Child Loop BB38_164 Depth 3
	s_mov_b32 s69, exec_lo
	s_delay_alu instid0(VALU_DEP_1)
	v_cmpx_gt_i32_e64 s53, v5
	s_cbranch_execz .LBB38_157
; %bb.159:                              ;   in Loop: Header=BB38_158 Depth=2
	v_ashrrev_i32_e32 v6, 31, v5
	s_mov_b32 s70, exec_lo
	s_delay_alu instid0(VALU_DEP_1) | instskip(NEXT) | instid1(VALU_DEP_1)
	v_lshlrev_b64 v[7:8], 2, v[5:6]
	v_add_co_u32 v9, vcc_lo, s24, v7
	s_delay_alu instid0(VALU_DEP_2)
	v_add_co_ci_u32_e32 v10, vcc_lo, s25, v8, vcc_lo
	v_add_co_u32 v11, vcc_lo, s26, v7
	v_add_co_ci_u32_e32 v12, vcc_lo, s27, v8, vcc_lo
	global_load_b32 v3, v[9:10], off
	global_load_b32 v10, v[11:12], off
	s_waitcnt vmcnt(1)
	v_add_nc_u32_e32 v9, v27, v3
	s_waitcnt vmcnt(0)
	v_subrev_nc_u32_e32 v3, s63, v10
	s_delay_alu instid0(VALU_DEP_1)
	v_cmpx_lt_i32_e64 v9, v3
	s_cbranch_execz .LBB38_162
; %bb.160:                              ;   in Loop: Header=BB38_158 Depth=2
	v_ashrrev_i32_e32 v10, 31, v9
	s_mov_b32 s71, 0
	s_delay_alu instid0(VALU_DEP_1) | instskip(NEXT) | instid1(VALU_DEP_1)
	v_lshlrev_b64 v[12:13], 3, v[9:10]
	v_add_co_u32 v10, vcc_lo, s56, v12
	s_delay_alu instid0(VALU_DEP_2)
	v_add_co_ci_u32_e32 v11, vcc_lo, s57, v13, vcc_lo
	v_add_co_u32 v12, vcc_lo, s30, v12
	v_add_co_ci_u32_e32 v13, vcc_lo, s31, v13, vcc_lo
.LBB38_161:                             ;   Parent Loop BB38_3 Depth=1
                                        ;     Parent Loop BB38_158 Depth=2
                                        ; =>    This Inner Loop Header: Depth=3
	global_load_b64 v[14:15], v[10:11], off
	v_add_nc_u32_e32 v9, 8, v9
	v_add_co_u32 v10, vcc_lo, v10, 64
	v_add_co_ci_u32_e32 v11, vcc_lo, 0, v11, vcc_lo
	s_delay_alu instid0(VALU_DEP_3) | instskip(SKIP_4) | instid1(VALU_DEP_1)
	v_cmp_ge_i32_e32 vcc_lo, v9, v3
	s_or_b32 s71, vcc_lo, s71
	s_waitcnt vmcnt(0)
	global_store_b64 v[12:13], v[14:15], off
	v_add_co_u32 v12, s12, v12, 64
	v_add_co_ci_u32_e64 v13, s12, 0, v13, s12
	s_and_not1_b32 exec_lo, exec_lo, s71
	s_cbranch_execnz .LBB38_161
.LBB38_162:                             ;   in Loop: Header=BB38_158 Depth=2
	s_or_b32 exec_lo, exec_lo, s70
	v_add_co_u32 v9, vcc_lo, s16, v7
	v_add_co_ci_u32_e32 v10, vcc_lo, s17, v8, vcc_lo
	v_add_co_u32 v7, vcc_lo, s18, v7
	v_add_co_ci_u32_e32 v8, vcc_lo, s19, v8, vcc_lo
	s_mov_b32 s70, exec_lo
	global_load_b32 v3, v[9:10], off
	global_load_b32 v8, v[7:8], off
	s_waitcnt vmcnt(1)
	v_add_nc_u32_e32 v7, v28, v3
	s_waitcnt vmcnt(0)
	v_subrev_nc_u32_e32 v3, s64, v8
	s_delay_alu instid0(VALU_DEP_1)
	v_cmpx_lt_i32_e64 v7, v3
	s_cbranch_execz .LBB38_165
; %bb.163:                              ;   in Loop: Header=BB38_158 Depth=2
	v_ashrrev_i32_e32 v8, 31, v7
	s_mov_b32 s71, 0
	s_delay_alu instid0(VALU_DEP_1) | instskip(NEXT) | instid1(VALU_DEP_1)
	v_lshlrev_b64 v[10:11], 3, v[7:8]
	v_add_co_u32 v8, vcc_lo, s54, v10
	s_delay_alu instid0(VALU_DEP_2)
	v_add_co_ci_u32_e32 v9, vcc_lo, s55, v11, vcc_lo
	v_add_co_u32 v10, vcc_lo, s22, v10
	v_add_co_ci_u32_e32 v11, vcc_lo, s23, v11, vcc_lo
.LBB38_164:                             ;   Parent Loop BB38_3 Depth=1
                                        ;     Parent Loop BB38_158 Depth=2
                                        ; =>    This Inner Loop Header: Depth=3
	global_load_b64 v[12:13], v[8:9], off
	v_add_nc_u32_e32 v7, 8, v7
	v_add_co_u32 v8, vcc_lo, v8, 64
	v_add_co_ci_u32_e32 v9, vcc_lo, 0, v9, vcc_lo
	s_delay_alu instid0(VALU_DEP_3) | instskip(SKIP_4) | instid1(VALU_DEP_1)
	v_cmp_ge_i32_e32 vcc_lo, v7, v3
	s_or_b32 s71, vcc_lo, s71
	s_waitcnt vmcnt(0)
	global_store_b64 v[10:11], v[12:13], off
	v_add_co_u32 v10, s12, v10, 64
	v_add_co_ci_u32_e64 v11, s12, 0, v11, s12
	s_and_not1_b32 exec_lo, exec_lo, s71
	s_cbranch_execnz .LBB38_164
.LBB38_165:                             ;   in Loop: Header=BB38_158 Depth=2
	s_or_b32 exec_lo, exec_lo, s70
	s_delay_alu instid0(SALU_CYCLE_1)
	s_and_b32 exec_lo, exec_lo, s11
	s_cbranch_execz .LBB38_157
; %bb.166:                              ;   in Loop: Header=BB38_158 Depth=2
	v_lshlrev_b64 v[6:7], 3, v[5:6]
	s_delay_alu instid0(VALU_DEP_1) | instskip(NEXT) | instid1(VALU_DEP_2)
	v_add_co_u32 v8, vcc_lo, s50, v6
	v_add_co_ci_u32_e32 v9, vcc_lo, s51, v7, vcc_lo
	v_add_co_u32 v6, vcc_lo, s48, v6
	v_add_co_ci_u32_e32 v7, vcc_lo, s49, v7, vcc_lo
	global_load_b64 v[8:9], v[8:9], off
	s_waitcnt vmcnt(0)
	global_store_b64 v[6:7], v[8:9], off
	s_branch .LBB38_157
.LBB38_167:                             ;   in Loop: Header=BB38_3 Depth=1
	s_or_b32 exec_lo, exec_lo, s13
	s_mov_b32 s13, -1
	s_and_b32 vcc_lo, exec_lo, s61
	s_mov_b32 s12, -1
	s_cbranch_vccz .LBB38_177
; %bb.168:                              ;   in Loop: Header=BB38_3 Depth=1
	s_and_b32 vcc_lo, exec_lo, s67
                                        ; implicit-def: $sgpr14
	s_cbranch_vccz .LBB38_174
; %bb.169:                              ;   in Loop: Header=BB38_3 Depth=1
	s_and_b32 vcc_lo, exec_lo, s66
                                        ; implicit-def: $sgpr14
	s_cbranch_vccz .LBB38_171
; %bb.170:                              ;   in Loop: Header=BB38_3 Depth=1
	v_cmp_ge_f32_e32 vcc_lo, s52, v1
	s_mov_b32 s12, 0
	s_and_b32 s14, vcc_lo, exec_lo
.LBB38_171:                             ;   in Loop: Header=BB38_3 Depth=1
	s_and_not1_b32 vcc_lo, exec_lo, s12
	s_cbranch_vccnz .LBB38_173
; %bb.172:                              ;   in Loop: Header=BB38_3 Depth=1
	v_cmp_ge_f32_e32 vcc_lo, s52, v2
	s_and_not1_b32 s12, s14, exec_lo
	s_and_b32 s14, vcc_lo, exec_lo
	s_delay_alu instid0(SALU_CYCLE_1)
	s_or_b32 s14, s12, s14
.LBB38_173:                             ;   in Loop: Header=BB38_3 Depth=1
	s_mov_b32 s12, 0
.LBB38_174:                             ;   in Loop: Header=BB38_3 Depth=1
	s_delay_alu instid0(SALU_CYCLE_1)
	s_and_not1_b32 vcc_lo, exec_lo, s12
	s_cbranch_vccnz .LBB38_176
; %bb.175:                              ;   in Loop: Header=BB38_3 Depth=1
	v_cmp_ge_f32_e32 vcc_lo, s52, v2
	v_cmp_ge_f32_e64 s12, s52, v1
	s_and_not1_b32 s14, s14, exec_lo
	s_delay_alu instid0(VALU_DEP_1) | instskip(NEXT) | instid1(SALU_CYCLE_1)
	s_and_b32 s12, vcc_lo, s12
	s_and_b32 s12, s12, exec_lo
	s_delay_alu instid0(SALU_CYCLE_1)
	s_or_b32 s14, s14, s12
.LBB38_176:                             ;   in Loop: Header=BB38_3 Depth=1
	s_delay_alu instid0(SALU_CYCLE_1)
	s_xor_b32 s12, s14, -1
.LBB38_177:                             ;   in Loop: Header=BB38_3 Depth=1
	v_mov_b32_e32 v3, s68
	s_and_saveexec_b32 s14, s12
	s_cbranch_execz .LBB38_2
; %bb.178:                              ;   in Loop: Header=BB38_3 Depth=1
	s_add_i32 s68, s68, 1
	v_mov_b32_e32 v3, s35
	s_cmp_eq_u32 s68, s35
	s_cselect_b32 s12, -1, 0
	s_delay_alu instid0(SALU_CYCLE_1)
	s_or_not1_b32 s13, s12, exec_lo
	s_branch .LBB38_2
.LBB38_179:
	s_or_b32 exec_lo, exec_lo, s34
.LBB38_180:
	s_delay_alu instid0(SALU_CYCLE_1) | instskip(NEXT) | instid1(SALU_CYCLE_1)
	s_or_b32 exec_lo, exec_lo, s15
	s_and_not1_b32 vcc_lo, exec_lo, s61
	s_cbranch_vccnz .LBB38_201
; %bb.181:
	v_xor_b32_e32 v4, 4, v22
	v_xor_b32_e32 v5, 2, v22
	s_mov_b32 s2, exec_lo
	s_delay_alu instid0(VALU_DEP_2) | instskip(SKIP_1) | instid1(VALU_DEP_3)
	v_cmp_gt_i32_e32 vcc_lo, 32, v4
	v_cndmask_b32_e32 v4, v22, v4, vcc_lo
	v_cmp_gt_i32_e32 vcc_lo, 32, v5
	v_cndmask_b32_e32 v5, v22, v5, vcc_lo
	s_delay_alu instid0(VALU_DEP_1) | instskip(NEXT) | instid1(VALU_DEP_4)
	v_lshlrev_b32_e32 v5, 2, v5
	v_lshlrev_b32_e32 v4, 2, v4
	ds_bpermute_b32 v4, v4, v3
	s_waitcnt lgkmcnt(0)
	v_max_i32_e32 v3, v3, v4
	ds_bpermute_b32 v4, v5, v3
	v_xor_b32_e32 v5, 1, v22
	s_delay_alu instid0(VALU_DEP_1) | instskip(SKIP_3) | instid1(VALU_DEP_2)
	v_cmp_gt_i32_e32 vcc_lo, 32, v5
	v_cndmask_b32_e32 v5, v22, v5, vcc_lo
	s_waitcnt lgkmcnt(0)
	v_max_i32_e32 v3, v3, v4
	v_lshlrev_b32_e32 v4, 2, v5
	ds_bpermute_b32 v4, v4, v3
	v_cmpx_eq_u32_e32 7, v23
	s_cbranch_execz .LBB38_183
; %bb.182:
	v_lshlrev_b32_e32 v5, 2, v21
	s_waitcnt lgkmcnt(0)
	v_max_i32_e32 v3, v3, v4
	ds_store_b32 v5, v3 offset:512
.LBB38_183:
	s_or_b32 exec_lo, exec_lo, s2
	s_delay_alu instid0(SALU_CYCLE_1)
	s_mov_b32 s2, exec_lo
	s_waitcnt lgkmcnt(0)
	s_waitcnt_vscnt null, 0x0
	s_barrier
	buffer_gl0_inv
	v_cmpx_gt_u32_e32 64, v0
	s_cbranch_execz .LBB38_185
; %bb.184:
	ds_load_2addr_stride64_b32 v[3:4], v20 offset0:2 offset1:3
	s_waitcnt lgkmcnt(0)
	v_max_i32_e32 v3, v3, v4
	ds_store_b32 v20, v3 offset:512
.LBB38_185:
	s_or_b32 exec_lo, exec_lo, s2
	s_delay_alu instid0(SALU_CYCLE_1)
	s_mov_b32 s2, exec_lo
	s_waitcnt lgkmcnt(0)
	s_barrier
	buffer_gl0_inv
	v_cmpx_gt_u32_e32 32, v0
	s_cbranch_execz .LBB38_187
; %bb.186:
	ds_load_2addr_b32 v[3:4], v20 offset0:128 offset1:160
	s_waitcnt lgkmcnt(0)
	v_max_i32_e32 v3, v3, v4
	ds_store_b32 v20, v3 offset:512
.LBB38_187:
	s_or_b32 exec_lo, exec_lo, s2
	s_delay_alu instid0(SALU_CYCLE_1)
	s_mov_b32 s2, exec_lo
	s_waitcnt lgkmcnt(0)
	s_barrier
	buffer_gl0_inv
	v_cmpx_gt_u32_e32 16, v0
	s_cbranch_execz .LBB38_189
; %bb.188:
	ds_load_2addr_b32 v[3:4], v20 offset0:128 offset1:144
	s_waitcnt lgkmcnt(0)
	v_max_i32_e32 v3, v3, v4
	ds_store_b32 v20, v3 offset:512
.LBB38_189:
	;; [unrolled: 14-line block ×5, first 2 shown]
	s_or_b32 exec_lo, exec_lo, s2
	v_cmp_eq_u32_e32 vcc_lo, 0, v0
	s_waitcnt lgkmcnt(0)
	s_barrier
	buffer_gl0_inv
	s_and_saveexec_b32 s2, vcc_lo
	s_cbranch_execz .LBB38_197
; %bb.196:
	v_mov_b32_e32 v5, 0
	ds_load_b64 v[3:4], v5 offset:512
	s_waitcnt lgkmcnt(0)
	v_max_i32_e32 v3, v3, v4
	ds_store_b32 v5, v3 offset:512
.LBB38_197:
	s_or_b32 exec_lo, exec_lo, s2
	s_waitcnt lgkmcnt(0)
	s_barrier
	buffer_gl0_inv
	s_and_saveexec_b32 s2, vcc_lo
	s_cbranch_execz .LBB38_200
; %bb.198:
	v_mbcnt_lo_u32_b32 v3, exec_lo, 0
	s_delay_alu instid0(VALU_DEP_1)
	v_cmp_eq_u32_e32 vcc_lo, 0, v3
	s_and_b32 exec_lo, exec_lo, vcc_lo
	s_cbranch_execz .LBB38_200
; %bb.199:
	v_mov_b32_e32 v3, 0
	s_load_b64 s[0:1], s[0:1], 0x8
	ds_load_b32 v4, v3 offset:512
	s_waitcnt lgkmcnt(0)
	v_add_nc_u32_e32 v4, 1, v4
	global_atomic_max_i32 v3, v4, s[0:1]
.LBB38_200:
	s_or_b32 exec_lo, exec_lo, s2
.LBB38_201:
	v_cmp_eq_u32_e32 vcc_lo, 0, v0
	s_mov_b32 s2, 0
	s_and_b32 s0, vcc_lo, s60
	s_delay_alu instid0(SALU_CYCLE_1)
	s_and_saveexec_b32 s3, s0
	s_cbranch_execz .LBB38_206
; %bb.202:
	v_mov_b32_e32 v0, 0
	v_cmp_eq_f32_e64 s0, 0, v2
                                        ; implicit-def: $sgpr4
                                        ; implicit-def: $sgpr5
	global_load_b32 v3, v0, s[44:45] glc
	s_waitcnt vmcnt(0)
	v_cmp_eq_u32_e64 s6, 0x80000000, v3
	s_set_inst_prefetch_distance 0x1
	s_branch .LBB38_204
	.p2align	6
.LBB38_203:                             ;   in Loop: Header=BB38_204 Depth=1
	s_or_b32 exec_lo, exec_lo, s7
	s_delay_alu instid0(SALU_CYCLE_1) | instskip(NEXT) | instid1(SALU_CYCLE_1)
	s_and_b32 s1, exec_lo, s4
	s_or_b32 s2, s1, s2
	s_and_not1_b32 s1, s6, exec_lo
	s_and_b32 s6, s5, exec_lo
	s_delay_alu instid0(SALU_CYCLE_1)
	s_or_b32 s6, s1, s6
	s_and_not1_b32 exec_lo, exec_lo, s2
	s_cbranch_execz .LBB38_206
.LBB38_204:                             ; =>This Inner Loop Header: Depth=1
	v_cmp_lt_f32_e64 s1, v3, v2
	s_delay_alu instid0(VALU_DEP_2) | instskip(SKIP_2) | instid1(VALU_DEP_1)
	s_and_b32 s7, s0, s6
	s_and_not1_b32 s5, s5, exec_lo
	s_or_b32 s4, s4, exec_lo
	s_or_b32 s1, s1, s7
	s_delay_alu instid0(SALU_CYCLE_1)
	s_and_saveexec_b32 s7, s1
	s_cbranch_execz .LBB38_203
; %bb.205:                              ;   in Loop: Header=BB38_204 Depth=1
	global_atomic_cmpswap_b32 v4, v0, v[2:3], s[44:45] glc
	s_and_not1_b32 s5, s5, exec_lo
	s_and_not1_b32 s4, s4, exec_lo
	s_waitcnt vmcnt(0)
	v_cmp_eq_u32_e64 s1, v4, v3
	s_delay_alu instid0(VALU_DEP_1) | instskip(SKIP_1) | instid1(SALU_CYCLE_1)
	v_cndmask_b32_e64 v3, v4, v3, s1
	s_and_b32 s1, s1, exec_lo
	s_or_b32 s4, s4, s1
	s_delay_alu instid0(VALU_DEP_1) | instskip(SKIP_1) | instid1(VALU_DEP_2)
	v_cmp_class_f32_e64 s6, v3, 32
	v_mov_b32_e32 v3, v4
	s_and_b32 s6, s6, exec_lo
	s_delay_alu instid0(SALU_CYCLE_1)
	s_or_b32 s5, s5, s6
                                        ; implicit-def: $sgpr6
	s_branch .LBB38_203
.LBB38_206:
	s_set_inst_prefetch_distance 0x2
	s_or_b32 exec_lo, exec_lo, s3
	s_and_b32 s0, vcc_lo, s33
	s_delay_alu instid0(SALU_CYCLE_1)
	s_and_saveexec_b32 s1, s0
	s_cbranch_execz .LBB38_211
; %bb.207:
	v_mov_b32_e32 v0, 0
	v_cmp_eq_f32_e32 vcc_lo, 0, v1
	s_mov_b32 s1, 0
                                        ; implicit-def: $sgpr2
                                        ; implicit-def: $sgpr3
	global_load_b32 v2, v0, s[46:47] glc
	s_waitcnt vmcnt(0)
	v_cmp_eq_u32_e64 s4, 0x80000000, v2
	s_set_inst_prefetch_distance 0x1
	s_branch .LBB38_209
	.p2align	6
.LBB38_208:                             ;   in Loop: Header=BB38_209 Depth=1
	s_or_b32 exec_lo, exec_lo, s5
	s_delay_alu instid0(SALU_CYCLE_1) | instskip(NEXT) | instid1(SALU_CYCLE_1)
	s_and_b32 s0, exec_lo, s2
	s_or_b32 s1, s0, s1
	s_and_not1_b32 s0, s4, exec_lo
	s_and_b32 s4, s3, exec_lo
	s_delay_alu instid0(SALU_CYCLE_1)
	s_or_b32 s4, s0, s4
	s_and_not1_b32 exec_lo, exec_lo, s1
	s_cbranch_execz .LBB38_211
.LBB38_209:                             ; =>This Inner Loop Header: Depth=1
	v_cmp_lt_f32_e64 s0, v2, v1
	s_delay_alu instid0(VALU_DEP_2) | instskip(SKIP_2) | instid1(VALU_DEP_1)
	s_and_b32 s5, vcc_lo, s4
	s_and_not1_b32 s3, s3, exec_lo
	s_or_b32 s2, s2, exec_lo
	s_or_b32 s0, s0, s5
	s_delay_alu instid0(SALU_CYCLE_1)
	s_and_saveexec_b32 s5, s0
	s_cbranch_execz .LBB38_208
; %bb.210:                              ;   in Loop: Header=BB38_209 Depth=1
	global_atomic_cmpswap_b32 v3, v0, v[1:2], s[46:47] glc
	s_and_not1_b32 s3, s3, exec_lo
	s_and_not1_b32 s2, s2, exec_lo
	s_waitcnt vmcnt(0)
	v_cmp_eq_u32_e64 s0, v3, v2
	s_delay_alu instid0(VALU_DEP_1) | instskip(SKIP_1) | instid1(SALU_CYCLE_1)
	v_cndmask_b32_e64 v2, v3, v2, s0
	s_and_b32 s0, s0, exec_lo
	s_or_b32 s2, s2, s0
	s_delay_alu instid0(VALU_DEP_1) | instskip(SKIP_1) | instid1(VALU_DEP_2)
	v_cmp_class_f32_e64 s4, v2, 32
	v_mov_b32_e32 v2, v3
	s_and_b32 s4, s4, exec_lo
	s_delay_alu instid0(SALU_CYCLE_1)
	s_or_b32 s3, s3, s4
                                        ; implicit-def: $sgpr4
	s_branch .LBB38_208
.LBB38_211:
	s_set_inst_prefetch_distance 0x2
	s_nop 0
	s_sendmsg sendmsg(MSG_DEALLOC_VGPRS)
	s_endpgm
	.section	.rodata,"a",@progbits
	.p2align	6, 0x0
	.amdhsa_kernel _ZN9rocsparseL6kernelILi1024ELi8E21rocsparse_complex_numIfEiiEEvbbbT3_PS3_NS_15floating_traitsIT1_E6data_tES3_T2_PKS9_SB_PKS3_PKS6_21rocsparse_index_base_SB_SB_SD_PS6_SH_SG_SB_SB_SD_SH_SH_SG_SH_SH_PS8_SI_PKS8_
		.amdhsa_group_segment_fixed_size 1024
		.amdhsa_private_segment_fixed_size 0
		.amdhsa_kernarg_size 208
		.amdhsa_user_sgpr_count 15
		.amdhsa_user_sgpr_dispatch_ptr 0
		.amdhsa_user_sgpr_queue_ptr 0
		.amdhsa_user_sgpr_kernarg_segment_ptr 1
		.amdhsa_user_sgpr_dispatch_id 0
		.amdhsa_user_sgpr_private_segment_size 0
		.amdhsa_wavefront_size32 1
		.amdhsa_uses_dynamic_stack 0
		.amdhsa_enable_private_segment 0
		.amdhsa_system_sgpr_workgroup_id_x 1
		.amdhsa_system_sgpr_workgroup_id_y 0
		.amdhsa_system_sgpr_workgroup_id_z 0
		.amdhsa_system_sgpr_workgroup_info 0
		.amdhsa_system_vgpr_workitem_id 0
		.amdhsa_next_free_vgpr 44
		.amdhsa_next_free_sgpr 82
		.amdhsa_reserve_vcc 1
		.amdhsa_float_round_mode_32 0
		.amdhsa_float_round_mode_16_64 0
		.amdhsa_float_denorm_mode_32 3
		.amdhsa_float_denorm_mode_16_64 3
		.amdhsa_dx10_clamp 1
		.amdhsa_ieee_mode 1
		.amdhsa_fp16_overflow 0
		.amdhsa_workgroup_processor_mode 1
		.amdhsa_memory_ordered 1
		.amdhsa_forward_progress 0
		.amdhsa_shared_vgpr_count 0
		.amdhsa_exception_fp_ieee_invalid_op 0
		.amdhsa_exception_fp_denorm_src 0
		.amdhsa_exception_fp_ieee_div_zero 0
		.amdhsa_exception_fp_ieee_overflow 0
		.amdhsa_exception_fp_ieee_underflow 0
		.amdhsa_exception_fp_ieee_inexact 0
		.amdhsa_exception_int_div_zero 0
	.end_amdhsa_kernel
	.section	.text._ZN9rocsparseL6kernelILi1024ELi8E21rocsparse_complex_numIfEiiEEvbbbT3_PS3_NS_15floating_traitsIT1_E6data_tES3_T2_PKS9_SB_PKS3_PKS6_21rocsparse_index_base_SB_SB_SD_PS6_SH_SG_SB_SB_SD_SH_SH_SG_SH_SH_PS8_SI_PKS8_,"axG",@progbits,_ZN9rocsparseL6kernelILi1024ELi8E21rocsparse_complex_numIfEiiEEvbbbT3_PS3_NS_15floating_traitsIT1_E6data_tES3_T2_PKS9_SB_PKS3_PKS6_21rocsparse_index_base_SB_SB_SD_PS6_SH_SG_SB_SB_SD_SH_SH_SG_SH_SH_PS8_SI_PKS8_,comdat
.Lfunc_end38:
	.size	_ZN9rocsparseL6kernelILi1024ELi8E21rocsparse_complex_numIfEiiEEvbbbT3_PS3_NS_15floating_traitsIT1_E6data_tES3_T2_PKS9_SB_PKS3_PKS6_21rocsparse_index_base_SB_SB_SD_PS6_SH_SG_SB_SB_SD_SH_SH_SG_SH_SH_PS8_SI_PKS8_, .Lfunc_end38-_ZN9rocsparseL6kernelILi1024ELi8E21rocsparse_complex_numIfEiiEEvbbbT3_PS3_NS_15floating_traitsIT1_E6data_tES3_T2_PKS9_SB_PKS3_PKS6_21rocsparse_index_base_SB_SB_SD_PS6_SH_SG_SB_SB_SD_SH_SH_SG_SH_SH_PS8_SI_PKS8_
                                        ; -- End function
	.section	.AMDGPU.csdata,"",@progbits
; Kernel info:
; codeLenInByte = 10036
; NumSgprs: 84
; NumVgprs: 44
; ScratchSize: 0
; MemoryBound: 0
; FloatMode: 240
; IeeeMode: 1
; LDSByteSize: 1024 bytes/workgroup (compile time only)
; SGPRBlocks: 10
; VGPRBlocks: 5
; NumSGPRsForWavesPerEU: 84
; NumVGPRsForWavesPerEU: 44
; Occupancy: 16
; WaveLimiterHint : 1
; COMPUTE_PGM_RSRC2:SCRATCH_EN: 0
; COMPUTE_PGM_RSRC2:USER_SGPR: 15
; COMPUTE_PGM_RSRC2:TRAP_HANDLER: 0
; COMPUTE_PGM_RSRC2:TGID_X_EN: 1
; COMPUTE_PGM_RSRC2:TGID_Y_EN: 0
; COMPUTE_PGM_RSRC2:TGID_Z_EN: 0
; COMPUTE_PGM_RSRC2:TIDIG_COMP_CNT: 0
	.section	.text._ZN9rocsparseL6kernelILi1024ELi16E21rocsparse_complex_numIfEiiEEvbbbT3_PS3_NS_15floating_traitsIT1_E6data_tES3_T2_PKS9_SB_PKS3_PKS6_21rocsparse_index_base_SB_SB_SD_PS6_SH_SG_SB_SB_SD_SH_SH_SG_SH_SH_PS8_SI_PKS8_,"axG",@progbits,_ZN9rocsparseL6kernelILi1024ELi16E21rocsparse_complex_numIfEiiEEvbbbT3_PS3_NS_15floating_traitsIT1_E6data_tES3_T2_PKS9_SB_PKS3_PKS6_21rocsparse_index_base_SB_SB_SD_PS6_SH_SG_SB_SB_SD_SH_SH_SG_SH_SH_PS8_SI_PKS8_,comdat
	.globl	_ZN9rocsparseL6kernelILi1024ELi16E21rocsparse_complex_numIfEiiEEvbbbT3_PS3_NS_15floating_traitsIT1_E6data_tES3_T2_PKS9_SB_PKS3_PKS6_21rocsparse_index_base_SB_SB_SD_PS6_SH_SG_SB_SB_SD_SH_SH_SG_SH_SH_PS8_SI_PKS8_ ; -- Begin function _ZN9rocsparseL6kernelILi1024ELi16E21rocsparse_complex_numIfEiiEEvbbbT3_PS3_NS_15floating_traitsIT1_E6data_tES3_T2_PKS9_SB_PKS3_PKS6_21rocsparse_index_base_SB_SB_SD_PS6_SH_SG_SB_SB_SD_SH_SH_SG_SH_SH_PS8_SI_PKS8_
	.p2align	8
	.type	_ZN9rocsparseL6kernelILi1024ELi16E21rocsparse_complex_numIfEiiEEvbbbT3_PS3_NS_15floating_traitsIT1_E6data_tES3_T2_PKS9_SB_PKS3_PKS6_21rocsparse_index_base_SB_SB_SD_PS6_SH_SG_SB_SB_SD_SH_SH_SG_SH_SH_PS8_SI_PKS8_,@function
_ZN9rocsparseL6kernelILi1024ELi16E21rocsparse_complex_numIfEiiEEvbbbT3_PS3_NS_15floating_traitsIT1_E6data_tES3_T2_PKS9_SB_PKS3_PKS6_21rocsparse_index_base_SB_SB_SD_PS6_SH_SG_SB_SB_SD_SH_SH_SG_SH_SH_PS8_SI_PKS8_: ; @_ZN9rocsparseL6kernelILi1024ELi16E21rocsparse_complex_numIfEiiEEvbbbT3_PS3_NS_15floating_traitsIT1_E6data_tES3_T2_PKS9_SB_PKS3_PKS6_21rocsparse_index_base_SB_SB_SD_PS6_SH_SG_SB_SB_SD_SH_SH_SG_SH_SH_PS8_SI_PKS8_
; %bb.0:
	s_clause 0x3
	s_load_b32 s2, s[0:1], 0x0
	s_load_b64 s[34:35], s[0:1], 0x0
	s_load_b64 s[52:53], s[0:1], 0x10
	s_load_b128 s[44:47], s[0:1], 0xb8
	v_lshrrev_b32_e32 v21, 4, v0
	v_dual_mov_b32 v3, 0 :: v_dual_lshlrev_b32 v20, 2, v0
	v_mbcnt_lo_u32_b32 v22, -1, 0
	v_dual_mov_b32 v2, 0 :: v_dual_mov_b32 v1, 0
	v_and_b32_e32 v23, 15, v0
	s_mov_b32 s60, 0
	ds_store_b32 v20, v3
	s_waitcnt lgkmcnt(0)
	s_barrier
	buffer_gl0_inv
	s_bitcmp1_b32 s2, 0
	s_cselect_b32 s59, -1, 0
	s_bitcmp1_b32 s2, 8
	s_cselect_b32 s58, -1, 0
	s_bitcmp1_b32 s34, 16
	s_cselect_b32 s33, -1, 0
	s_lshl_b32 s64, s15, 10
	s_cmp_gt_i32 s35, 0
	v_or_b32_e32 v24, s64, v21
	s_cselect_b32 s2, -1, 0
	s_delay_alu instid0(VALU_DEP_1) | instskip(SKIP_1) | instid1(SALU_CYCLE_1)
	v_cmp_gt_i32_e32 vcc_lo, s53, v24
	s_and_b32 s2, s2, vcc_lo
	s_and_saveexec_b32 s34, s2
	s_cbranch_execz .LBB39_176
; %bb.1:
	s_clause 0x9
	s_load_b32 s61, s[0:1], 0x40
	s_load_b32 s62, s[0:1], 0x70
	;; [unrolled: 1-line block ×3, first 2 shown]
	s_load_b64 s[14:15], s[0:1], 0x98
	s_load_b64 s[54:55], s[0:1], 0x68
	;; [unrolled: 1-line block ×3, first 2 shown]
	s_load_b128 s[48:51], s[0:1], 0xa8
	s_load_b256 s[16:23], s[0:1], 0x78
	s_load_b256 s[24:31], s[0:1], 0x48
	;; [unrolled: 1-line block ×3, first 2 shown]
	s_addk_i32 s64, 0x400
	v_cmp_eq_u32_e64 s2, 15, v23
	v_dual_mov_b32 v4, 0 :: v_dual_lshlrev_b32 v25, 2, v21
	v_cmp_gt_u32_e64 s3, 32, v0
	v_cmp_gt_u32_e64 s4, 16, v0
	;; [unrolled: 1-line block ×5, first 2 shown]
	v_cmp_eq_u32_e64 s8, 0, v0
	v_cmp_gt_u32_e64 s9, s64, v24
	s_waitcnt lgkmcnt(0)
	v_subrev_nc_u32_e32 v26, s61, v23
	v_subrev_nc_u32_e32 v27, s62, v23
	;; [unrolled: 1-line block ×3, first 2 shown]
	v_cmp_eq_u32_e64 s10, 0, v23
	v_dual_mov_b32 v29, 0 :: v_dual_mov_b32 v2, 0
	v_mov_b32_e32 v1, 0
	s_and_b32 s11, s58, s33
	s_xor_b32 s65, s58, -1
	s_xor_b32 s66, s11, -1
	s_mov_b32 s67, 0
	s_branch .LBB39_3
.LBB39_2:                               ;   in Loop: Header=BB39_3 Depth=1
	s_or_b32 exec_lo, exec_lo, s13
	s_delay_alu instid0(SALU_CYCLE_1) | instskip(NEXT) | instid1(SALU_CYCLE_1)
	s_and_b32 s11, exec_lo, s12
	s_or_b32 s60, s11, s60
	s_delay_alu instid0(SALU_CYCLE_1)
	s_and_not1_b32 exec_lo, exec_lo, s60
	s_cbranch_execz .LBB39_175
.LBB39_3:                               ; =>This Loop Header: Depth=1
                                        ;     Child Loop BB39_7 Depth 2
                                        ;       Child Loop BB39_12 Depth 3
                                        ;         Child Loop BB39_16 Depth 4
                                        ;         Child Loop BB39_51 Depth 4
	;; [unrolled: 1-line block ×5, first 2 shown]
                                        ;     Child Loop BB39_154 Depth 2
                                        ;       Child Loop BB39_157 Depth 3
                                        ;       Child Loop BB39_160 Depth 3
	v_cndmask_b32_e64 v2, v2, 0, s58
	v_cndmask_b32_e64 v1, v1, 0, s33
	s_mov_b32 s68, 0
	s_branch .LBB39_7
.LBB39_4:                               ;   in Loop: Header=BB39_7 Depth=2
	s_or_b32 exec_lo, exec_lo, s71
.LBB39_5:                               ;   in Loop: Header=BB39_7 Depth=2
	s_delay_alu instid0(SALU_CYCLE_1)
	s_or_b32 exec_lo, exec_lo, s70
.LBB39_6:                               ;   in Loop: Header=BB39_7 Depth=2
	s_delay_alu instid0(SALU_CYCLE_1) | instskip(SKIP_1) | instid1(SALU_CYCLE_1)
	s_or_b32 exec_lo, exec_lo, s69
	s_add_i32 s68, s68, 1
	s_cmp_eq_u32 s68, 16
	s_cbranch_scc1 .LBB39_119
.LBB39_7:                               ;   Parent Loop BB39_3 Depth=1
                                        ; =>  This Loop Header: Depth=2
                                        ;       Child Loop BB39_12 Depth 3
                                        ;         Child Loop BB39_16 Depth 4
                                        ;         Child Loop BB39_51 Depth 4
	;; [unrolled: 1-line block ×5, first 2 shown]
	v_lshl_add_u32 v5, s68, 6, v24
	s_mov_b32 s69, exec_lo
	s_delay_alu instid0(VALU_DEP_1)
	v_cmpx_gt_i32_e64 s53, v5
	s_cbranch_execz .LBB39_6
; %bb.8:                                ;   in Loop: Header=BB39_7 Depth=2
	v_ashrrev_i32_e32 v6, 31, v5
	s_mov_b32 s70, exec_lo
	s_delay_alu instid0(VALU_DEP_1) | instskip(NEXT) | instid1(VALU_DEP_1)
	v_lshlrev_b64 v[7:8], 2, v[5:6]
	v_add_co_u32 v9, vcc_lo, s36, v7
	s_delay_alu instid0(VALU_DEP_2)
	v_add_co_ci_u32_e32 v10, vcc_lo, s37, v8, vcc_lo
	v_add_co_u32 v11, vcc_lo, s38, v7
	v_add_co_ci_u32_e32 v12, vcc_lo, s39, v8, vcc_lo
	global_load_b32 v3, v[9:10], off
	global_load_b32 v9, v[11:12], off
	s_waitcnt vmcnt(1)
	v_add_nc_u32_e32 v6, v26, v3
	s_waitcnt vmcnt(0)
	v_subrev_nc_u32_e32 v30, s61, v9
	s_delay_alu instid0(VALU_DEP_1)
	v_cmpx_lt_i32_e64 v6, v30
	s_cbranch_execz .LBB39_5
; %bb.9:                                ;   in Loop: Header=BB39_7 Depth=2
	v_add_co_u32 v9, vcc_lo, s24, v7
	v_add_co_ci_u32_e32 v10, vcc_lo, s25, v8, vcc_lo
	v_add_co_u32 v7, vcc_lo, s26, v7
	v_add_co_ci_u32_e32 v8, vcc_lo, s27, v8, vcc_lo
	global_load_b32 v3, v[9:10], off
	s_mov_b32 s71, 0
	global_load_b32 v7, v[7:8], off
	s_waitcnt vmcnt(1)
	v_subrev_nc_u32_e32 v8, s62, v3
	s_waitcnt vmcnt(0)
	v_sub_nc_u32_e32 v31, v7, v3
	s_delay_alu instid0(VALU_DEP_2) | instskip(NEXT) | instid1(VALU_DEP_2)
	v_ashrrev_i32_e32 v9, 31, v8
	v_cmp_lt_i32_e64 s11, 0, v31
	s_delay_alu instid0(VALU_DEP_2) | instskip(SKIP_1) | instid1(VALU_DEP_2)
	v_lshlrev_b64 v[10:11], 2, v[8:9]
	v_lshlrev_b64 v[12:13], 3, v[8:9]
	v_add_co_u32 v32, vcc_lo, s28, v10
	s_delay_alu instid0(VALU_DEP_3) | instskip(NEXT) | instid1(VALU_DEP_3)
	v_add_co_ci_u32_e32 v33, vcc_lo, s29, v11, vcc_lo
	v_add_co_u32 v34, vcc_lo, s30, v12
	s_delay_alu instid0(VALU_DEP_4)
	v_add_co_ci_u32_e32 v35, vcc_lo, s31, v13, vcc_lo
	s_branch .LBB39_12
.LBB39_10:                              ;   in Loop: Header=BB39_12 Depth=3
	s_or_b32 exec_lo, exec_lo, s12
.LBB39_11:                              ;   in Loop: Header=BB39_12 Depth=3
	s_delay_alu instid0(SALU_CYCLE_1) | instskip(SKIP_1) | instid1(VALU_DEP_1)
	s_or_b32 exec_lo, exec_lo, s13
	v_add_nc_u32_e32 v6, 16, v6
	v_cmp_ge_i32_e32 vcc_lo, v6, v30
	s_or_b32 s71, vcc_lo, s71
	s_delay_alu instid0(SALU_CYCLE_1)
	s_and_not1_b32 exec_lo, exec_lo, s71
	s_cbranch_execz .LBB39_4
.LBB39_12:                              ;   Parent Loop BB39_3 Depth=1
                                        ;     Parent Loop BB39_7 Depth=2
                                        ; =>    This Loop Header: Depth=3
                                        ;         Child Loop BB39_16 Depth 4
                                        ;         Child Loop BB39_51 Depth 4
	;; [unrolled: 1-line block ×5, first 2 shown]
	v_ashrrev_i32_e32 v7, 31, v6
	v_dual_mov_b32 v36, 0 :: v_dual_mov_b32 v37, 0
	v_mov_b32_e32 v15, 0
	s_delay_alu instid0(VALU_DEP_3) | instskip(NEXT) | instid1(VALU_DEP_1)
	v_lshlrev_b64 v[9:10], 2, v[6:7]
	v_add_co_u32 v9, vcc_lo, s40, v9
	s_delay_alu instid0(VALU_DEP_2) | instskip(SKIP_4) | instid1(VALU_DEP_2)
	v_add_co_ci_u32_e32 v10, vcc_lo, s41, v10, vcc_lo
	global_load_b32 v3, v[9:10], off
	s_waitcnt vmcnt(0)
	v_subrev_nc_u32_e32 v9, s61, v3
	v_mov_b32_e32 v3, 0
	v_ashrrev_i32_e32 v10, 31, v9
	s_delay_alu instid0(VALU_DEP_1) | instskip(NEXT) | instid1(VALU_DEP_1)
	v_lshlrev_b64 v[11:12], 2, v[9:10]
	v_add_co_u32 v13, vcc_lo, s16, v11
	s_delay_alu instid0(VALU_DEP_2)
	v_add_co_ci_u32_e32 v14, vcc_lo, s17, v12, vcc_lo
	v_add_co_u32 v11, vcc_lo, s18, v11
	v_add_co_ci_u32_e32 v12, vcc_lo, s19, v12, vcc_lo
	global_load_b32 v14, v[13:14], off
	global_load_b32 v11, v[11:12], off
	s_waitcnt vmcnt(1)
	v_subrev_nc_u32_e32 v13, s63, v14
	s_waitcnt vmcnt(0)
	v_sub_nc_u32_e32 v38, v11, v14
	s_and_saveexec_b32 s13, s11
	s_cbranch_execz .LBB39_20
; %bb.13:                               ;   in Loop: Header=BB39_12 Depth=3
	v_ashrrev_i32_e32 v14, 31, v13
	v_dual_mov_b32 v15, 0 :: v_dual_mov_b32 v36, 0
	v_mov_b32_e32 v37, 0
	s_mov_b32 s72, 0
	s_delay_alu instid0(VALU_DEP_3) | instskip(SKIP_2) | instid1(VALU_DEP_3)
	v_lshlrev_b64 v[11:12], 2, v[13:14]
	v_lshlrev_b64 v[16:17], 3, v[13:14]
	v_mov_b32_e32 v3, v15
                                        ; implicit-def: $sgpr73
	v_add_co_u32 v11, vcc_lo, s20, v11
	s_delay_alu instid0(VALU_DEP_4) | instskip(NEXT) | instid1(VALU_DEP_4)
	v_add_co_ci_u32_e32 v12, vcc_lo, s21, v12, vcc_lo
	v_add_co_u32 v14, vcc_lo, s22, v16
	v_add_co_ci_u32_e32 v17, vcc_lo, s23, v17, vcc_lo
	s_branch .LBB39_16
.LBB39_14:                              ;   in Loop: Header=BB39_16 Depth=4
	s_or_b32 exec_lo, exec_lo, s12
	v_cmp_le_i32_e32 vcc_lo, v18, v19
	v_cmp_ge_i32_e64 s12, v18, v19
	v_add_co_ci_u32_e32 v3, vcc_lo, 0, v3, vcc_lo
	s_delay_alu instid0(VALU_DEP_2) | instskip(SKIP_1) | instid1(VALU_DEP_2)
	v_add_co_ci_u32_e64 v15, s12, 0, v15, s12
	s_and_not1_b32 s12, s73, exec_lo
	v_cmp_ge_i32_e32 vcc_lo, v3, v31
	s_and_b32 s73, vcc_lo, exec_lo
	s_delay_alu instid0(SALU_CYCLE_1)
	s_or_b32 s73, s12, s73
.LBB39_15:                              ;   in Loop: Header=BB39_16 Depth=4
	s_or_b32 exec_lo, exec_lo, s74
	s_delay_alu instid0(SALU_CYCLE_1) | instskip(NEXT) | instid1(SALU_CYCLE_1)
	s_and_b32 s12, exec_lo, s73
	s_or_b32 s72, s12, s72
	s_delay_alu instid0(SALU_CYCLE_1)
	s_and_not1_b32 exec_lo, exec_lo, s72
	s_cbranch_execz .LBB39_19
.LBB39_16:                              ;   Parent Loop BB39_3 Depth=1
                                        ;     Parent Loop BB39_7 Depth=2
                                        ;       Parent Loop BB39_12 Depth=3
                                        ; =>      This Inner Loop Header: Depth=4
	s_or_b32 s73, s73, exec_lo
	s_mov_b32 s74, exec_lo
	v_cmpx_lt_i32_e64 v15, v38
	s_cbranch_execz .LBB39_15
; %bb.17:                               ;   in Loop: Header=BB39_16 Depth=4
	v_mov_b32_e32 v16, v4
	v_lshlrev_b64 v[18:19], 2, v[3:4]
	s_mov_b32 s12, exec_lo
	s_delay_alu instid0(VALU_DEP_2) | instskip(NEXT) | instid1(VALU_DEP_2)
	v_lshlrev_b64 v[39:40], 2, v[15:16]
	v_add_co_u32 v18, vcc_lo, v32, v18
	s_delay_alu instid0(VALU_DEP_3) | instskip(NEXT) | instid1(VALU_DEP_3)
	v_add_co_ci_u32_e32 v19, vcc_lo, v33, v19, vcc_lo
	v_add_co_u32 v39, vcc_lo, v11, v39
	s_delay_alu instid0(VALU_DEP_4)
	v_add_co_ci_u32_e32 v40, vcc_lo, v12, v40, vcc_lo
	global_load_b32 v18, v[18:19], off
	global_load_b32 v19, v[39:40], off
	s_waitcnt vmcnt(1)
	v_subrev_nc_u32_e32 v18, s62, v18
	s_waitcnt vmcnt(0)
	v_subrev_nc_u32_e32 v19, s63, v19
	s_delay_alu instid0(VALU_DEP_1)
	v_cmpx_eq_u32_e64 v18, v19
	s_cbranch_execz .LBB39_14
; %bb.18:                               ;   in Loop: Header=BB39_16 Depth=4
	v_lshlrev_b64 v[39:40], 3, v[3:4]
	v_lshlrev_b64 v[41:42], 3, v[15:16]
	s_delay_alu instid0(VALU_DEP_2) | instskip(NEXT) | instid1(VALU_DEP_3)
	v_add_co_u32 v39, vcc_lo, v34, v39
	v_add_co_ci_u32_e32 v40, vcc_lo, v35, v40, vcc_lo
	s_delay_alu instid0(VALU_DEP_3) | instskip(NEXT) | instid1(VALU_DEP_4)
	v_add_co_u32 v41, vcc_lo, v14, v41
	v_add_co_ci_u32_e32 v42, vcc_lo, v17, v42, vcc_lo
	global_load_b64 v[39:40], v[39:40], off
	global_load_b64 v[41:42], v[41:42], off
	s_waitcnt vmcnt(0)
	v_fmac_f32_e32 v36, v39, v41
	v_fmac_f32_e32 v37, v40, v41
	s_delay_alu instid0(VALU_DEP_2) | instskip(NEXT) | instid1(VALU_DEP_2)
	v_fma_f32 v36, -v40, v42, v36
	v_fmac_f32_e32 v37, v39, v42
	s_branch .LBB39_14
.LBB39_19:                              ;   in Loop: Header=BB39_12 Depth=3
	s_or_b32 exec_lo, exec_lo, s72
.LBB39_20:                              ;   in Loop: Header=BB39_12 Depth=3
	s_delay_alu instid0(SALU_CYCLE_1) | instskip(SKIP_3) | instid1(VALU_DEP_2)
	s_or_b32 exec_lo, exec_lo, s13
	v_lshlrev_b64 v[11:12], 3, v[6:7]
	v_cmp_le_i32_e64 s12, v5, v9
	s_mov_b32 s72, exec_lo
	v_add_co_u32 v11, vcc_lo, s42, v11
	s_delay_alu instid0(VALU_DEP_3)
	v_add_co_ci_u32_e32 v12, vcc_lo, s43, v12, vcc_lo
	global_load_b64 v[11:12], v[11:12], off
	s_waitcnt vmcnt(0)
	v_dual_sub_f32 v16, v11, v36 :: v_dual_sub_f32 v17, v12, v37
	v_cmpx_gt_i32_e64 v5, v9
	s_cbranch_execz .LBB39_30
; %bb.21:                               ;   in Loop: Header=BB39_12 Depth=3
	v_lshlrev_b64 v[18:19], 3, v[9:10]
                                        ; implicit-def: $vgpr39
	s_mov_b32 s13, exec_lo
	s_delay_alu instid0(VALU_DEP_1) | instskip(NEXT) | instid1(VALU_DEP_2)
	v_add_co_u32 v18, vcc_lo, s48, v18
	v_add_co_ci_u32_e32 v19, vcc_lo, s49, v19, vcc_lo
	global_load_b64 v[18:19], v[18:19], off
	s_waitcnt vmcnt(0)
	v_cmp_gt_f32_e32 vcc_lo, 0, v18
	v_cndmask_b32_e64 v7, v18, -v18, vcc_lo
	v_cmp_gt_f32_e32 vcc_lo, 0, v19
	v_cndmask_b32_e64 v14, v19, -v19, vcc_lo
	s_delay_alu instid0(VALU_DEP_1)
	v_cmpx_ngt_f32_e32 v7, v14
	s_xor_b32 s73, exec_lo, s13
	s_cbranch_execz .LBB39_25
; %bb.22:                               ;   in Loop: Header=BB39_12 Depth=3
	v_mov_b32_e32 v39, 0
	s_mov_b32 s74, exec_lo
	v_cmpx_neq_f32_e32 0, v19
	s_cbranch_execz .LBB39_24
; %bb.23:                               ;   in Loop: Header=BB39_12 Depth=3
	v_div_scale_f32 v39, null, v14, v14, v7
	v_div_scale_f32 v42, vcc_lo, v7, v14, v7
	s_delay_alu instid0(VALU_DEP_2) | instskip(SKIP_2) | instid1(VALU_DEP_1)
	v_rcp_f32_e32 v40, v39
	s_waitcnt_depctr 0xfff
	v_fma_f32 v41, -v39, v40, 1.0
	v_fmac_f32_e32 v40, v41, v40
	s_delay_alu instid0(VALU_DEP_1) | instskip(NEXT) | instid1(VALU_DEP_1)
	v_mul_f32_e32 v41, v42, v40
	v_fma_f32 v43, -v39, v41, v42
	s_delay_alu instid0(VALU_DEP_1) | instskip(NEXT) | instid1(VALU_DEP_1)
	v_fmac_f32_e32 v41, v43, v40
	v_fma_f32 v39, -v39, v41, v42
	s_delay_alu instid0(VALU_DEP_1) | instskip(NEXT) | instid1(VALU_DEP_1)
	v_div_fmas_f32 v39, v39, v40, v41
	v_div_fixup_f32 v7, v39, v14, v7
	s_delay_alu instid0(VALU_DEP_1) | instskip(NEXT) | instid1(VALU_DEP_1)
	v_fma_f32 v7, v7, v7, 1.0
	v_mul_f32_e32 v39, 0x4f800000, v7
	v_cmp_gt_f32_e32 vcc_lo, 0xf800000, v7
	s_delay_alu instid0(VALU_DEP_2) | instskip(NEXT) | instid1(VALU_DEP_1)
	v_cndmask_b32_e32 v7, v7, v39, vcc_lo
	v_sqrt_f32_e32 v39, v7
	s_waitcnt_depctr 0xfff
	v_add_nc_u32_e32 v40, -1, v39
	v_add_nc_u32_e32 v41, 1, v39
	s_delay_alu instid0(VALU_DEP_2) | instskip(NEXT) | instid1(VALU_DEP_2)
	v_fma_f32 v42, -v40, v39, v7
	v_fma_f32 v43, -v41, v39, v7
	s_delay_alu instid0(VALU_DEP_2) | instskip(NEXT) | instid1(VALU_DEP_1)
	v_cmp_ge_f32_e64 s13, 0, v42
	v_cndmask_b32_e64 v39, v39, v40, s13
	s_delay_alu instid0(VALU_DEP_3) | instskip(NEXT) | instid1(VALU_DEP_1)
	v_cmp_lt_f32_e64 s13, 0, v43
	v_cndmask_b32_e64 v39, v39, v41, s13
	s_delay_alu instid0(VALU_DEP_1) | instskip(NEXT) | instid1(VALU_DEP_1)
	v_mul_f32_e32 v40, 0x37800000, v39
	v_cndmask_b32_e32 v39, v39, v40, vcc_lo
	v_cmp_class_f32_e64 vcc_lo, v7, 0x260
	s_delay_alu instid0(VALU_DEP_2) | instskip(NEXT) | instid1(VALU_DEP_1)
	v_cndmask_b32_e32 v7, v39, v7, vcc_lo
	v_mul_f32_e32 v39, v14, v7
.LBB39_24:                              ;   in Loop: Header=BB39_12 Depth=3
	s_or_b32 exec_lo, exec_lo, s74
                                        ; implicit-def: $vgpr7
                                        ; implicit-def: $vgpr14
.LBB39_25:                              ;   in Loop: Header=BB39_12 Depth=3
	s_and_not1_saveexec_b32 s73, s73
	s_cbranch_execz .LBB39_27
; %bb.26:                               ;   in Loop: Header=BB39_12 Depth=3
	v_div_scale_f32 v39, null, v7, v7, v14
	v_div_scale_f32 v42, vcc_lo, v14, v7, v14
	s_delay_alu instid0(VALU_DEP_2) | instskip(SKIP_2) | instid1(VALU_DEP_1)
	v_rcp_f32_e32 v40, v39
	s_waitcnt_depctr 0xfff
	v_fma_f32 v41, -v39, v40, 1.0
	v_fmac_f32_e32 v40, v41, v40
	s_delay_alu instid0(VALU_DEP_1) | instskip(NEXT) | instid1(VALU_DEP_1)
	v_mul_f32_e32 v41, v42, v40
	v_fma_f32 v43, -v39, v41, v42
	s_delay_alu instid0(VALU_DEP_1) | instskip(NEXT) | instid1(VALU_DEP_1)
	v_fmac_f32_e32 v41, v43, v40
	v_fma_f32 v39, -v39, v41, v42
	s_delay_alu instid0(VALU_DEP_1) | instskip(NEXT) | instid1(VALU_DEP_1)
	v_div_fmas_f32 v39, v39, v40, v41
	v_div_fixup_f32 v14, v39, v7, v14
	s_delay_alu instid0(VALU_DEP_1) | instskip(NEXT) | instid1(VALU_DEP_1)
	v_fma_f32 v14, v14, v14, 1.0
	v_mul_f32_e32 v39, 0x4f800000, v14
	v_cmp_gt_f32_e32 vcc_lo, 0xf800000, v14
	s_delay_alu instid0(VALU_DEP_2) | instskip(NEXT) | instid1(VALU_DEP_1)
	v_cndmask_b32_e32 v14, v14, v39, vcc_lo
	v_sqrt_f32_e32 v39, v14
	s_waitcnt_depctr 0xfff
	v_add_nc_u32_e32 v40, -1, v39
	v_add_nc_u32_e32 v41, 1, v39
	s_delay_alu instid0(VALU_DEP_2) | instskip(NEXT) | instid1(VALU_DEP_2)
	v_fma_f32 v42, -v40, v39, v14
	v_fma_f32 v43, -v41, v39, v14
	s_delay_alu instid0(VALU_DEP_2) | instskip(NEXT) | instid1(VALU_DEP_1)
	v_cmp_ge_f32_e64 s13, 0, v42
	v_cndmask_b32_e64 v39, v39, v40, s13
	s_delay_alu instid0(VALU_DEP_3) | instskip(NEXT) | instid1(VALU_DEP_1)
	v_cmp_lt_f32_e64 s13, 0, v43
	v_cndmask_b32_e64 v39, v39, v41, s13
	s_delay_alu instid0(VALU_DEP_1) | instskip(NEXT) | instid1(VALU_DEP_1)
	v_mul_f32_e32 v40, 0x37800000, v39
	v_cndmask_b32_e32 v39, v39, v40, vcc_lo
	v_cmp_class_f32_e64 vcc_lo, v14, 0x260
	s_delay_alu instid0(VALU_DEP_2) | instskip(NEXT) | instid1(VALU_DEP_1)
	v_cndmask_b32_e32 v14, v39, v14, vcc_lo
	v_mul_f32_e32 v39, v7, v14
.LBB39_27:                              ;   in Loop: Header=BB39_12 Depth=3
	s_or_b32 exec_lo, exec_lo, s73
	v_dual_mov_b32 v7, 0 :: v_dual_mov_b32 v14, 0
	s_mov_b32 s13, exec_lo
	s_delay_alu instid0(VALU_DEP_2)
	v_cmpx_lt_f32_e32 0, v39
	s_cbranch_execz .LBB39_29
; %bb.28:                               ;   in Loop: Header=BB39_12 Depth=3
	v_mul_f32_e32 v7, v19, v19
	s_delay_alu instid0(VALU_DEP_1) | instskip(NEXT) | instid1(VALU_DEP_1)
	v_fmac_f32_e32 v7, v18, v18
	v_div_scale_f32 v14, null, v7, v7, 1.0
	v_div_scale_f32 v41, vcc_lo, 1.0, v7, 1.0
	s_delay_alu instid0(VALU_DEP_2) | instskip(SKIP_2) | instid1(VALU_DEP_1)
	v_rcp_f32_e32 v39, v14
	s_waitcnt_depctr 0xfff
	v_fma_f32 v40, -v14, v39, 1.0
	v_fmac_f32_e32 v39, v40, v39
	s_delay_alu instid0(VALU_DEP_1) | instskip(NEXT) | instid1(VALU_DEP_1)
	v_mul_f32_e32 v40, v41, v39
	v_fma_f32 v42, -v14, v40, v41
	s_delay_alu instid0(VALU_DEP_1) | instskip(NEXT) | instid1(VALU_DEP_1)
	v_fmac_f32_e32 v40, v42, v39
	v_fma_f32 v14, -v14, v40, v41
	v_mul_f32_e32 v41, v17, v19
	v_mul_f32_e64 v19, v19, -v16
	s_delay_alu instid0(VALU_DEP_2) | instskip(NEXT) | instid1(VALU_DEP_4)
	v_fmac_f32_e32 v41, v16, v18
	v_div_fmas_f32 v14, v14, v39, v40
	s_delay_alu instid0(VALU_DEP_3) | instskip(NEXT) | instid1(VALU_DEP_2)
	v_fmac_f32_e32 v19, v17, v18
	v_div_fixup_f32 v7, v14, v7, 1.0
	s_delay_alu instid0(VALU_DEP_1) | instskip(NEXT) | instid1(VALU_DEP_3)
	v_mul_f32_e32 v14, v41, v7
	v_mul_f32_e32 v7, v19, v7
.LBB39_29:                              ;   in Loop: Header=BB39_12 Depth=3
	s_or_b32 exec_lo, exec_lo, s13
	s_delay_alu instid0(VALU_DEP_1)
	v_dual_mov_b32 v17, v7 :: v_dual_mov_b32 v16, v14
.LBB39_30:                              ;   in Loop: Header=BB39_12 Depth=3
	s_or_b32 exec_lo, exec_lo, s72
	s_delay_alu instid0(VALU_DEP_1) | instskip(SKIP_4) | instid1(VALU_DEP_1)
	v_cmp_gt_f32_e32 vcc_lo, 0, v16
                                        ; implicit-def: $vgpr18
	s_mov_b32 s13, exec_lo
	v_cndmask_b32_e64 v7, v16, -v16, vcc_lo
	v_cmp_gt_f32_e32 vcc_lo, 0, v17
	v_cndmask_b32_e64 v14, v17, -v17, vcc_lo
	v_cmpx_ngt_f32_e32 v7, v14
	s_xor_b32 s72, exec_lo, s13
	s_cbranch_execnz .LBB39_34
; %bb.31:                               ;   in Loop: Header=BB39_12 Depth=3
	s_and_not1_saveexec_b32 s72, s72
	s_cbranch_execnz .LBB39_37
.LBB39_32:                              ;   in Loop: Header=BB39_12 Depth=3
	s_or_b32 exec_lo, exec_lo, s72
	v_cmp_class_f32_e64 s13, v18, 0x1f8
	s_delay_alu instid0(VALU_DEP_1)
	s_and_saveexec_b32 s72, s13
	s_cbranch_execnz .LBB39_38
.LBB39_33:                              ;   in Loop: Header=BB39_12 Depth=3
	s_or_b32 exec_lo, exec_lo, s72
	s_and_b32 s12, s13, s33
	s_delay_alu instid0(SALU_CYCLE_1)
	s_and_saveexec_b32 s13, s12
	s_cbranch_execz .LBB39_11
	s_branch .LBB39_79
.LBB39_34:                              ;   in Loop: Header=BB39_12 Depth=3
	v_mov_b32_e32 v18, 0
	s_mov_b32 s73, exec_lo
	v_cmpx_neq_f32_e32 0, v17
	s_cbranch_execz .LBB39_36
; %bb.35:                               ;   in Loop: Header=BB39_12 Depth=3
	v_div_scale_f32 v18, null, v14, v14, v7
	v_div_scale_f32 v40, vcc_lo, v7, v14, v7
	s_delay_alu instid0(VALU_DEP_2) | instskip(SKIP_2) | instid1(VALU_DEP_1)
	v_rcp_f32_e32 v19, v18
	s_waitcnt_depctr 0xfff
	v_fma_f32 v39, -v18, v19, 1.0
	v_fmac_f32_e32 v19, v39, v19
	s_delay_alu instid0(VALU_DEP_1) | instskip(NEXT) | instid1(VALU_DEP_1)
	v_mul_f32_e32 v39, v40, v19
	v_fma_f32 v41, -v18, v39, v40
	s_delay_alu instid0(VALU_DEP_1) | instskip(NEXT) | instid1(VALU_DEP_1)
	v_fmac_f32_e32 v39, v41, v19
	v_fma_f32 v18, -v18, v39, v40
	s_delay_alu instid0(VALU_DEP_1) | instskip(NEXT) | instid1(VALU_DEP_1)
	v_div_fmas_f32 v18, v18, v19, v39
	v_div_fixup_f32 v7, v18, v14, v7
	s_delay_alu instid0(VALU_DEP_1) | instskip(NEXT) | instid1(VALU_DEP_1)
	v_fma_f32 v7, v7, v7, 1.0
	v_mul_f32_e32 v18, 0x4f800000, v7
	v_cmp_gt_f32_e32 vcc_lo, 0xf800000, v7
	s_delay_alu instid0(VALU_DEP_2) | instskip(NEXT) | instid1(VALU_DEP_1)
	v_cndmask_b32_e32 v7, v7, v18, vcc_lo
	v_sqrt_f32_e32 v18, v7
	s_waitcnt_depctr 0xfff
	v_add_nc_u32_e32 v19, -1, v18
	v_add_nc_u32_e32 v39, 1, v18
	s_delay_alu instid0(VALU_DEP_2) | instskip(NEXT) | instid1(VALU_DEP_2)
	v_fma_f32 v40, -v19, v18, v7
	v_fma_f32 v41, -v39, v18, v7
	s_delay_alu instid0(VALU_DEP_2) | instskip(NEXT) | instid1(VALU_DEP_1)
	v_cmp_ge_f32_e64 s13, 0, v40
	v_cndmask_b32_e64 v18, v18, v19, s13
	s_delay_alu instid0(VALU_DEP_3) | instskip(NEXT) | instid1(VALU_DEP_1)
	v_cmp_lt_f32_e64 s13, 0, v41
	v_cndmask_b32_e64 v18, v18, v39, s13
	s_delay_alu instid0(VALU_DEP_1) | instskip(NEXT) | instid1(VALU_DEP_1)
	v_mul_f32_e32 v19, 0x37800000, v18
	v_cndmask_b32_e32 v18, v18, v19, vcc_lo
	v_cmp_class_f32_e64 vcc_lo, v7, 0x260
	s_delay_alu instid0(VALU_DEP_2) | instskip(NEXT) | instid1(VALU_DEP_1)
	v_cndmask_b32_e32 v7, v18, v7, vcc_lo
	v_mul_f32_e32 v18, v14, v7
.LBB39_36:                              ;   in Loop: Header=BB39_12 Depth=3
	s_or_b32 exec_lo, exec_lo, s73
                                        ; implicit-def: $vgpr7
                                        ; implicit-def: $vgpr14
	s_and_not1_saveexec_b32 s72, s72
	s_cbranch_execz .LBB39_32
.LBB39_37:                              ;   in Loop: Header=BB39_12 Depth=3
	v_div_scale_f32 v18, null, v7, v7, v14
	v_div_scale_f32 v40, vcc_lo, v14, v7, v14
	s_delay_alu instid0(VALU_DEP_2) | instskip(SKIP_2) | instid1(VALU_DEP_1)
	v_rcp_f32_e32 v19, v18
	s_waitcnt_depctr 0xfff
	v_fma_f32 v39, -v18, v19, 1.0
	v_fmac_f32_e32 v19, v39, v19
	s_delay_alu instid0(VALU_DEP_1) | instskip(NEXT) | instid1(VALU_DEP_1)
	v_mul_f32_e32 v39, v40, v19
	v_fma_f32 v41, -v18, v39, v40
	s_delay_alu instid0(VALU_DEP_1) | instskip(NEXT) | instid1(VALU_DEP_1)
	v_fmac_f32_e32 v39, v41, v19
	v_fma_f32 v18, -v18, v39, v40
	s_delay_alu instid0(VALU_DEP_1) | instskip(NEXT) | instid1(VALU_DEP_1)
	v_div_fmas_f32 v18, v18, v19, v39
	v_div_fixup_f32 v14, v18, v7, v14
	s_delay_alu instid0(VALU_DEP_1) | instskip(NEXT) | instid1(VALU_DEP_1)
	v_fma_f32 v14, v14, v14, 1.0
	v_mul_f32_e32 v18, 0x4f800000, v14
	v_cmp_gt_f32_e32 vcc_lo, 0xf800000, v14
	s_delay_alu instid0(VALU_DEP_2) | instskip(NEXT) | instid1(VALU_DEP_1)
	v_cndmask_b32_e32 v14, v14, v18, vcc_lo
	v_sqrt_f32_e32 v18, v14
	s_waitcnt_depctr 0xfff
	v_add_nc_u32_e32 v19, -1, v18
	v_add_nc_u32_e32 v39, 1, v18
	s_delay_alu instid0(VALU_DEP_2) | instskip(NEXT) | instid1(VALU_DEP_2)
	v_fma_f32 v40, -v19, v18, v14
	v_fma_f32 v41, -v39, v18, v14
	s_delay_alu instid0(VALU_DEP_2) | instskip(NEXT) | instid1(VALU_DEP_1)
	v_cmp_ge_f32_e64 s13, 0, v40
	v_cndmask_b32_e64 v18, v18, v19, s13
	s_delay_alu instid0(VALU_DEP_3) | instskip(NEXT) | instid1(VALU_DEP_1)
	v_cmp_lt_f32_e64 s13, 0, v41
	v_cndmask_b32_e64 v18, v18, v39, s13
	s_delay_alu instid0(VALU_DEP_1) | instskip(NEXT) | instid1(VALU_DEP_1)
	v_mul_f32_e32 v19, 0x37800000, v18
	v_cndmask_b32_e32 v18, v18, v19, vcc_lo
	v_cmp_class_f32_e64 vcc_lo, v14, 0x260
	s_delay_alu instid0(VALU_DEP_2) | instskip(NEXT) | instid1(VALU_DEP_1)
	v_cndmask_b32_e32 v14, v18, v14, vcc_lo
	v_mul_f32_e32 v18, v7, v14
	s_or_b32 exec_lo, exec_lo, s72
	s_delay_alu instid0(VALU_DEP_1) | instskip(NEXT) | instid1(VALU_DEP_1)
	v_cmp_class_f32_e64 s13, v18, 0x1f8
	s_and_saveexec_b32 s72, s13
	s_cbranch_execz .LBB39_33
.LBB39_38:                              ;   in Loop: Header=BB39_12 Depth=3
	s_and_saveexec_b32 s73, s12
	s_delay_alu instid0(SALU_CYCLE_1)
	s_xor_b32 s73, exec_lo, s73
	s_cbranch_execz .LBB39_63
; %bb.39:                               ;   in Loop: Header=BB39_12 Depth=3
	s_mov_b32 s12, exec_lo
	v_cmpx_ge_i32_e64 v5, v9
	s_xor_b32 s74, exec_lo, s12
	s_cbranch_execz .LBB39_47
; %bb.40:                               ;   in Loop: Header=BB39_12 Depth=3
	v_lshlrev_b64 v[18:19], 3, v[9:10]
	s_delay_alu instid0(VALU_DEP_1) | instskip(NEXT) | instid1(VALU_DEP_2)
	v_add_co_u32 v39, vcc_lo, s50, v18
	v_add_co_ci_u32_e32 v40, vcc_lo, s51, v19, vcc_lo
	s_and_not1_b32 vcc_lo, exec_lo, s58
	global_store_b64 v[39:40], v[16:17], off
	s_cbranch_vccnz .LBB39_46
; %bb.41:                               ;   in Loop: Header=BB39_12 Depth=3
	v_add_co_u32 v18, vcc_lo, s48, v18
	v_add_co_ci_u32_e32 v19, vcc_lo, s49, v19, vcc_lo
	s_mov_b32 s12, exec_lo
	global_load_b64 v[18:19], v[18:19], off
	s_waitcnt vmcnt(0)
	v_sub_f32_e32 v7, v18, v16
	v_sub_f32_e32 v17, v19, v17
                                        ; implicit-def: $vgpr16
	s_delay_alu instid0(VALU_DEP_2) | instskip(SKIP_1) | instid1(VALU_DEP_3)
	v_cmp_gt_f32_e32 vcc_lo, 0, v7
	v_cndmask_b32_e64 v7, v7, -v7, vcc_lo
	v_cmp_gt_f32_e32 vcc_lo, 0, v17
	v_cndmask_b32_e64 v14, v17, -v17, vcc_lo
	s_delay_alu instid0(VALU_DEP_1)
	v_cmpx_ngt_f32_e32 v7, v14
	s_xor_b32 s75, exec_lo, s12
	s_cbranch_execnz .LBB39_107
; %bb.42:                               ;   in Loop: Header=BB39_12 Depth=3
	s_and_not1_saveexec_b32 s75, s75
	s_cbranch_execnz .LBB39_110
.LBB39_43:                              ;   in Loop: Header=BB39_12 Depth=3
	s_or_b32 exec_lo, exec_lo, s75
	v_cmp_class_f32_e64 s75, v16, 0x1f8
	s_delay_alu instid0(VALU_DEP_1)
	s_and_saveexec_b32 s12, s75
.LBB39_44:                              ;   in Loop: Header=BB39_12 Depth=3
	v_cmp_lt_f32_e32 vcc_lo, v2, v16
	v_cndmask_b32_e32 v2, v2, v16, vcc_lo
.LBB39_45:                              ;   in Loop: Header=BB39_12 Depth=3
	s_or_b32 exec_lo, exec_lo, s12
.LBB39_46:                              ;   in Loop: Header=BB39_12 Depth=3
                                        ; implicit-def: $vgpr16
.LBB39_47:                              ;   in Loop: Header=BB39_12 Depth=3
	s_and_not1_saveexec_b32 s74, s74
	s_cbranch_execz .LBB39_62
; %bb.48:                               ;   in Loop: Header=BB39_12 Depth=3
	s_mov_b32 s75, exec_lo
	v_cmpx_lt_i32_e64 v15, v38
	s_cbranch_execz .LBB39_61
; %bb.49:                               ;   in Loop: Header=BB39_12 Depth=3
	v_mov_b32_e32 v7, v15
	s_mov_b32 s12, 0
                                        ; implicit-def: $sgpr76
                                        ; implicit-def: $sgpr78
                                        ; implicit-def: $sgpr77
	s_set_inst_prefetch_distance 0x1
	s_branch .LBB39_51
	.p2align	6
.LBB39_50:                              ;   in Loop: Header=BB39_51 Depth=4
	s_or_b32 exec_lo, exec_lo, s79
	s_delay_alu instid0(SALU_CYCLE_1) | instskip(NEXT) | instid1(SALU_CYCLE_1)
	s_and_b32 s79, exec_lo, s78
	s_or_b32 s12, s79, s12
	s_and_not1_b32 s76, s76, exec_lo
	s_and_b32 s79, s77, exec_lo
	s_delay_alu instid0(SALU_CYCLE_1)
	s_or_b32 s76, s76, s79
	s_and_not1_b32 exec_lo, exec_lo, s12
	s_cbranch_execz .LBB39_53
.LBB39_51:                              ;   Parent Loop BB39_3 Depth=1
                                        ;     Parent Loop BB39_7 Depth=2
                                        ;       Parent Loop BB39_12 Depth=3
                                        ; =>      This Inner Loop Header: Depth=4
	s_delay_alu instid0(VALU_DEP_1) | instskip(SKIP_3) | instid1(VALU_DEP_1)
	v_add_nc_u32_e32 v18, v13, v7
	s_or_b32 s77, s77, exec_lo
	s_or_b32 s78, s78, exec_lo
	s_mov_b32 s79, exec_lo
	v_ashrrev_i32_e32 v19, 31, v18
	s_delay_alu instid0(VALU_DEP_1) | instskip(NEXT) | instid1(VALU_DEP_1)
	v_lshlrev_b64 v[39:40], 2, v[18:19]
	v_add_co_u32 v39, vcc_lo, s20, v39
	s_delay_alu instid0(VALU_DEP_2) | instskip(SKIP_3) | instid1(VALU_DEP_1)
	v_add_co_ci_u32_e32 v40, vcc_lo, s21, v40, vcc_lo
	global_load_b32 v14, v[39:40], off
	s_waitcnt vmcnt(0)
	v_subrev_nc_u32_e32 v14, s63, v14
	v_cmpx_ne_u32_e64 v14, v5
	s_cbranch_execz .LBB39_50
; %bb.52:                               ;   in Loop: Header=BB39_51 Depth=4
	v_add_nc_u32_e32 v7, 1, v7
	s_and_not1_b32 s78, s78, exec_lo
	s_and_not1_b32 s77, s77, exec_lo
	s_delay_alu instid0(VALU_DEP_1) | instskip(SKIP_1) | instid1(SALU_CYCLE_1)
	v_cmp_ge_i32_e32 vcc_lo, v7, v38
	s_and_b32 s80, vcc_lo, exec_lo
	s_or_b32 s78, s78, s80
	s_branch .LBB39_50
.LBB39_53:                              ;   in Loop: Header=BB39_12 Depth=3
	s_set_inst_prefetch_distance 0x2
	s_or_b32 exec_lo, exec_lo, s12
	s_and_saveexec_b32 s12, s76
	s_delay_alu instid0(SALU_CYCLE_1)
	s_xor_b32 s76, exec_lo, s12
	s_cbranch_execz .LBB39_60
; %bb.54:                               ;   in Loop: Header=BB39_12 Depth=3
	v_lshlrev_b64 v[18:19], 3, v[18:19]
	s_delay_alu instid0(VALU_DEP_1) | instskip(NEXT) | instid1(VALU_DEP_2)
	v_add_co_u32 v39, vcc_lo, s14, v18
	v_add_co_ci_u32_e32 v40, vcc_lo, s15, v19, vcc_lo
	s_and_not1_b32 vcc_lo, exec_lo, s58
	global_store_b64 v[39:40], v[16:17], off
	s_cbranch_vccnz .LBB39_60
; %bb.55:                               ;   in Loop: Header=BB39_12 Depth=3
	v_add_co_u32 v18, vcc_lo, s22, v18
	v_add_co_ci_u32_e32 v19, vcc_lo, s23, v19, vcc_lo
	s_mov_b32 s12, exec_lo
	global_load_b64 v[18:19], v[18:19], off
	s_waitcnt vmcnt(0)
	v_sub_f32_e32 v7, v18, v16
	v_sub_f32_e32 v17, v19, v17
                                        ; implicit-def: $vgpr16
	s_delay_alu instid0(VALU_DEP_2) | instskip(SKIP_1) | instid1(VALU_DEP_3)
	v_cmp_gt_f32_e32 vcc_lo, 0, v7
	v_cndmask_b32_e64 v7, v7, -v7, vcc_lo
	v_cmp_gt_f32_e32 vcc_lo, 0, v17
	v_cndmask_b32_e64 v14, v17, -v17, vcc_lo
	s_delay_alu instid0(VALU_DEP_1)
	v_cmpx_ngt_f32_e32 v7, v14
	s_xor_b32 s77, exec_lo, s12
	s_cbranch_execnz .LBB39_115
; %bb.56:                               ;   in Loop: Header=BB39_12 Depth=3
	s_and_not1_saveexec_b32 s77, s77
	s_cbranch_execnz .LBB39_118
.LBB39_57:                              ;   in Loop: Header=BB39_12 Depth=3
	s_or_b32 exec_lo, exec_lo, s77
	v_cmp_class_f32_e64 s77, v16, 0x1f8
	s_delay_alu instid0(VALU_DEP_1)
	s_and_saveexec_b32 s12, s77
.LBB39_58:                              ;   in Loop: Header=BB39_12 Depth=3
	v_cmp_lt_f32_e32 vcc_lo, v2, v16
	v_cndmask_b32_e32 v2, v2, v16, vcc_lo
.LBB39_59:                              ;   in Loop: Header=BB39_12 Depth=3
	s_or_b32 exec_lo, exec_lo, s12
.LBB39_60:                              ;   in Loop: Header=BB39_12 Depth=3
	s_delay_alu instid0(SALU_CYCLE_1)
	s_or_b32 exec_lo, exec_lo, s76
.LBB39_61:                              ;   in Loop: Header=BB39_12 Depth=3
	s_delay_alu instid0(SALU_CYCLE_1)
	s_or_b32 exec_lo, exec_lo, s75
.LBB39_62:                              ;   in Loop: Header=BB39_12 Depth=3
	s_delay_alu instid0(SALU_CYCLE_1)
	s_or_b32 exec_lo, exec_lo, s74
                                        ; implicit-def: $vgpr16
.LBB39_63:                              ;   in Loop: Header=BB39_12 Depth=3
	s_and_not1_saveexec_b32 s73, s73
	s_cbranch_execz .LBB39_78
; %bb.64:                               ;   in Loop: Header=BB39_12 Depth=3
	s_mov_b32 s74, exec_lo
	v_cmpx_lt_i32_e64 v3, v31
	s_cbranch_execz .LBB39_77
; %bb.65:                               ;   in Loop: Header=BB39_12 Depth=3
	v_mov_b32_e32 v7, v3
	s_mov_b32 s12, 0
                                        ; implicit-def: $sgpr75
                                        ; implicit-def: $sgpr77
                                        ; implicit-def: $sgpr76
	s_set_inst_prefetch_distance 0x1
	s_branch .LBB39_67
	.p2align	6
.LBB39_66:                              ;   in Loop: Header=BB39_67 Depth=4
	s_or_b32 exec_lo, exec_lo, s78
	s_delay_alu instid0(SALU_CYCLE_1) | instskip(NEXT) | instid1(SALU_CYCLE_1)
	s_and_b32 s78, exec_lo, s77
	s_or_b32 s12, s78, s12
	s_and_not1_b32 s75, s75, exec_lo
	s_and_b32 s78, s76, exec_lo
	s_delay_alu instid0(SALU_CYCLE_1)
	s_or_b32 s75, s75, s78
	s_and_not1_b32 exec_lo, exec_lo, s12
	s_cbranch_execz .LBB39_69
.LBB39_67:                              ;   Parent Loop BB39_3 Depth=1
                                        ;     Parent Loop BB39_7 Depth=2
                                        ;       Parent Loop BB39_12 Depth=3
                                        ; =>      This Inner Loop Header: Depth=4
	s_delay_alu instid0(VALU_DEP_1) | instskip(SKIP_3) | instid1(VALU_DEP_1)
	v_add_nc_u32_e32 v18, v8, v7
	s_or_b32 s76, s76, exec_lo
	s_or_b32 s77, s77, exec_lo
	s_mov_b32 s78, exec_lo
	v_ashrrev_i32_e32 v19, 31, v18
	s_delay_alu instid0(VALU_DEP_1) | instskip(NEXT) | instid1(VALU_DEP_1)
	v_lshlrev_b64 v[39:40], 2, v[18:19]
	v_add_co_u32 v39, vcc_lo, s28, v39
	s_delay_alu instid0(VALU_DEP_2) | instskip(SKIP_3) | instid1(VALU_DEP_1)
	v_add_co_ci_u32_e32 v40, vcc_lo, s29, v40, vcc_lo
	global_load_b32 v14, v[39:40], off
	s_waitcnt vmcnt(0)
	v_subrev_nc_u32_e32 v14, s62, v14
	v_cmpx_ne_u32_e64 v14, v9
	s_cbranch_execz .LBB39_66
; %bb.68:                               ;   in Loop: Header=BB39_67 Depth=4
	v_add_nc_u32_e32 v7, 1, v7
	s_and_not1_b32 s77, s77, exec_lo
	s_and_not1_b32 s76, s76, exec_lo
	s_delay_alu instid0(VALU_DEP_1) | instskip(SKIP_1) | instid1(SALU_CYCLE_1)
	v_cmp_ge_i32_e32 vcc_lo, v7, v31
	s_and_b32 s79, vcc_lo, exec_lo
	s_or_b32 s77, s77, s79
	s_branch .LBB39_66
.LBB39_69:                              ;   in Loop: Header=BB39_12 Depth=3
	s_set_inst_prefetch_distance 0x2
	s_or_b32 exec_lo, exec_lo, s12
	s_and_saveexec_b32 s12, s75
	s_delay_alu instid0(SALU_CYCLE_1)
	s_xor_b32 s75, exec_lo, s12
	s_cbranch_execz .LBB39_76
; %bb.70:                               ;   in Loop: Header=BB39_12 Depth=3
	v_lshlrev_b64 v[18:19], 3, v[18:19]
	s_delay_alu instid0(VALU_DEP_1) | instskip(NEXT) | instid1(VALU_DEP_2)
	v_add_co_u32 v39, vcc_lo, s54, v18
	v_add_co_ci_u32_e32 v40, vcc_lo, s55, v19, vcc_lo
	s_and_not1_b32 vcc_lo, exec_lo, s58
	global_store_b64 v[39:40], v[16:17], off
	s_cbranch_vccnz .LBB39_76
; %bb.71:                               ;   in Loop: Header=BB39_12 Depth=3
	v_add_co_u32 v18, vcc_lo, s30, v18
	v_add_co_ci_u32_e32 v19, vcc_lo, s31, v19, vcc_lo
	s_mov_b32 s12, exec_lo
	global_load_b64 v[18:19], v[18:19], off
	s_waitcnt vmcnt(0)
	v_sub_f32_e32 v7, v18, v16
	v_sub_f32_e32 v17, v19, v17
                                        ; implicit-def: $vgpr16
	s_delay_alu instid0(VALU_DEP_2) | instskip(SKIP_1) | instid1(VALU_DEP_3)
	v_cmp_gt_f32_e32 vcc_lo, 0, v7
	v_cndmask_b32_e64 v7, v7, -v7, vcc_lo
	v_cmp_gt_f32_e32 vcc_lo, 0, v17
	v_cndmask_b32_e64 v14, v17, -v17, vcc_lo
	s_delay_alu instid0(VALU_DEP_1)
	v_cmpx_ngt_f32_e32 v7, v14
	s_xor_b32 s76, exec_lo, s12
	s_cbranch_execnz .LBB39_111
; %bb.72:                               ;   in Loop: Header=BB39_12 Depth=3
	s_and_not1_saveexec_b32 s76, s76
	s_cbranch_execnz .LBB39_114
.LBB39_73:                              ;   in Loop: Header=BB39_12 Depth=3
	s_or_b32 exec_lo, exec_lo, s76
	v_cmp_class_f32_e64 s76, v16, 0x1f8
	s_delay_alu instid0(VALU_DEP_1)
	s_and_saveexec_b32 s12, s76
.LBB39_74:                              ;   in Loop: Header=BB39_12 Depth=3
	v_cmp_lt_f32_e32 vcc_lo, v2, v16
	v_cndmask_b32_e32 v2, v2, v16, vcc_lo
.LBB39_75:                              ;   in Loop: Header=BB39_12 Depth=3
	s_or_b32 exec_lo, exec_lo, s12
.LBB39_76:                              ;   in Loop: Header=BB39_12 Depth=3
	s_delay_alu instid0(SALU_CYCLE_1)
	s_or_b32 exec_lo, exec_lo, s75
.LBB39_77:                              ;   in Loop: Header=BB39_12 Depth=3
	s_delay_alu instid0(SALU_CYCLE_1)
	s_or_b32 exec_lo, exec_lo, s74
.LBB39_78:                              ;   in Loop: Header=BB39_12 Depth=3
	s_delay_alu instid0(SALU_CYCLE_1) | instskip(NEXT) | instid1(SALU_CYCLE_1)
	s_or_b32 exec_lo, exec_lo, s73
	s_or_b32 exec_lo, exec_lo, s72
	s_and_b32 s12, s13, s33
	s_delay_alu instid0(SALU_CYCLE_1)
	s_and_saveexec_b32 s13, s12
	s_cbranch_execz .LBB39_11
.LBB39_79:                              ;   in Loop: Header=BB39_12 Depth=3
	s_mov_b32 s12, exec_lo
	v_cmpx_ge_i32_e64 v15, v38
	s_xor_b32 s12, exec_lo, s12
	s_cbranch_execnz .LBB39_86
; %bb.80:                               ;   in Loop: Header=BB39_12 Depth=3
	s_and_not1_saveexec_b32 s12, s12
	s_cbranch_execnz .LBB39_100
.LBB39_81:                              ;   in Loop: Header=BB39_12 Depth=3
	s_or_b32 exec_lo, exec_lo, s12
	s_delay_alu instid0(SALU_CYCLE_1)
	s_mov_b32 s12, exec_lo
	v_cmpx_eq_u32_e64 v5, v9
	s_cbranch_execz .LBB39_83
.LBB39_82:                              ;   in Loop: Header=BB39_12 Depth=3
	v_lshlrev_b64 v[9:10], 3, v[9:10]
	s_delay_alu instid0(VALU_DEP_1) | instskip(NEXT) | instid1(VALU_DEP_2)
	v_add_co_u32 v9, vcc_lo, s48, v9
	v_add_co_ci_u32_e32 v10, vcc_lo, s49, v10, vcc_lo
	global_load_b64 v[9:10], v[9:10], off
	s_waitcnt vmcnt(0)
	v_dual_add_f32 v36, v36, v9 :: v_dual_add_f32 v37, v37, v10
.LBB39_83:                              ;   in Loop: Header=BB39_12 Depth=3
	s_or_b32 exec_lo, exec_lo, s12
	s_delay_alu instid0(VALU_DEP_1) | instskip(SKIP_1) | instid1(VALU_DEP_1)
	v_dual_sub_f32 v3, v11, v36 :: v_dual_sub_f32 v10, v12, v37
                                        ; implicit-def: $vgpr9
	s_mov_b32 s12, exec_lo
	v_cmp_gt_f32_e32 vcc_lo, 0, v3
	v_cndmask_b32_e64 v3, v3, -v3, vcc_lo
	s_delay_alu instid0(VALU_DEP_3) | instskip(SKIP_1) | instid1(VALU_DEP_1)
	v_cmp_gt_f32_e32 vcc_lo, 0, v10
	v_cndmask_b32_e64 v7, v10, -v10, vcc_lo
	v_cmpx_ngt_f32_e32 v3, v7
	s_xor_b32 s72, exec_lo, s12
	s_cbranch_execnz .LBB39_91
; %bb.84:                               ;   in Loop: Header=BB39_12 Depth=3
	s_and_not1_saveexec_b32 s72, s72
	s_cbranch_execnz .LBB39_94
.LBB39_85:                              ;   in Loop: Header=BB39_12 Depth=3
	s_or_b32 exec_lo, exec_lo, s72
	v_cmp_class_f32_e64 s72, v9, 0x1f8
	s_delay_alu instid0(VALU_DEP_1)
	s_and_saveexec_b32 s12, s72
	s_cbranch_execz .LBB39_10
	s_branch .LBB39_95
.LBB39_86:                              ;   in Loop: Header=BB39_12 Depth=3
	s_mov_b32 s72, exec_lo
	v_cmpx_lt_i32_e64 v3, v31
	s_cbranch_execz .LBB39_99
; %bb.87:                               ;   in Loop: Header=BB39_12 Depth=3
	s_mov_b32 s74, 0
                                        ; implicit-def: $sgpr73
                                        ; implicit-def: $sgpr76
                                        ; implicit-def: $sgpr75
	s_set_inst_prefetch_distance 0x1
	s_branch .LBB39_89
	.p2align	6
.LBB39_88:                              ;   in Loop: Header=BB39_89 Depth=4
	s_or_b32 exec_lo, exec_lo, s77
	s_delay_alu instid0(SALU_CYCLE_1) | instskip(NEXT) | instid1(SALU_CYCLE_1)
	s_and_b32 s77, exec_lo, s76
	s_or_b32 s74, s77, s74
	s_and_not1_b32 s73, s73, exec_lo
	s_and_b32 s77, s75, exec_lo
	s_delay_alu instid0(SALU_CYCLE_1)
	s_or_b32 s73, s73, s77
	s_and_not1_b32 exec_lo, exec_lo, s74
	s_cbranch_execz .LBB39_96
.LBB39_89:                              ;   Parent Loop BB39_3 Depth=1
                                        ;     Parent Loop BB39_7 Depth=2
                                        ;       Parent Loop BB39_12 Depth=3
                                        ; =>      This Inner Loop Header: Depth=4
	v_add_nc_u32_e32 v13, v8, v3
	s_or_b32 s75, s75, exec_lo
	s_or_b32 s76, s76, exec_lo
	s_mov_b32 s77, exec_lo
	s_delay_alu instid0(VALU_DEP_1) | instskip(NEXT) | instid1(VALU_DEP_1)
	v_ashrrev_i32_e32 v14, 31, v13
	v_lshlrev_b64 v[15:16], 2, v[13:14]
	s_delay_alu instid0(VALU_DEP_1) | instskip(NEXT) | instid1(VALU_DEP_2)
	v_add_co_u32 v15, vcc_lo, s28, v15
	v_add_co_ci_u32_e32 v16, vcc_lo, s29, v16, vcc_lo
	global_load_b32 v7, v[15:16], off
	s_waitcnt vmcnt(0)
	v_subrev_nc_u32_e32 v7, s62, v7
	s_delay_alu instid0(VALU_DEP_1)
	v_cmpx_ne_u32_e64 v7, v9
	s_cbranch_execz .LBB39_88
; %bb.90:                               ;   in Loop: Header=BB39_89 Depth=4
	v_add_nc_u32_e32 v3, 1, v3
	s_and_not1_b32 s76, s76, exec_lo
	s_and_not1_b32 s75, s75, exec_lo
	s_delay_alu instid0(VALU_DEP_1) | instskip(SKIP_1) | instid1(SALU_CYCLE_1)
	v_cmp_ge_i32_e32 vcc_lo, v3, v31
	s_and_b32 s78, vcc_lo, exec_lo
	s_or_b32 s76, s76, s78
	s_branch .LBB39_88
.LBB39_91:                              ;   in Loop: Header=BB39_12 Depth=3
	v_mov_b32_e32 v9, 0
	s_mov_b32 s73, exec_lo
	v_cmpx_neq_f32_e32 0, v10
	s_cbranch_execz .LBB39_93
; %bb.92:                               ;   in Loop: Header=BB39_12 Depth=3
	v_div_scale_f32 v9, null, v7, v7, v3
	v_div_scale_f32 v12, vcc_lo, v3, v7, v3
	s_delay_alu instid0(VALU_DEP_2) | instskip(SKIP_2) | instid1(VALU_DEP_1)
	v_rcp_f32_e32 v10, v9
	s_waitcnt_depctr 0xfff
	v_fma_f32 v11, -v9, v10, 1.0
	v_fmac_f32_e32 v10, v11, v10
	s_delay_alu instid0(VALU_DEP_1) | instskip(NEXT) | instid1(VALU_DEP_1)
	v_mul_f32_e32 v11, v12, v10
	v_fma_f32 v13, -v9, v11, v12
	s_delay_alu instid0(VALU_DEP_1) | instskip(NEXT) | instid1(VALU_DEP_1)
	v_fmac_f32_e32 v11, v13, v10
	v_fma_f32 v9, -v9, v11, v12
	s_delay_alu instid0(VALU_DEP_1) | instskip(NEXT) | instid1(VALU_DEP_1)
	v_div_fmas_f32 v9, v9, v10, v11
	v_div_fixup_f32 v3, v9, v7, v3
	s_delay_alu instid0(VALU_DEP_1) | instskip(NEXT) | instid1(VALU_DEP_1)
	v_fma_f32 v3, v3, v3, 1.0
	v_mul_f32_e32 v9, 0x4f800000, v3
	v_cmp_gt_f32_e32 vcc_lo, 0xf800000, v3
	s_delay_alu instid0(VALU_DEP_2) | instskip(NEXT) | instid1(VALU_DEP_1)
	v_cndmask_b32_e32 v3, v3, v9, vcc_lo
	v_sqrt_f32_e32 v9, v3
	s_waitcnt_depctr 0xfff
	v_add_nc_u32_e32 v10, -1, v9
	v_add_nc_u32_e32 v11, 1, v9
	s_delay_alu instid0(VALU_DEP_2) | instskip(NEXT) | instid1(VALU_DEP_2)
	v_fma_f32 v12, -v10, v9, v3
	v_fma_f32 v13, -v11, v9, v3
	s_delay_alu instid0(VALU_DEP_2) | instskip(NEXT) | instid1(VALU_DEP_1)
	v_cmp_ge_f32_e64 s12, 0, v12
	v_cndmask_b32_e64 v9, v9, v10, s12
	s_delay_alu instid0(VALU_DEP_3) | instskip(NEXT) | instid1(VALU_DEP_1)
	v_cmp_lt_f32_e64 s12, 0, v13
	v_cndmask_b32_e64 v9, v9, v11, s12
	s_delay_alu instid0(VALU_DEP_1) | instskip(NEXT) | instid1(VALU_DEP_1)
	v_mul_f32_e32 v10, 0x37800000, v9
	v_cndmask_b32_e32 v9, v9, v10, vcc_lo
	v_cmp_class_f32_e64 vcc_lo, v3, 0x260
	s_delay_alu instid0(VALU_DEP_2) | instskip(NEXT) | instid1(VALU_DEP_1)
	v_cndmask_b32_e32 v3, v9, v3, vcc_lo
	v_mul_f32_e32 v9, v7, v3
.LBB39_93:                              ;   in Loop: Header=BB39_12 Depth=3
	s_or_b32 exec_lo, exec_lo, s73
                                        ; implicit-def: $vgpr3
                                        ; implicit-def: $vgpr7
	s_and_not1_saveexec_b32 s72, s72
	s_cbranch_execz .LBB39_85
.LBB39_94:                              ;   in Loop: Header=BB39_12 Depth=3
	v_div_scale_f32 v9, null, v3, v3, v7
	v_div_scale_f32 v12, vcc_lo, v7, v3, v7
	s_delay_alu instid0(VALU_DEP_2) | instskip(SKIP_2) | instid1(VALU_DEP_1)
	v_rcp_f32_e32 v10, v9
	s_waitcnt_depctr 0xfff
	v_fma_f32 v11, -v9, v10, 1.0
	v_fmac_f32_e32 v10, v11, v10
	s_delay_alu instid0(VALU_DEP_1) | instskip(NEXT) | instid1(VALU_DEP_1)
	v_mul_f32_e32 v11, v12, v10
	v_fma_f32 v13, -v9, v11, v12
	s_delay_alu instid0(VALU_DEP_1) | instskip(NEXT) | instid1(VALU_DEP_1)
	v_fmac_f32_e32 v11, v13, v10
	v_fma_f32 v9, -v9, v11, v12
	s_delay_alu instid0(VALU_DEP_1) | instskip(NEXT) | instid1(VALU_DEP_1)
	v_div_fmas_f32 v9, v9, v10, v11
	v_div_fixup_f32 v7, v9, v3, v7
	s_delay_alu instid0(VALU_DEP_1) | instskip(NEXT) | instid1(VALU_DEP_1)
	v_fma_f32 v7, v7, v7, 1.0
	v_mul_f32_e32 v9, 0x4f800000, v7
	v_cmp_gt_f32_e32 vcc_lo, 0xf800000, v7
	s_delay_alu instid0(VALU_DEP_2) | instskip(NEXT) | instid1(VALU_DEP_1)
	v_cndmask_b32_e32 v7, v7, v9, vcc_lo
	v_sqrt_f32_e32 v9, v7
	s_waitcnt_depctr 0xfff
	v_add_nc_u32_e32 v10, -1, v9
	v_add_nc_u32_e32 v11, 1, v9
	s_delay_alu instid0(VALU_DEP_2) | instskip(NEXT) | instid1(VALU_DEP_2)
	v_fma_f32 v12, -v10, v9, v7
	v_fma_f32 v13, -v11, v9, v7
	s_delay_alu instid0(VALU_DEP_2) | instskip(NEXT) | instid1(VALU_DEP_1)
	v_cmp_ge_f32_e64 s12, 0, v12
	v_cndmask_b32_e64 v9, v9, v10, s12
	s_delay_alu instid0(VALU_DEP_3) | instskip(NEXT) | instid1(VALU_DEP_1)
	v_cmp_lt_f32_e64 s12, 0, v13
	v_cndmask_b32_e64 v9, v9, v11, s12
	s_delay_alu instid0(VALU_DEP_1) | instskip(NEXT) | instid1(VALU_DEP_1)
	v_mul_f32_e32 v10, 0x37800000, v9
	v_cndmask_b32_e32 v9, v9, v10, vcc_lo
	v_cmp_class_f32_e64 vcc_lo, v7, 0x260
	s_delay_alu instid0(VALU_DEP_2) | instskip(NEXT) | instid1(VALU_DEP_1)
	v_cndmask_b32_e32 v7, v9, v7, vcc_lo
	v_mul_f32_e32 v9, v3, v7
	s_or_b32 exec_lo, exec_lo, s72
	s_delay_alu instid0(VALU_DEP_1) | instskip(NEXT) | instid1(VALU_DEP_1)
	v_cmp_class_f32_e64 s72, v9, 0x1f8
	s_and_saveexec_b32 s12, s72
	s_cbranch_execz .LBB39_10
.LBB39_95:                              ;   in Loop: Header=BB39_12 Depth=3
	v_cmp_lt_f32_e32 vcc_lo, v1, v9
	v_cndmask_b32_e32 v1, v1, v9, vcc_lo
	s_branch .LBB39_10
.LBB39_96:                              ;   in Loop: Header=BB39_12 Depth=3
	s_set_inst_prefetch_distance 0x2
	s_or_b32 exec_lo, exec_lo, s74
	s_and_saveexec_b32 s74, s73
	s_delay_alu instid0(SALU_CYCLE_1)
	s_xor_b32 s73, exec_lo, s74
	s_cbranch_execz .LBB39_98
; %bb.97:                               ;   in Loop: Header=BB39_12 Depth=3
	v_lshlrev_b64 v[13:14], 3, v[13:14]
	v_lshlrev_b64 v[15:16], 3, v[9:10]
	s_delay_alu instid0(VALU_DEP_2) | instskip(NEXT) | instid1(VALU_DEP_3)
	v_add_co_u32 v13, vcc_lo, s30, v13
	v_add_co_ci_u32_e32 v14, vcc_lo, s31, v14, vcc_lo
	s_delay_alu instid0(VALU_DEP_3) | instskip(NEXT) | instid1(VALU_DEP_4)
	v_add_co_u32 v15, vcc_lo, s48, v15
	v_add_co_ci_u32_e32 v16, vcc_lo, s49, v16, vcc_lo
	global_load_b64 v[13:14], v[13:14], off
	global_load_b64 v[15:16], v[15:16], off
	s_waitcnt vmcnt(0)
	v_mul_f32_e64 v3, v16, -v14
	v_mul_f32_e32 v7, v16, v13
	s_delay_alu instid0(VALU_DEP_2) | instskip(NEXT) | instid1(VALU_DEP_2)
	v_fmac_f32_e32 v3, v13, v15
	v_fmac_f32_e32 v7, v14, v15
	s_delay_alu instid0(VALU_DEP_2) | instskip(NEXT) | instid1(VALU_DEP_2)
	v_add_f32_e32 v36, v36, v3
	v_add_f32_e32 v37, v37, v7
.LBB39_98:                              ;   in Loop: Header=BB39_12 Depth=3
	s_or_b32 exec_lo, exec_lo, s73
.LBB39_99:                              ;   in Loop: Header=BB39_12 Depth=3
	s_delay_alu instid0(SALU_CYCLE_1)
	s_or_b32 exec_lo, exec_lo, s72
                                        ; implicit-def: $vgpr15
                                        ; implicit-def: $vgpr13
                                        ; implicit-def: $vgpr38
	s_and_not1_saveexec_b32 s12, s12
	s_cbranch_execz .LBB39_81
.LBB39_100:                             ;   in Loop: Header=BB39_12 Depth=3
	s_mov_b32 s73, 0
                                        ; implicit-def: $sgpr72
                                        ; implicit-def: $sgpr75
                                        ; implicit-def: $sgpr74
	s_set_inst_prefetch_distance 0x1
	s_branch .LBB39_102
	.p2align	6
.LBB39_101:                             ;   in Loop: Header=BB39_102 Depth=4
	s_or_b32 exec_lo, exec_lo, s76
	s_delay_alu instid0(SALU_CYCLE_1) | instskip(NEXT) | instid1(SALU_CYCLE_1)
	s_and_b32 s76, exec_lo, s75
	s_or_b32 s73, s76, s73
	s_and_not1_b32 s72, s72, exec_lo
	s_and_b32 s76, s74, exec_lo
	s_delay_alu instid0(SALU_CYCLE_1)
	s_or_b32 s72, s72, s76
	s_and_not1_b32 exec_lo, exec_lo, s73
	s_cbranch_execz .LBB39_104
.LBB39_102:                             ;   Parent Loop BB39_3 Depth=1
                                        ;     Parent Loop BB39_7 Depth=2
                                        ;       Parent Loop BB39_12 Depth=3
                                        ; =>      This Inner Loop Header: Depth=4
	v_add_nc_u32_e32 v16, v13, v15
	s_or_b32 s74, s74, exec_lo
	s_or_b32 s75, s75, exec_lo
	s_mov_b32 s76, exec_lo
	s_delay_alu instid0(VALU_DEP_1) | instskip(NEXT) | instid1(VALU_DEP_1)
	v_ashrrev_i32_e32 v17, 31, v16
	v_lshlrev_b64 v[18:19], 2, v[16:17]
	s_delay_alu instid0(VALU_DEP_1) | instskip(NEXT) | instid1(VALU_DEP_2)
	v_add_co_u32 v18, vcc_lo, s20, v18
	v_add_co_ci_u32_e32 v19, vcc_lo, s21, v19, vcc_lo
	global_load_b32 v3, v[18:19], off
	s_waitcnt vmcnt(0)
	v_subrev_nc_u32_e32 v3, s63, v3
	s_delay_alu instid0(VALU_DEP_1)
	v_cmpx_ne_u32_e64 v3, v5
	s_cbranch_execz .LBB39_101
; %bb.103:                              ;   in Loop: Header=BB39_102 Depth=4
	v_add_nc_u32_e32 v15, 1, v15
	s_and_not1_b32 s75, s75, exec_lo
	s_and_not1_b32 s74, s74, exec_lo
	s_delay_alu instid0(VALU_DEP_1) | instskip(SKIP_1) | instid1(SALU_CYCLE_1)
	v_cmp_ge_i32_e32 vcc_lo, v15, v38
	s_and_b32 s77, vcc_lo, exec_lo
	s_or_b32 s75, s75, s77
	s_branch .LBB39_101
.LBB39_104:                             ;   in Loop: Header=BB39_12 Depth=3
	s_set_inst_prefetch_distance 0x2
	s_or_b32 exec_lo, exec_lo, s73
	s_and_saveexec_b32 s73, s72
	s_delay_alu instid0(SALU_CYCLE_1)
	s_xor_b32 s72, exec_lo, s73
	s_cbranch_execz .LBB39_106
; %bb.105:                              ;   in Loop: Header=BB39_12 Depth=3
	v_lshlrev_b64 v[13:14], 3, v[16:17]
	s_delay_alu instid0(VALU_DEP_1) | instskip(NEXT) | instid1(VALU_DEP_2)
	v_add_co_u32 v13, vcc_lo, s22, v13
	v_add_co_ci_u32_e32 v14, vcc_lo, s23, v14, vcc_lo
	global_load_b64 v[13:14], v[13:14], off
	s_waitcnt vmcnt(0)
	v_dual_add_f32 v36, v36, v13 :: v_dual_add_f32 v37, v37, v14
.LBB39_106:                             ;   in Loop: Header=BB39_12 Depth=3
	s_or_b32 exec_lo, exec_lo, s72
	s_delay_alu instid0(SALU_CYCLE_1) | instskip(NEXT) | instid1(SALU_CYCLE_1)
	s_or_b32 exec_lo, exec_lo, s12
	s_mov_b32 s12, exec_lo
	v_cmpx_eq_u32_e64 v5, v9
	s_cbranch_execnz .LBB39_82
	s_branch .LBB39_83
.LBB39_107:                             ;   in Loop: Header=BB39_12 Depth=3
	v_mov_b32_e32 v16, 0
	s_mov_b32 s76, exec_lo
	v_cmpx_neq_f32_e32 0, v17
	s_cbranch_execz .LBB39_109
; %bb.108:                              ;   in Loop: Header=BB39_12 Depth=3
	v_div_scale_f32 v16, null, v14, v14, v7
	v_div_scale_f32 v19, vcc_lo, v7, v14, v7
	s_delay_alu instid0(VALU_DEP_2) | instskip(SKIP_2) | instid1(VALU_DEP_1)
	v_rcp_f32_e32 v17, v16
	s_waitcnt_depctr 0xfff
	v_fma_f32 v18, -v16, v17, 1.0
	v_fmac_f32_e32 v17, v18, v17
	s_delay_alu instid0(VALU_DEP_1) | instskip(NEXT) | instid1(VALU_DEP_1)
	v_mul_f32_e32 v18, v19, v17
	v_fma_f32 v39, -v16, v18, v19
	s_delay_alu instid0(VALU_DEP_1) | instskip(NEXT) | instid1(VALU_DEP_1)
	v_fmac_f32_e32 v18, v39, v17
	v_fma_f32 v16, -v16, v18, v19
	s_delay_alu instid0(VALU_DEP_1) | instskip(NEXT) | instid1(VALU_DEP_1)
	v_div_fmas_f32 v16, v16, v17, v18
	v_div_fixup_f32 v7, v16, v14, v7
	s_delay_alu instid0(VALU_DEP_1) | instskip(NEXT) | instid1(VALU_DEP_1)
	v_fma_f32 v7, v7, v7, 1.0
	v_mul_f32_e32 v16, 0x4f800000, v7
	v_cmp_gt_f32_e32 vcc_lo, 0xf800000, v7
	s_delay_alu instid0(VALU_DEP_2) | instskip(NEXT) | instid1(VALU_DEP_1)
	v_cndmask_b32_e32 v7, v7, v16, vcc_lo
	v_sqrt_f32_e32 v16, v7
	s_waitcnt_depctr 0xfff
	v_add_nc_u32_e32 v17, -1, v16
	v_add_nc_u32_e32 v18, 1, v16
	s_delay_alu instid0(VALU_DEP_2) | instskip(NEXT) | instid1(VALU_DEP_2)
	v_fma_f32 v19, -v17, v16, v7
	v_fma_f32 v39, -v18, v16, v7
	s_delay_alu instid0(VALU_DEP_2) | instskip(NEXT) | instid1(VALU_DEP_1)
	v_cmp_ge_f32_e64 s12, 0, v19
	v_cndmask_b32_e64 v16, v16, v17, s12
	s_delay_alu instid0(VALU_DEP_3) | instskip(NEXT) | instid1(VALU_DEP_1)
	v_cmp_lt_f32_e64 s12, 0, v39
	v_cndmask_b32_e64 v16, v16, v18, s12
	s_delay_alu instid0(VALU_DEP_1) | instskip(NEXT) | instid1(VALU_DEP_1)
	v_mul_f32_e32 v17, 0x37800000, v16
	v_cndmask_b32_e32 v16, v16, v17, vcc_lo
	v_cmp_class_f32_e64 vcc_lo, v7, 0x260
	s_delay_alu instid0(VALU_DEP_2) | instskip(NEXT) | instid1(VALU_DEP_1)
	v_cndmask_b32_e32 v7, v16, v7, vcc_lo
	v_mul_f32_e32 v16, v14, v7
.LBB39_109:                             ;   in Loop: Header=BB39_12 Depth=3
	s_or_b32 exec_lo, exec_lo, s76
                                        ; implicit-def: $vgpr7
                                        ; implicit-def: $vgpr14
	s_and_not1_saveexec_b32 s75, s75
	s_cbranch_execz .LBB39_43
.LBB39_110:                             ;   in Loop: Header=BB39_12 Depth=3
	v_div_scale_f32 v16, null, v7, v7, v14
	v_div_scale_f32 v19, vcc_lo, v14, v7, v14
	s_delay_alu instid0(VALU_DEP_2) | instskip(SKIP_2) | instid1(VALU_DEP_1)
	v_rcp_f32_e32 v17, v16
	s_waitcnt_depctr 0xfff
	v_fma_f32 v18, -v16, v17, 1.0
	v_fmac_f32_e32 v17, v18, v17
	s_delay_alu instid0(VALU_DEP_1) | instskip(NEXT) | instid1(VALU_DEP_1)
	v_mul_f32_e32 v18, v19, v17
	v_fma_f32 v39, -v16, v18, v19
	s_delay_alu instid0(VALU_DEP_1) | instskip(NEXT) | instid1(VALU_DEP_1)
	v_fmac_f32_e32 v18, v39, v17
	v_fma_f32 v16, -v16, v18, v19
	s_delay_alu instid0(VALU_DEP_1) | instskip(NEXT) | instid1(VALU_DEP_1)
	v_div_fmas_f32 v16, v16, v17, v18
	v_div_fixup_f32 v14, v16, v7, v14
	s_delay_alu instid0(VALU_DEP_1) | instskip(NEXT) | instid1(VALU_DEP_1)
	v_fma_f32 v14, v14, v14, 1.0
	v_mul_f32_e32 v16, 0x4f800000, v14
	v_cmp_gt_f32_e32 vcc_lo, 0xf800000, v14
	s_delay_alu instid0(VALU_DEP_2) | instskip(NEXT) | instid1(VALU_DEP_1)
	v_cndmask_b32_e32 v14, v14, v16, vcc_lo
	v_sqrt_f32_e32 v16, v14
	s_waitcnt_depctr 0xfff
	v_add_nc_u32_e32 v17, -1, v16
	v_add_nc_u32_e32 v18, 1, v16
	s_delay_alu instid0(VALU_DEP_2) | instskip(NEXT) | instid1(VALU_DEP_2)
	v_fma_f32 v19, -v17, v16, v14
	v_fma_f32 v39, -v18, v16, v14
	s_delay_alu instid0(VALU_DEP_2) | instskip(NEXT) | instid1(VALU_DEP_1)
	v_cmp_ge_f32_e64 s12, 0, v19
	v_cndmask_b32_e64 v16, v16, v17, s12
	s_delay_alu instid0(VALU_DEP_3) | instskip(NEXT) | instid1(VALU_DEP_1)
	v_cmp_lt_f32_e64 s12, 0, v39
	v_cndmask_b32_e64 v16, v16, v18, s12
	s_delay_alu instid0(VALU_DEP_1) | instskip(NEXT) | instid1(VALU_DEP_1)
	v_mul_f32_e32 v17, 0x37800000, v16
	v_cndmask_b32_e32 v16, v16, v17, vcc_lo
	v_cmp_class_f32_e64 vcc_lo, v14, 0x260
	s_delay_alu instid0(VALU_DEP_2) | instskip(NEXT) | instid1(VALU_DEP_1)
	v_cndmask_b32_e32 v14, v16, v14, vcc_lo
	v_mul_f32_e32 v16, v7, v14
	s_or_b32 exec_lo, exec_lo, s75
	s_delay_alu instid0(VALU_DEP_1) | instskip(NEXT) | instid1(VALU_DEP_1)
	v_cmp_class_f32_e64 s75, v16, 0x1f8
	s_and_saveexec_b32 s12, s75
	s_cbranch_execnz .LBB39_44
	s_branch .LBB39_45
.LBB39_111:                             ;   in Loop: Header=BB39_12 Depth=3
	v_mov_b32_e32 v16, 0
	s_mov_b32 s77, exec_lo
	v_cmpx_neq_f32_e32 0, v17
	s_cbranch_execz .LBB39_113
; %bb.112:                              ;   in Loop: Header=BB39_12 Depth=3
	v_div_scale_f32 v16, null, v14, v14, v7
	v_div_scale_f32 v19, vcc_lo, v7, v14, v7
	s_delay_alu instid0(VALU_DEP_2) | instskip(SKIP_2) | instid1(VALU_DEP_1)
	v_rcp_f32_e32 v17, v16
	s_waitcnt_depctr 0xfff
	v_fma_f32 v18, -v16, v17, 1.0
	v_fmac_f32_e32 v17, v18, v17
	s_delay_alu instid0(VALU_DEP_1) | instskip(NEXT) | instid1(VALU_DEP_1)
	v_mul_f32_e32 v18, v19, v17
	v_fma_f32 v39, -v16, v18, v19
	s_delay_alu instid0(VALU_DEP_1) | instskip(NEXT) | instid1(VALU_DEP_1)
	v_fmac_f32_e32 v18, v39, v17
	v_fma_f32 v16, -v16, v18, v19
	s_delay_alu instid0(VALU_DEP_1) | instskip(NEXT) | instid1(VALU_DEP_1)
	v_div_fmas_f32 v16, v16, v17, v18
	v_div_fixup_f32 v7, v16, v14, v7
	s_delay_alu instid0(VALU_DEP_1) | instskip(NEXT) | instid1(VALU_DEP_1)
	v_fma_f32 v7, v7, v7, 1.0
	v_mul_f32_e32 v16, 0x4f800000, v7
	v_cmp_gt_f32_e32 vcc_lo, 0xf800000, v7
	s_delay_alu instid0(VALU_DEP_2) | instskip(NEXT) | instid1(VALU_DEP_1)
	v_cndmask_b32_e32 v7, v7, v16, vcc_lo
	v_sqrt_f32_e32 v16, v7
	s_waitcnt_depctr 0xfff
	v_add_nc_u32_e32 v17, -1, v16
	v_add_nc_u32_e32 v18, 1, v16
	s_delay_alu instid0(VALU_DEP_2) | instskip(NEXT) | instid1(VALU_DEP_2)
	v_fma_f32 v19, -v17, v16, v7
	v_fma_f32 v39, -v18, v16, v7
	s_delay_alu instid0(VALU_DEP_2) | instskip(NEXT) | instid1(VALU_DEP_1)
	v_cmp_ge_f32_e64 s12, 0, v19
	v_cndmask_b32_e64 v16, v16, v17, s12
	s_delay_alu instid0(VALU_DEP_3) | instskip(NEXT) | instid1(VALU_DEP_1)
	v_cmp_lt_f32_e64 s12, 0, v39
	v_cndmask_b32_e64 v16, v16, v18, s12
	s_delay_alu instid0(VALU_DEP_1) | instskip(NEXT) | instid1(VALU_DEP_1)
	v_mul_f32_e32 v17, 0x37800000, v16
	v_cndmask_b32_e32 v16, v16, v17, vcc_lo
	v_cmp_class_f32_e64 vcc_lo, v7, 0x260
	s_delay_alu instid0(VALU_DEP_2) | instskip(NEXT) | instid1(VALU_DEP_1)
	v_cndmask_b32_e32 v7, v16, v7, vcc_lo
	v_mul_f32_e32 v16, v14, v7
.LBB39_113:                             ;   in Loop: Header=BB39_12 Depth=3
	s_or_b32 exec_lo, exec_lo, s77
                                        ; implicit-def: $vgpr7
                                        ; implicit-def: $vgpr14
	s_and_not1_saveexec_b32 s76, s76
	s_cbranch_execz .LBB39_73
.LBB39_114:                             ;   in Loop: Header=BB39_12 Depth=3
	v_div_scale_f32 v16, null, v7, v7, v14
	v_div_scale_f32 v19, vcc_lo, v14, v7, v14
	s_delay_alu instid0(VALU_DEP_2) | instskip(SKIP_2) | instid1(VALU_DEP_1)
	v_rcp_f32_e32 v17, v16
	s_waitcnt_depctr 0xfff
	v_fma_f32 v18, -v16, v17, 1.0
	v_fmac_f32_e32 v17, v18, v17
	s_delay_alu instid0(VALU_DEP_1) | instskip(NEXT) | instid1(VALU_DEP_1)
	v_mul_f32_e32 v18, v19, v17
	v_fma_f32 v39, -v16, v18, v19
	s_delay_alu instid0(VALU_DEP_1) | instskip(NEXT) | instid1(VALU_DEP_1)
	v_fmac_f32_e32 v18, v39, v17
	v_fma_f32 v16, -v16, v18, v19
	s_delay_alu instid0(VALU_DEP_1) | instskip(NEXT) | instid1(VALU_DEP_1)
	v_div_fmas_f32 v16, v16, v17, v18
	v_div_fixup_f32 v14, v16, v7, v14
	s_delay_alu instid0(VALU_DEP_1) | instskip(NEXT) | instid1(VALU_DEP_1)
	v_fma_f32 v14, v14, v14, 1.0
	v_mul_f32_e32 v16, 0x4f800000, v14
	v_cmp_gt_f32_e32 vcc_lo, 0xf800000, v14
	s_delay_alu instid0(VALU_DEP_2) | instskip(NEXT) | instid1(VALU_DEP_1)
	v_cndmask_b32_e32 v14, v14, v16, vcc_lo
	v_sqrt_f32_e32 v16, v14
	s_waitcnt_depctr 0xfff
	v_add_nc_u32_e32 v17, -1, v16
	v_add_nc_u32_e32 v18, 1, v16
	s_delay_alu instid0(VALU_DEP_2) | instskip(NEXT) | instid1(VALU_DEP_2)
	v_fma_f32 v19, -v17, v16, v14
	v_fma_f32 v39, -v18, v16, v14
	s_delay_alu instid0(VALU_DEP_2) | instskip(NEXT) | instid1(VALU_DEP_1)
	v_cmp_ge_f32_e64 s12, 0, v19
	v_cndmask_b32_e64 v16, v16, v17, s12
	s_delay_alu instid0(VALU_DEP_3) | instskip(NEXT) | instid1(VALU_DEP_1)
	v_cmp_lt_f32_e64 s12, 0, v39
	v_cndmask_b32_e64 v16, v16, v18, s12
	s_delay_alu instid0(VALU_DEP_1) | instskip(NEXT) | instid1(VALU_DEP_1)
	v_mul_f32_e32 v17, 0x37800000, v16
	v_cndmask_b32_e32 v16, v16, v17, vcc_lo
	v_cmp_class_f32_e64 vcc_lo, v14, 0x260
	s_delay_alu instid0(VALU_DEP_2) | instskip(NEXT) | instid1(VALU_DEP_1)
	v_cndmask_b32_e32 v14, v16, v14, vcc_lo
	v_mul_f32_e32 v16, v7, v14
	s_or_b32 exec_lo, exec_lo, s76
	s_delay_alu instid0(VALU_DEP_1) | instskip(NEXT) | instid1(VALU_DEP_1)
	v_cmp_class_f32_e64 s76, v16, 0x1f8
	s_and_saveexec_b32 s12, s76
	s_cbranch_execnz .LBB39_74
	s_branch .LBB39_75
.LBB39_115:                             ;   in Loop: Header=BB39_12 Depth=3
	v_mov_b32_e32 v16, 0
	s_mov_b32 s78, exec_lo
	v_cmpx_neq_f32_e32 0, v17
	s_cbranch_execz .LBB39_117
; %bb.116:                              ;   in Loop: Header=BB39_12 Depth=3
	v_div_scale_f32 v16, null, v14, v14, v7
	v_div_scale_f32 v19, vcc_lo, v7, v14, v7
	s_delay_alu instid0(VALU_DEP_2) | instskip(SKIP_2) | instid1(VALU_DEP_1)
	v_rcp_f32_e32 v17, v16
	s_waitcnt_depctr 0xfff
	v_fma_f32 v18, -v16, v17, 1.0
	v_fmac_f32_e32 v17, v18, v17
	s_delay_alu instid0(VALU_DEP_1) | instskip(NEXT) | instid1(VALU_DEP_1)
	v_mul_f32_e32 v18, v19, v17
	v_fma_f32 v39, -v16, v18, v19
	s_delay_alu instid0(VALU_DEP_1) | instskip(NEXT) | instid1(VALU_DEP_1)
	v_fmac_f32_e32 v18, v39, v17
	v_fma_f32 v16, -v16, v18, v19
	s_delay_alu instid0(VALU_DEP_1) | instskip(NEXT) | instid1(VALU_DEP_1)
	v_div_fmas_f32 v16, v16, v17, v18
	v_div_fixup_f32 v7, v16, v14, v7
	s_delay_alu instid0(VALU_DEP_1) | instskip(NEXT) | instid1(VALU_DEP_1)
	v_fma_f32 v7, v7, v7, 1.0
	v_mul_f32_e32 v16, 0x4f800000, v7
	v_cmp_gt_f32_e32 vcc_lo, 0xf800000, v7
	s_delay_alu instid0(VALU_DEP_2) | instskip(NEXT) | instid1(VALU_DEP_1)
	v_cndmask_b32_e32 v7, v7, v16, vcc_lo
	v_sqrt_f32_e32 v16, v7
	s_waitcnt_depctr 0xfff
	v_add_nc_u32_e32 v17, -1, v16
	v_add_nc_u32_e32 v18, 1, v16
	s_delay_alu instid0(VALU_DEP_2) | instskip(NEXT) | instid1(VALU_DEP_2)
	v_fma_f32 v19, -v17, v16, v7
	v_fma_f32 v39, -v18, v16, v7
	s_delay_alu instid0(VALU_DEP_2) | instskip(NEXT) | instid1(VALU_DEP_1)
	v_cmp_ge_f32_e64 s12, 0, v19
	v_cndmask_b32_e64 v16, v16, v17, s12
	s_delay_alu instid0(VALU_DEP_3) | instskip(NEXT) | instid1(VALU_DEP_1)
	v_cmp_lt_f32_e64 s12, 0, v39
	v_cndmask_b32_e64 v16, v16, v18, s12
	s_delay_alu instid0(VALU_DEP_1) | instskip(NEXT) | instid1(VALU_DEP_1)
	v_mul_f32_e32 v17, 0x37800000, v16
	v_cndmask_b32_e32 v16, v16, v17, vcc_lo
	v_cmp_class_f32_e64 vcc_lo, v7, 0x260
	s_delay_alu instid0(VALU_DEP_2) | instskip(NEXT) | instid1(VALU_DEP_1)
	v_cndmask_b32_e32 v7, v16, v7, vcc_lo
	v_mul_f32_e32 v16, v14, v7
.LBB39_117:                             ;   in Loop: Header=BB39_12 Depth=3
	s_or_b32 exec_lo, exec_lo, s78
                                        ; implicit-def: $vgpr7
                                        ; implicit-def: $vgpr14
	s_and_not1_saveexec_b32 s77, s77
	s_cbranch_execz .LBB39_57
.LBB39_118:                             ;   in Loop: Header=BB39_12 Depth=3
	v_div_scale_f32 v16, null, v7, v7, v14
	v_div_scale_f32 v19, vcc_lo, v14, v7, v14
	s_delay_alu instid0(VALU_DEP_2) | instskip(SKIP_2) | instid1(VALU_DEP_1)
	v_rcp_f32_e32 v17, v16
	s_waitcnt_depctr 0xfff
	v_fma_f32 v18, -v16, v17, 1.0
	v_fmac_f32_e32 v17, v18, v17
	s_delay_alu instid0(VALU_DEP_1) | instskip(NEXT) | instid1(VALU_DEP_1)
	v_mul_f32_e32 v18, v19, v17
	v_fma_f32 v39, -v16, v18, v19
	s_delay_alu instid0(VALU_DEP_1) | instskip(NEXT) | instid1(VALU_DEP_1)
	v_fmac_f32_e32 v18, v39, v17
	v_fma_f32 v16, -v16, v18, v19
	s_delay_alu instid0(VALU_DEP_1) | instskip(NEXT) | instid1(VALU_DEP_1)
	v_div_fmas_f32 v16, v16, v17, v18
	v_div_fixup_f32 v14, v16, v7, v14
	s_delay_alu instid0(VALU_DEP_1) | instskip(NEXT) | instid1(VALU_DEP_1)
	v_fma_f32 v14, v14, v14, 1.0
	v_mul_f32_e32 v16, 0x4f800000, v14
	v_cmp_gt_f32_e32 vcc_lo, 0xf800000, v14
	s_delay_alu instid0(VALU_DEP_2) | instskip(NEXT) | instid1(VALU_DEP_1)
	v_cndmask_b32_e32 v14, v14, v16, vcc_lo
	v_sqrt_f32_e32 v16, v14
	s_waitcnt_depctr 0xfff
	v_add_nc_u32_e32 v17, -1, v16
	v_add_nc_u32_e32 v18, 1, v16
	s_delay_alu instid0(VALU_DEP_2) | instskip(NEXT) | instid1(VALU_DEP_2)
	v_fma_f32 v19, -v17, v16, v14
	v_fma_f32 v39, -v18, v16, v14
	s_delay_alu instid0(VALU_DEP_2) | instskip(NEXT) | instid1(VALU_DEP_1)
	v_cmp_ge_f32_e64 s12, 0, v19
	v_cndmask_b32_e64 v16, v16, v17, s12
	s_delay_alu instid0(VALU_DEP_3) | instskip(NEXT) | instid1(VALU_DEP_1)
	v_cmp_lt_f32_e64 s12, 0, v39
	v_cndmask_b32_e64 v16, v16, v18, s12
	s_delay_alu instid0(VALU_DEP_1) | instskip(NEXT) | instid1(VALU_DEP_1)
	v_mul_f32_e32 v17, 0x37800000, v16
	v_cndmask_b32_e32 v16, v16, v17, vcc_lo
	v_cmp_class_f32_e64 vcc_lo, v14, 0x260
	s_delay_alu instid0(VALU_DEP_2) | instskip(NEXT) | instid1(VALU_DEP_1)
	v_cndmask_b32_e32 v14, v16, v14, vcc_lo
	v_mul_f32_e32 v16, v7, v14
	s_or_b32 exec_lo, exec_lo, s77
	s_delay_alu instid0(VALU_DEP_1) | instskip(NEXT) | instid1(VALU_DEP_1)
	v_cmp_class_f32_e64 s77, v16, 0x1f8
	s_and_saveexec_b32 s12, s77
	s_cbranch_execnz .LBB39_58
	s_branch .LBB39_59
.LBB39_119:                             ;   in Loop: Header=BB39_3 Depth=1
	v_xor_b32_e32 v7, 8, v22
	v_xor_b32_e32 v6, 4, v22
	;; [unrolled: 1-line block ×4, first 2 shown]
	s_and_b32 vcc_lo, exec_lo, s58
	s_cbranch_vccnz .LBB39_122
; %bb.120:                              ;   in Loop: Header=BB39_3 Depth=1
	s_and_not1_b32 vcc_lo, exec_lo, s33
	s_cbranch_vccz .LBB39_137
.LBB39_121:                             ;   in Loop: Header=BB39_3 Depth=1
	s_and_saveexec_b32 s12, s9
	s_cbranch_execnz .LBB39_152
	s_branch .LBB39_163
.LBB39_122:                             ;   in Loop: Header=BB39_3 Depth=1
	v_cmp_gt_i32_e32 vcc_lo, 32, v7
	v_cndmask_b32_e32 v8, v22, v7, vcc_lo
	v_cmp_gt_i32_e32 vcc_lo, 32, v6
	v_cndmask_b32_e32 v9, v22, v6, vcc_lo
	s_delay_alu instid0(VALU_DEP_1) | instskip(NEXT) | instid1(VALU_DEP_4)
	v_lshlrev_b32_e32 v9, 2, v9
	v_lshlrev_b32_e32 v8, 2, v8
	ds_bpermute_b32 v8, v8, v2
	s_waitcnt lgkmcnt(0)
	v_cmp_lt_f32_e32 vcc_lo, v2, v8
	v_cndmask_b32_e32 v2, v2, v8, vcc_lo
	v_cmp_gt_i32_e32 vcc_lo, 32, v5
	ds_bpermute_b32 v8, v9, v2
	v_cndmask_b32_e32 v9, v22, v5, vcc_lo
	s_delay_alu instid0(VALU_DEP_1)
	v_lshlrev_b32_e32 v9, 2, v9
	s_waitcnt lgkmcnt(0)
	v_cmp_lt_f32_e32 vcc_lo, v2, v8
	v_cndmask_b32_e32 v2, v2, v8, vcc_lo
	v_cmp_gt_i32_e32 vcc_lo, 32, v3
	ds_bpermute_b32 v8, v9, v2
	v_cndmask_b32_e32 v9, v22, v3, vcc_lo
	s_waitcnt lgkmcnt(0)
	v_cmp_lt_f32_e32 vcc_lo, v2, v8
	v_cndmask_b32_e32 v2, v2, v8, vcc_lo
	s_delay_alu instid0(VALU_DEP_3)
	v_lshlrev_b32_e32 v8, 2, v9
	ds_bpermute_b32 v8, v8, v2
	s_and_saveexec_b32 s11, s2
	s_cbranch_execz .LBB39_124
; %bb.123:                              ;   in Loop: Header=BB39_3 Depth=1
	s_waitcnt lgkmcnt(0)
	v_cmp_lt_f32_e32 vcc_lo, v2, v8
	v_cndmask_b32_e32 v2, v2, v8, vcc_lo
	ds_store_b32 v25, v2
.LBB39_124:                             ;   in Loop: Header=BB39_3 Depth=1
	s_or_b32 exec_lo, exec_lo, s11
	s_waitcnt lgkmcnt(0)
	s_waitcnt_vscnt null, 0x0
	s_barrier
	buffer_gl0_inv
	s_and_saveexec_b32 s11, s3
	s_cbranch_execz .LBB39_126
; %bb.125:                              ;   in Loop: Header=BB39_3 Depth=1
	ds_load_2addr_b32 v[8:9], v20 offset1:32
	s_waitcnt lgkmcnt(0)
	v_cmp_lt_f32_e32 vcc_lo, v8, v9
	v_cndmask_b32_e32 v2, v8, v9, vcc_lo
	ds_store_b32 v20, v2
.LBB39_126:                             ;   in Loop: Header=BB39_3 Depth=1
	s_or_b32 exec_lo, exec_lo, s11
	s_waitcnt lgkmcnt(0)
	s_barrier
	buffer_gl0_inv
	s_and_saveexec_b32 s11, s4
	s_cbranch_execz .LBB39_128
; %bb.127:                              ;   in Loop: Header=BB39_3 Depth=1
	ds_load_2addr_b32 v[8:9], v20 offset1:16
	s_waitcnt lgkmcnt(0)
	v_cmp_lt_f32_e32 vcc_lo, v8, v9
	v_cndmask_b32_e32 v2, v8, v9, vcc_lo
	ds_store_b32 v20, v2
.LBB39_128:                             ;   in Loop: Header=BB39_3 Depth=1
	s_or_b32 exec_lo, exec_lo, s11
	s_waitcnt lgkmcnt(0)
	;; [unrolled: 13-line block ×5, first 2 shown]
	s_barrier
	buffer_gl0_inv
	s_and_saveexec_b32 s11, s8
	s_cbranch_execz .LBB39_136
; %bb.135:                              ;   in Loop: Header=BB39_3 Depth=1
	ds_load_b64 v[8:9], v29
	s_waitcnt lgkmcnt(0)
	v_cmp_lt_f32_e32 vcc_lo, v8, v9
	v_cndmask_b32_e32 v2, v8, v9, vcc_lo
	ds_store_b32 v29, v2
.LBB39_136:                             ;   in Loop: Header=BB39_3 Depth=1
	s_or_b32 exec_lo, exec_lo, s11
	s_waitcnt lgkmcnt(0)
	s_barrier
	buffer_gl0_inv
	ds_load_b32 v2, v29
	s_load_b32 s11, s[56:57], 0x0
	s_waitcnt lgkmcnt(0)
	v_div_scale_f32 v8, null, s11, s11, v2
	s_delay_alu instid0(VALU_DEP_1) | instskip(SKIP_2) | instid1(VALU_DEP_1)
	v_rcp_f32_e32 v9, v8
	s_waitcnt_depctr 0xfff
	v_fma_f32 v10, -v8, v9, 1.0
	v_fmac_f32_e32 v9, v10, v9
	v_div_scale_f32 v10, vcc_lo, v2, s11, v2
	s_delay_alu instid0(VALU_DEP_1) | instskip(NEXT) | instid1(VALU_DEP_1)
	v_mul_f32_e32 v11, v10, v9
	v_fma_f32 v12, -v8, v11, v10
	s_delay_alu instid0(VALU_DEP_1) | instskip(NEXT) | instid1(VALU_DEP_1)
	v_fmac_f32_e32 v11, v12, v9
	v_fma_f32 v8, -v8, v11, v10
	s_delay_alu instid0(VALU_DEP_1) | instskip(NEXT) | instid1(VALU_DEP_1)
	v_div_fmas_f32 v8, v8, v9, v11
	v_div_fixup_f32 v2, v8, s11, v2
	s_and_not1_b32 vcc_lo, exec_lo, s33
	s_cbranch_vccnz .LBB39_121
.LBB39_137:                             ;   in Loop: Header=BB39_3 Depth=1
	v_cmp_gt_i32_e32 vcc_lo, 32, v7
	v_cndmask_b32_e32 v7, v22, v7, vcc_lo
	v_cmp_gt_i32_e32 vcc_lo, 32, v6
	v_cndmask_b32_e32 v6, v22, v6, vcc_lo
	s_delay_alu instid0(VALU_DEP_1) | instskip(NEXT) | instid1(VALU_DEP_4)
	v_lshlrev_b32_e32 v6, 2, v6
	v_lshlrev_b32_e32 v7, 2, v7
	ds_bpermute_b32 v7, v7, v1
	s_waitcnt lgkmcnt(0)
	v_cmp_lt_f32_e32 vcc_lo, v1, v7
	v_cndmask_b32_e32 v1, v1, v7, vcc_lo
	v_cmp_gt_i32_e32 vcc_lo, 32, v5
	ds_bpermute_b32 v6, v6, v1
	v_cndmask_b32_e32 v5, v22, v5, vcc_lo
	s_delay_alu instid0(VALU_DEP_1)
	v_lshlrev_b32_e32 v5, 2, v5
	s_waitcnt lgkmcnt(0)
	v_cmp_lt_f32_e32 vcc_lo, v1, v6
	v_cndmask_b32_e32 v1, v1, v6, vcc_lo
	v_cmp_gt_i32_e32 vcc_lo, 32, v3
	ds_bpermute_b32 v5, v5, v1
	v_cndmask_b32_e32 v3, v22, v3, vcc_lo
	s_delay_alu instid0(VALU_DEP_1)
	v_lshlrev_b32_e32 v3, 2, v3
	s_waitcnt lgkmcnt(0)
	v_cmp_lt_f32_e32 vcc_lo, v1, v5
	v_cndmask_b32_e32 v1, v1, v5, vcc_lo
	ds_bpermute_b32 v3, v3, v1
	s_and_saveexec_b32 s11, s2
	s_cbranch_execz .LBB39_139
; %bb.138:                              ;   in Loop: Header=BB39_3 Depth=1
	s_waitcnt lgkmcnt(0)
	v_cmp_lt_f32_e32 vcc_lo, v1, v3
	v_cndmask_b32_e32 v1, v1, v3, vcc_lo
	ds_store_b32 v25, v1
.LBB39_139:                             ;   in Loop: Header=BB39_3 Depth=1
	s_or_b32 exec_lo, exec_lo, s11
	s_waitcnt lgkmcnt(0)
	s_waitcnt_vscnt null, 0x0
	s_barrier
	buffer_gl0_inv
	s_and_saveexec_b32 s11, s3
	s_cbranch_execz .LBB39_141
; %bb.140:                              ;   in Loop: Header=BB39_3 Depth=1
	ds_load_2addr_b32 v[5:6], v20 offset1:32
	s_waitcnt lgkmcnt(0)
	v_cmp_lt_f32_e32 vcc_lo, v5, v6
	v_cndmask_b32_e32 v1, v5, v6, vcc_lo
	ds_store_b32 v20, v1
.LBB39_141:                             ;   in Loop: Header=BB39_3 Depth=1
	s_or_b32 exec_lo, exec_lo, s11
	s_waitcnt lgkmcnt(0)
	s_barrier
	buffer_gl0_inv
	s_and_saveexec_b32 s11, s4
	s_cbranch_execz .LBB39_143
; %bb.142:                              ;   in Loop: Header=BB39_3 Depth=1
	ds_load_2addr_b32 v[5:6], v20 offset1:16
	s_waitcnt lgkmcnt(0)
	v_cmp_lt_f32_e32 vcc_lo, v5, v6
	v_cndmask_b32_e32 v1, v5, v6, vcc_lo
	ds_store_b32 v20, v1
.LBB39_143:                             ;   in Loop: Header=BB39_3 Depth=1
	s_or_b32 exec_lo, exec_lo, s11
	s_waitcnt lgkmcnt(0)
	;; [unrolled: 13-line block ×5, first 2 shown]
	s_barrier
	buffer_gl0_inv
	s_and_saveexec_b32 s11, s8
	s_cbranch_execz .LBB39_151
; %bb.150:                              ;   in Loop: Header=BB39_3 Depth=1
	ds_load_b64 v[5:6], v29
	s_waitcnt lgkmcnt(0)
	v_cmp_lt_f32_e32 vcc_lo, v5, v6
	v_cndmask_b32_e32 v1, v5, v6, vcc_lo
	ds_store_b32 v29, v1
.LBB39_151:                             ;   in Loop: Header=BB39_3 Depth=1
	s_or_b32 exec_lo, exec_lo, s11
	s_waitcnt lgkmcnt(0)
	s_barrier
	buffer_gl0_inv
	ds_load_b32 v1, v29
	s_load_b32 s11, s[56:57], 0x0
	s_waitcnt lgkmcnt(0)
	v_div_scale_f32 v3, null, s11, s11, v1
	s_delay_alu instid0(VALU_DEP_1) | instskip(SKIP_2) | instid1(VALU_DEP_1)
	v_rcp_f32_e32 v5, v3
	s_waitcnt_depctr 0xfff
	v_fma_f32 v6, -v3, v5, 1.0
	v_fmac_f32_e32 v5, v6, v5
	v_div_scale_f32 v6, vcc_lo, v1, s11, v1
	s_delay_alu instid0(VALU_DEP_1) | instskip(NEXT) | instid1(VALU_DEP_1)
	v_mul_f32_e32 v7, v6, v5
	v_fma_f32 v8, -v3, v7, v6
	s_delay_alu instid0(VALU_DEP_1) | instskip(NEXT) | instid1(VALU_DEP_1)
	v_fmac_f32_e32 v7, v8, v5
	v_fma_f32 v3, -v3, v7, v6
	s_delay_alu instid0(VALU_DEP_1) | instskip(NEXT) | instid1(VALU_DEP_1)
	v_div_fmas_f32 v3, v3, v5, v7
	v_div_fixup_f32 v1, v3, s11, v1
	s_and_saveexec_b32 s12, s9
	s_cbranch_execz .LBB39_163
.LBB39_152:                             ;   in Loop: Header=BB39_3 Depth=1
	v_mov_b32_e32 v5, v24
	s_mov_b32 s13, 0
	s_branch .LBB39_154
.LBB39_153:                             ;   in Loop: Header=BB39_154 Depth=2
	s_or_b32 exec_lo, exec_lo, s68
	v_add_nc_u32_e32 v5, 64, v5
	s_delay_alu instid0(VALU_DEP_1) | instskip(SKIP_1) | instid1(SALU_CYCLE_1)
	v_cmp_le_u32_e32 vcc_lo, s64, v5
	s_or_b32 s13, vcc_lo, s13
	s_and_not1_b32 exec_lo, exec_lo, s13
	s_cbranch_execz .LBB39_163
.LBB39_154:                             ;   Parent Loop BB39_3 Depth=1
                                        ; =>  This Loop Header: Depth=2
                                        ;       Child Loop BB39_157 Depth 3
                                        ;       Child Loop BB39_160 Depth 3
	s_mov_b32 s68, exec_lo
	s_delay_alu instid0(VALU_DEP_1)
	v_cmpx_gt_i32_e64 s53, v5
	s_cbranch_execz .LBB39_153
; %bb.155:                              ;   in Loop: Header=BB39_154 Depth=2
	v_ashrrev_i32_e32 v6, 31, v5
	s_mov_b32 s69, exec_lo
	s_delay_alu instid0(VALU_DEP_1) | instskip(NEXT) | instid1(VALU_DEP_1)
	v_lshlrev_b64 v[7:8], 2, v[5:6]
	v_add_co_u32 v9, vcc_lo, s24, v7
	s_delay_alu instid0(VALU_DEP_2)
	v_add_co_ci_u32_e32 v10, vcc_lo, s25, v8, vcc_lo
	v_add_co_u32 v11, vcc_lo, s26, v7
	v_add_co_ci_u32_e32 v12, vcc_lo, s27, v8, vcc_lo
	global_load_b32 v3, v[9:10], off
	global_load_b32 v10, v[11:12], off
	s_waitcnt vmcnt(1)
	v_add_nc_u32_e32 v9, v27, v3
	s_waitcnt vmcnt(0)
	v_subrev_nc_u32_e32 v3, s62, v10
	s_delay_alu instid0(VALU_DEP_1)
	v_cmpx_lt_i32_e64 v9, v3
	s_cbranch_execz .LBB39_158
; %bb.156:                              ;   in Loop: Header=BB39_154 Depth=2
	v_ashrrev_i32_e32 v10, 31, v9
	s_mov_b32 s70, 0
	s_delay_alu instid0(VALU_DEP_1) | instskip(NEXT) | instid1(VALU_DEP_1)
	v_lshlrev_b64 v[12:13], 3, v[9:10]
	v_add_co_u32 v10, vcc_lo, s54, v12
	s_delay_alu instid0(VALU_DEP_2)
	v_add_co_ci_u32_e32 v11, vcc_lo, s55, v13, vcc_lo
	v_add_co_u32 v12, vcc_lo, s30, v12
	v_add_co_ci_u32_e32 v13, vcc_lo, s31, v13, vcc_lo
	.p2align	6
.LBB39_157:                             ;   Parent Loop BB39_3 Depth=1
                                        ;     Parent Loop BB39_154 Depth=2
                                        ; =>    This Inner Loop Header: Depth=3
	global_load_b64 v[14:15], v[10:11], off
	v_add_nc_u32_e32 v9, 16, v9
	v_add_co_u32 v10, vcc_lo, 0x80, v10
	v_add_co_ci_u32_e32 v11, vcc_lo, 0, v11, vcc_lo
	s_delay_alu instid0(VALU_DEP_3) | instskip(SKIP_4) | instid1(VALU_DEP_1)
	v_cmp_ge_i32_e32 vcc_lo, v9, v3
	s_or_b32 s70, vcc_lo, s70
	s_waitcnt vmcnt(0)
	global_store_b64 v[12:13], v[14:15], off
	v_add_co_u32 v12, s11, 0x80, v12
	v_add_co_ci_u32_e64 v13, s11, 0, v13, s11
	s_and_not1_b32 exec_lo, exec_lo, s70
	s_cbranch_execnz .LBB39_157
.LBB39_158:                             ;   in Loop: Header=BB39_154 Depth=2
	s_or_b32 exec_lo, exec_lo, s69
	v_add_co_u32 v9, vcc_lo, s16, v7
	v_add_co_ci_u32_e32 v10, vcc_lo, s17, v8, vcc_lo
	v_add_co_u32 v7, vcc_lo, s18, v7
	v_add_co_ci_u32_e32 v8, vcc_lo, s19, v8, vcc_lo
	s_mov_b32 s69, exec_lo
	global_load_b32 v3, v[9:10], off
	global_load_b32 v8, v[7:8], off
	s_waitcnt vmcnt(1)
	v_add_nc_u32_e32 v7, v28, v3
	s_waitcnt vmcnt(0)
	v_subrev_nc_u32_e32 v3, s63, v8
	s_delay_alu instid0(VALU_DEP_1)
	v_cmpx_lt_i32_e64 v7, v3
	s_cbranch_execz .LBB39_161
; %bb.159:                              ;   in Loop: Header=BB39_154 Depth=2
	v_ashrrev_i32_e32 v8, 31, v7
	s_mov_b32 s70, 0
	s_delay_alu instid0(VALU_DEP_1) | instskip(NEXT) | instid1(VALU_DEP_1)
	v_lshlrev_b64 v[10:11], 3, v[7:8]
	v_add_co_u32 v8, vcc_lo, s14, v10
	s_delay_alu instid0(VALU_DEP_2)
	v_add_co_ci_u32_e32 v9, vcc_lo, s15, v11, vcc_lo
	v_add_co_u32 v10, vcc_lo, s22, v10
	v_add_co_ci_u32_e32 v11, vcc_lo, s23, v11, vcc_lo
	.p2align	6
.LBB39_160:                             ;   Parent Loop BB39_3 Depth=1
                                        ;     Parent Loop BB39_154 Depth=2
                                        ; =>    This Inner Loop Header: Depth=3
	global_load_b64 v[12:13], v[8:9], off
	v_add_nc_u32_e32 v7, 16, v7
	v_add_co_u32 v8, vcc_lo, 0x80, v8
	v_add_co_ci_u32_e32 v9, vcc_lo, 0, v9, vcc_lo
	s_delay_alu instid0(VALU_DEP_3) | instskip(SKIP_4) | instid1(VALU_DEP_1)
	v_cmp_ge_i32_e32 vcc_lo, v7, v3
	s_or_b32 s70, vcc_lo, s70
	s_waitcnt vmcnt(0)
	global_store_b64 v[10:11], v[12:13], off
	v_add_co_u32 v10, s11, 0x80, v10
	v_add_co_ci_u32_e64 v11, s11, 0, v11, s11
	s_and_not1_b32 exec_lo, exec_lo, s70
	s_cbranch_execnz .LBB39_160
.LBB39_161:                             ;   in Loop: Header=BB39_154 Depth=2
	s_or_b32 exec_lo, exec_lo, s69
	s_delay_alu instid0(SALU_CYCLE_1)
	s_and_b32 exec_lo, exec_lo, s10
	s_cbranch_execz .LBB39_153
; %bb.162:                              ;   in Loop: Header=BB39_154 Depth=2
	v_lshlrev_b64 v[6:7], 3, v[5:6]
	s_delay_alu instid0(VALU_DEP_1) | instskip(NEXT) | instid1(VALU_DEP_2)
	v_add_co_u32 v8, vcc_lo, s50, v6
	v_add_co_ci_u32_e32 v9, vcc_lo, s51, v7, vcc_lo
	v_add_co_u32 v6, vcc_lo, s48, v6
	v_add_co_ci_u32_e32 v7, vcc_lo, s49, v7, vcc_lo
	global_load_b64 v[8:9], v[8:9], off
	s_waitcnt vmcnt(0)
	global_store_b64 v[6:7], v[8:9], off
	s_branch .LBB39_153
.LBB39_163:                             ;   in Loop: Header=BB39_3 Depth=1
	s_or_b32 exec_lo, exec_lo, s12
	s_mov_b32 s12, -1
	s_and_b32 vcc_lo, exec_lo, s59
	s_mov_b32 s11, -1
	s_cbranch_vccz .LBB39_173
; %bb.164:                              ;   in Loop: Header=BB39_3 Depth=1
	s_and_b32 vcc_lo, exec_lo, s66
                                        ; implicit-def: $sgpr13
	s_cbranch_vccz .LBB39_170
; %bb.165:                              ;   in Loop: Header=BB39_3 Depth=1
	s_and_b32 vcc_lo, exec_lo, s65
                                        ; implicit-def: $sgpr13
	s_cbranch_vccz .LBB39_167
; %bb.166:                              ;   in Loop: Header=BB39_3 Depth=1
	v_cmp_ge_f32_e32 vcc_lo, s52, v1
	s_mov_b32 s11, 0
	s_and_b32 s13, vcc_lo, exec_lo
.LBB39_167:                             ;   in Loop: Header=BB39_3 Depth=1
	s_and_not1_b32 vcc_lo, exec_lo, s11
	s_cbranch_vccnz .LBB39_169
; %bb.168:                              ;   in Loop: Header=BB39_3 Depth=1
	v_cmp_ge_f32_e32 vcc_lo, s52, v2
	s_and_not1_b32 s11, s13, exec_lo
	s_and_b32 s13, vcc_lo, exec_lo
	s_delay_alu instid0(SALU_CYCLE_1)
	s_or_b32 s13, s11, s13
.LBB39_169:                             ;   in Loop: Header=BB39_3 Depth=1
	s_mov_b32 s11, 0
.LBB39_170:                             ;   in Loop: Header=BB39_3 Depth=1
	s_delay_alu instid0(SALU_CYCLE_1)
	s_and_not1_b32 vcc_lo, exec_lo, s11
	s_cbranch_vccnz .LBB39_172
; %bb.171:                              ;   in Loop: Header=BB39_3 Depth=1
	v_cmp_ge_f32_e32 vcc_lo, s52, v2
	v_cmp_ge_f32_e64 s11, s52, v1
	s_and_not1_b32 s13, s13, exec_lo
	s_delay_alu instid0(VALU_DEP_1) | instskip(NEXT) | instid1(SALU_CYCLE_1)
	s_and_b32 s11, vcc_lo, s11
	s_and_b32 s11, s11, exec_lo
	s_delay_alu instid0(SALU_CYCLE_1)
	s_or_b32 s13, s13, s11
.LBB39_172:                             ;   in Loop: Header=BB39_3 Depth=1
	s_delay_alu instid0(SALU_CYCLE_1)
	s_xor_b32 s11, s13, -1
.LBB39_173:                             ;   in Loop: Header=BB39_3 Depth=1
	v_mov_b32_e32 v3, s67
	s_and_saveexec_b32 s13, s11
	s_cbranch_execz .LBB39_2
; %bb.174:                              ;   in Loop: Header=BB39_3 Depth=1
	s_add_i32 s67, s67, 1
	v_mov_b32_e32 v3, s35
	s_cmp_eq_u32 s67, s35
	s_cselect_b32 s11, -1, 0
	s_delay_alu instid0(SALU_CYCLE_1)
	s_or_not1_b32 s12, s11, exec_lo
	s_branch .LBB39_2
.LBB39_175:
	s_or_b32 exec_lo, exec_lo, s60
.LBB39_176:
	s_delay_alu instid0(SALU_CYCLE_1) | instskip(NEXT) | instid1(SALU_CYCLE_1)
	s_or_b32 exec_lo, exec_lo, s34
	s_and_not1_b32 vcc_lo, exec_lo, s59
	s_cbranch_vccnz .LBB39_195
; %bb.177:
	v_xor_b32_e32 v4, 8, v22
	v_xor_b32_e32 v5, 4, v22
	s_mov_b32 s2, exec_lo
	s_delay_alu instid0(VALU_DEP_2) | instskip(SKIP_1) | instid1(VALU_DEP_3)
	v_cmp_gt_i32_e32 vcc_lo, 32, v4
	v_cndmask_b32_e32 v4, v22, v4, vcc_lo
	v_cmp_gt_i32_e32 vcc_lo, 32, v5
	v_cndmask_b32_e32 v5, v22, v5, vcc_lo
	s_delay_alu instid0(VALU_DEP_1) | instskip(NEXT) | instid1(VALU_DEP_4)
	v_lshlrev_b32_e32 v5, 2, v5
	v_lshlrev_b32_e32 v4, 2, v4
	ds_bpermute_b32 v4, v4, v3
	s_waitcnt lgkmcnt(0)
	v_max_i32_e32 v3, v3, v4
	ds_bpermute_b32 v4, v5, v3
	v_xor_b32_e32 v5, 2, v22
	s_delay_alu instid0(VALU_DEP_1) | instskip(SKIP_1) | instid1(VALU_DEP_1)
	v_cmp_gt_i32_e32 vcc_lo, 32, v5
	v_cndmask_b32_e32 v5, v22, v5, vcc_lo
	v_lshlrev_b32_e32 v5, 2, v5
	s_waitcnt lgkmcnt(0)
	v_max_i32_e32 v3, v3, v4
	ds_bpermute_b32 v4, v5, v3
	v_xor_b32_e32 v5, 1, v22
	s_delay_alu instid0(VALU_DEP_1) | instskip(SKIP_3) | instid1(VALU_DEP_2)
	v_cmp_gt_i32_e32 vcc_lo, 32, v5
	v_cndmask_b32_e32 v5, v22, v5, vcc_lo
	s_waitcnt lgkmcnt(0)
	v_max_i32_e32 v3, v3, v4
	v_lshlrev_b32_e32 v4, 2, v5
	ds_bpermute_b32 v4, v4, v3
	v_cmpx_eq_u32_e32 15, v23
	s_cbranch_execz .LBB39_179
; %bb.178:
	v_lshlrev_b32_e32 v5, 2, v21
	s_waitcnt lgkmcnt(0)
	v_max_i32_e32 v3, v3, v4
	ds_store_b32 v5, v3 offset:256
.LBB39_179:
	s_or_b32 exec_lo, exec_lo, s2
	s_delay_alu instid0(SALU_CYCLE_1)
	s_mov_b32 s2, exec_lo
	s_waitcnt lgkmcnt(0)
	s_waitcnt_vscnt null, 0x0
	s_barrier
	buffer_gl0_inv
	v_cmpx_gt_u32_e32 32, v0
	s_cbranch_execz .LBB39_181
; %bb.180:
	ds_load_2addr_b32 v[3:4], v20 offset0:64 offset1:96
	s_waitcnt lgkmcnt(0)
	v_max_i32_e32 v3, v3, v4
	ds_store_b32 v20, v3 offset:256
.LBB39_181:
	s_or_b32 exec_lo, exec_lo, s2
	s_delay_alu instid0(SALU_CYCLE_1)
	s_mov_b32 s2, exec_lo
	s_waitcnt lgkmcnt(0)
	s_barrier
	buffer_gl0_inv
	v_cmpx_gt_u32_e32 16, v0
	s_cbranch_execz .LBB39_183
; %bb.182:
	ds_load_2addr_b32 v[3:4], v20 offset0:64 offset1:80
	s_waitcnt lgkmcnt(0)
	v_max_i32_e32 v3, v3, v4
	ds_store_b32 v20, v3 offset:256
.LBB39_183:
	s_or_b32 exec_lo, exec_lo, s2
	s_delay_alu instid0(SALU_CYCLE_1)
	s_mov_b32 s2, exec_lo
	s_waitcnt lgkmcnt(0)
	;; [unrolled: 14-line block ×4, first 2 shown]
	s_barrier
	buffer_gl0_inv
	v_cmpx_gt_u32_e32 2, v0
	s_cbranch_execz .LBB39_189
; %bb.188:
	ds_load_2addr_b32 v[3:4], v20 offset0:64 offset1:66
	s_waitcnt lgkmcnt(0)
	v_max_i32_e32 v3, v3, v4
	ds_store_b32 v20, v3 offset:256
.LBB39_189:
	s_or_b32 exec_lo, exec_lo, s2
	v_cmp_eq_u32_e32 vcc_lo, 0, v0
	s_waitcnt lgkmcnt(0)
	s_barrier
	buffer_gl0_inv
	s_and_saveexec_b32 s2, vcc_lo
	s_cbranch_execz .LBB39_191
; %bb.190:
	v_mov_b32_e32 v5, 0
	ds_load_b64 v[3:4], v5 offset:256
	s_waitcnt lgkmcnt(0)
	v_max_i32_e32 v3, v3, v4
	ds_store_b32 v5, v3 offset:256
.LBB39_191:
	s_or_b32 exec_lo, exec_lo, s2
	s_waitcnt lgkmcnt(0)
	s_barrier
	buffer_gl0_inv
	s_and_saveexec_b32 s2, vcc_lo
	s_cbranch_execz .LBB39_194
; %bb.192:
	v_mbcnt_lo_u32_b32 v3, exec_lo, 0
	s_delay_alu instid0(VALU_DEP_1)
	v_cmp_eq_u32_e32 vcc_lo, 0, v3
	s_and_b32 exec_lo, exec_lo, vcc_lo
	s_cbranch_execz .LBB39_194
; %bb.193:
	v_mov_b32_e32 v3, 0
	s_load_b64 s[0:1], s[0:1], 0x8
	ds_load_b32 v4, v3 offset:256
	s_waitcnt lgkmcnt(0)
	v_add_nc_u32_e32 v4, 1, v4
	global_atomic_max_i32 v3, v4, s[0:1]
.LBB39_194:
	s_or_b32 exec_lo, exec_lo, s2
.LBB39_195:
	v_cmp_eq_u32_e32 vcc_lo, 0, v0
	s_mov_b32 s2, 0
	s_and_b32 s0, vcc_lo, s58
	s_delay_alu instid0(SALU_CYCLE_1)
	s_and_saveexec_b32 s3, s0
	s_cbranch_execz .LBB39_200
; %bb.196:
	v_mov_b32_e32 v0, 0
	v_cmp_eq_f32_e64 s0, 0, v2
                                        ; implicit-def: $sgpr4
                                        ; implicit-def: $sgpr5
	global_load_b32 v3, v0, s[44:45] glc
	s_waitcnt vmcnt(0)
	v_cmp_eq_u32_e64 s6, 0x80000000, v3
	s_set_inst_prefetch_distance 0x1
	s_branch .LBB39_198
	.p2align	6
.LBB39_197:                             ;   in Loop: Header=BB39_198 Depth=1
	s_or_b32 exec_lo, exec_lo, s7
	s_delay_alu instid0(SALU_CYCLE_1) | instskip(NEXT) | instid1(SALU_CYCLE_1)
	s_and_b32 s1, exec_lo, s4
	s_or_b32 s2, s1, s2
	s_and_not1_b32 s1, s6, exec_lo
	s_and_b32 s6, s5, exec_lo
	s_delay_alu instid0(SALU_CYCLE_1)
	s_or_b32 s6, s1, s6
	s_and_not1_b32 exec_lo, exec_lo, s2
	s_cbranch_execz .LBB39_200
.LBB39_198:                             ; =>This Inner Loop Header: Depth=1
	v_cmp_lt_f32_e64 s1, v3, v2
	s_delay_alu instid0(VALU_DEP_2) | instskip(SKIP_2) | instid1(VALU_DEP_1)
	s_and_b32 s7, s0, s6
	s_and_not1_b32 s5, s5, exec_lo
	s_or_b32 s4, s4, exec_lo
	s_or_b32 s1, s1, s7
	s_delay_alu instid0(SALU_CYCLE_1)
	s_and_saveexec_b32 s7, s1
	s_cbranch_execz .LBB39_197
; %bb.199:                              ;   in Loop: Header=BB39_198 Depth=1
	global_atomic_cmpswap_b32 v4, v0, v[2:3], s[44:45] glc
	s_and_not1_b32 s5, s5, exec_lo
	s_and_not1_b32 s4, s4, exec_lo
	s_waitcnt vmcnt(0)
	v_cmp_eq_u32_e64 s1, v4, v3
	s_delay_alu instid0(VALU_DEP_1) | instskip(SKIP_1) | instid1(SALU_CYCLE_1)
	v_cndmask_b32_e64 v3, v4, v3, s1
	s_and_b32 s1, s1, exec_lo
	s_or_b32 s4, s4, s1
	s_delay_alu instid0(VALU_DEP_1) | instskip(SKIP_1) | instid1(VALU_DEP_2)
	v_cmp_class_f32_e64 s6, v3, 32
	v_mov_b32_e32 v3, v4
	s_and_b32 s6, s6, exec_lo
	s_delay_alu instid0(SALU_CYCLE_1)
	s_or_b32 s5, s5, s6
                                        ; implicit-def: $sgpr6
	s_branch .LBB39_197
.LBB39_200:
	s_set_inst_prefetch_distance 0x2
	s_or_b32 exec_lo, exec_lo, s3
	s_and_b32 s0, vcc_lo, s33
	s_delay_alu instid0(SALU_CYCLE_1)
	s_and_saveexec_b32 s1, s0
	s_cbranch_execz .LBB39_205
; %bb.201:
	v_mov_b32_e32 v0, 0
	v_cmp_eq_f32_e32 vcc_lo, 0, v1
	s_mov_b32 s1, 0
                                        ; implicit-def: $sgpr2
                                        ; implicit-def: $sgpr3
	global_load_b32 v2, v0, s[46:47] glc
	s_waitcnt vmcnt(0)
	v_cmp_eq_u32_e64 s4, 0x80000000, v2
	s_set_inst_prefetch_distance 0x1
	s_branch .LBB39_203
	.p2align	6
.LBB39_202:                             ;   in Loop: Header=BB39_203 Depth=1
	s_or_b32 exec_lo, exec_lo, s5
	s_delay_alu instid0(SALU_CYCLE_1) | instskip(NEXT) | instid1(SALU_CYCLE_1)
	s_and_b32 s0, exec_lo, s2
	s_or_b32 s1, s0, s1
	s_and_not1_b32 s0, s4, exec_lo
	s_and_b32 s4, s3, exec_lo
	s_delay_alu instid0(SALU_CYCLE_1)
	s_or_b32 s4, s0, s4
	s_and_not1_b32 exec_lo, exec_lo, s1
	s_cbranch_execz .LBB39_205
.LBB39_203:                             ; =>This Inner Loop Header: Depth=1
	v_cmp_lt_f32_e64 s0, v2, v1
	s_delay_alu instid0(VALU_DEP_2) | instskip(SKIP_2) | instid1(VALU_DEP_1)
	s_and_b32 s5, vcc_lo, s4
	s_and_not1_b32 s3, s3, exec_lo
	s_or_b32 s2, s2, exec_lo
	s_or_b32 s0, s0, s5
	s_delay_alu instid0(SALU_CYCLE_1)
	s_and_saveexec_b32 s5, s0
	s_cbranch_execz .LBB39_202
; %bb.204:                              ;   in Loop: Header=BB39_203 Depth=1
	global_atomic_cmpswap_b32 v3, v0, v[1:2], s[46:47] glc
	s_and_not1_b32 s3, s3, exec_lo
	s_and_not1_b32 s2, s2, exec_lo
	s_waitcnt vmcnt(0)
	v_cmp_eq_u32_e64 s0, v3, v2
	s_delay_alu instid0(VALU_DEP_1) | instskip(SKIP_1) | instid1(SALU_CYCLE_1)
	v_cndmask_b32_e64 v2, v3, v2, s0
	s_and_b32 s0, s0, exec_lo
	s_or_b32 s2, s2, s0
	s_delay_alu instid0(VALU_DEP_1) | instskip(SKIP_1) | instid1(VALU_DEP_2)
	v_cmp_class_f32_e64 s4, v2, 32
	v_mov_b32_e32 v2, v3
	s_and_b32 s4, s4, exec_lo
	s_delay_alu instid0(SALU_CYCLE_1)
	s_or_b32 s3, s3, s4
                                        ; implicit-def: $sgpr4
	s_branch .LBB39_202
.LBB39_205:
	s_set_inst_prefetch_distance 0x2
	s_nop 0
	s_sendmsg sendmsg(MSG_DEALLOC_VGPRS)
	s_endpgm
	.section	.rodata,"a",@progbits
	.p2align	6, 0x0
	.amdhsa_kernel _ZN9rocsparseL6kernelILi1024ELi16E21rocsparse_complex_numIfEiiEEvbbbT3_PS3_NS_15floating_traitsIT1_E6data_tES3_T2_PKS9_SB_PKS3_PKS6_21rocsparse_index_base_SB_SB_SD_PS6_SH_SG_SB_SB_SD_SH_SH_SG_SH_SH_PS8_SI_PKS8_
		.amdhsa_group_segment_fixed_size 512
		.amdhsa_private_segment_fixed_size 0
		.amdhsa_kernarg_size 208
		.amdhsa_user_sgpr_count 15
		.amdhsa_user_sgpr_dispatch_ptr 0
		.amdhsa_user_sgpr_queue_ptr 0
		.amdhsa_user_sgpr_kernarg_segment_ptr 1
		.amdhsa_user_sgpr_dispatch_id 0
		.amdhsa_user_sgpr_private_segment_size 0
		.amdhsa_wavefront_size32 1
		.amdhsa_uses_dynamic_stack 0
		.amdhsa_enable_private_segment 0
		.amdhsa_system_sgpr_workgroup_id_x 1
		.amdhsa_system_sgpr_workgroup_id_y 0
		.amdhsa_system_sgpr_workgroup_id_z 0
		.amdhsa_system_sgpr_workgroup_info 0
		.amdhsa_system_vgpr_workitem_id 0
		.amdhsa_next_free_vgpr 44
		.amdhsa_next_free_sgpr 81
		.amdhsa_reserve_vcc 1
		.amdhsa_float_round_mode_32 0
		.amdhsa_float_round_mode_16_64 0
		.amdhsa_float_denorm_mode_32 3
		.amdhsa_float_denorm_mode_16_64 3
		.amdhsa_dx10_clamp 1
		.amdhsa_ieee_mode 1
		.amdhsa_fp16_overflow 0
		.amdhsa_workgroup_processor_mode 1
		.amdhsa_memory_ordered 1
		.amdhsa_forward_progress 0
		.amdhsa_shared_vgpr_count 0
		.amdhsa_exception_fp_ieee_invalid_op 0
		.amdhsa_exception_fp_denorm_src 0
		.amdhsa_exception_fp_ieee_div_zero 0
		.amdhsa_exception_fp_ieee_overflow 0
		.amdhsa_exception_fp_ieee_underflow 0
		.amdhsa_exception_fp_ieee_inexact 0
		.amdhsa_exception_int_div_zero 0
	.end_amdhsa_kernel
	.section	.text._ZN9rocsparseL6kernelILi1024ELi16E21rocsparse_complex_numIfEiiEEvbbbT3_PS3_NS_15floating_traitsIT1_E6data_tES3_T2_PKS9_SB_PKS3_PKS6_21rocsparse_index_base_SB_SB_SD_PS6_SH_SG_SB_SB_SD_SH_SH_SG_SH_SH_PS8_SI_PKS8_,"axG",@progbits,_ZN9rocsparseL6kernelILi1024ELi16E21rocsparse_complex_numIfEiiEEvbbbT3_PS3_NS_15floating_traitsIT1_E6data_tES3_T2_PKS9_SB_PKS3_PKS6_21rocsparse_index_base_SB_SB_SD_PS6_SH_SG_SB_SB_SD_SH_SH_SG_SH_SH_PS8_SI_PKS8_,comdat
.Lfunc_end39:
	.size	_ZN9rocsparseL6kernelILi1024ELi16E21rocsparse_complex_numIfEiiEEvbbbT3_PS3_NS_15floating_traitsIT1_E6data_tES3_T2_PKS9_SB_PKS3_PKS6_21rocsparse_index_base_SB_SB_SD_PS6_SH_SG_SB_SB_SD_SH_SH_SG_SH_SH_PS8_SI_PKS8_, .Lfunc_end39-_ZN9rocsparseL6kernelILi1024ELi16E21rocsparse_complex_numIfEiiEEvbbbT3_PS3_NS_15floating_traitsIT1_E6data_tES3_T2_PKS9_SB_PKS3_PKS6_21rocsparse_index_base_SB_SB_SD_PS6_SH_SG_SB_SB_SD_SH_SH_SG_SH_SH_PS8_SI_PKS8_
                                        ; -- End function
	.section	.AMDGPU.csdata,"",@progbits
; Kernel info:
; codeLenInByte = 9980
; NumSgprs: 83
; NumVgprs: 44
; ScratchSize: 0
; MemoryBound: 0
; FloatMode: 240
; IeeeMode: 1
; LDSByteSize: 512 bytes/workgroup (compile time only)
; SGPRBlocks: 10
; VGPRBlocks: 5
; NumSGPRsForWavesPerEU: 83
; NumVGPRsForWavesPerEU: 44
; Occupancy: 16
; WaveLimiterHint : 1
; COMPUTE_PGM_RSRC2:SCRATCH_EN: 0
; COMPUTE_PGM_RSRC2:USER_SGPR: 15
; COMPUTE_PGM_RSRC2:TRAP_HANDLER: 0
; COMPUTE_PGM_RSRC2:TGID_X_EN: 1
; COMPUTE_PGM_RSRC2:TGID_Y_EN: 0
; COMPUTE_PGM_RSRC2:TGID_Z_EN: 0
; COMPUTE_PGM_RSRC2:TIDIG_COMP_CNT: 0
	.section	.text._ZN9rocsparseL6kernelILi1024ELi32E21rocsparse_complex_numIfEiiEEvbbbT3_PS3_NS_15floating_traitsIT1_E6data_tES3_T2_PKS9_SB_PKS3_PKS6_21rocsparse_index_base_SB_SB_SD_PS6_SH_SG_SB_SB_SD_SH_SH_SG_SH_SH_PS8_SI_PKS8_,"axG",@progbits,_ZN9rocsparseL6kernelILi1024ELi32E21rocsparse_complex_numIfEiiEEvbbbT3_PS3_NS_15floating_traitsIT1_E6data_tES3_T2_PKS9_SB_PKS3_PKS6_21rocsparse_index_base_SB_SB_SD_PS6_SH_SG_SB_SB_SD_SH_SH_SG_SH_SH_PS8_SI_PKS8_,comdat
	.globl	_ZN9rocsparseL6kernelILi1024ELi32E21rocsparse_complex_numIfEiiEEvbbbT3_PS3_NS_15floating_traitsIT1_E6data_tES3_T2_PKS9_SB_PKS3_PKS6_21rocsparse_index_base_SB_SB_SD_PS6_SH_SG_SB_SB_SD_SH_SH_SG_SH_SH_PS8_SI_PKS8_ ; -- Begin function _ZN9rocsparseL6kernelILi1024ELi32E21rocsparse_complex_numIfEiiEEvbbbT3_PS3_NS_15floating_traitsIT1_E6data_tES3_T2_PKS9_SB_PKS3_PKS6_21rocsparse_index_base_SB_SB_SD_PS6_SH_SG_SB_SB_SD_SH_SH_SG_SH_SH_PS8_SI_PKS8_
	.p2align	8
	.type	_ZN9rocsparseL6kernelILi1024ELi32E21rocsparse_complex_numIfEiiEEvbbbT3_PS3_NS_15floating_traitsIT1_E6data_tES3_T2_PKS9_SB_PKS3_PKS6_21rocsparse_index_base_SB_SB_SD_PS6_SH_SG_SB_SB_SD_SH_SH_SG_SH_SH_PS8_SI_PKS8_,@function
_ZN9rocsparseL6kernelILi1024ELi32E21rocsparse_complex_numIfEiiEEvbbbT3_PS3_NS_15floating_traitsIT1_E6data_tES3_T2_PKS9_SB_PKS3_PKS6_21rocsparse_index_base_SB_SB_SD_PS6_SH_SG_SB_SB_SD_SH_SH_SG_SH_SH_PS8_SI_PKS8_: ; @_ZN9rocsparseL6kernelILi1024ELi32E21rocsparse_complex_numIfEiiEEvbbbT3_PS3_NS_15floating_traitsIT1_E6data_tES3_T2_PKS9_SB_PKS3_PKS6_21rocsparse_index_base_SB_SB_SD_PS6_SH_SG_SB_SB_SD_SH_SH_SG_SH_SH_PS8_SI_PKS8_
; %bb.0:
	s_clause 0x3
	s_load_b32 s2, s[0:1], 0x0
	s_load_b64 s[12:13], s[0:1], 0x0
	s_load_b64 s[34:35], s[0:1], 0x10
	s_load_b128 s[44:47], s[0:1], 0xb8
	v_lshrrev_b32_e32 v21, 5, v0
	v_dual_mov_b32 v3, 0 :: v_dual_lshlrev_b32 v20, 2, v0
	v_mbcnt_lo_u32_b32 v22, -1, 0
	v_dual_mov_b32 v2, 0 :: v_dual_mov_b32 v1, 0
	v_and_b32_e32 v23, 31, v0
	s_mov_b32 s59, 0
	ds_store_b32 v20, v3
	s_waitcnt lgkmcnt(0)
	s_barrier
	buffer_gl0_inv
	s_bitcmp1_b32 s2, 0
	s_cselect_b32 s57, -1, 0
	s_bitcmp1_b32 s2, 8
	s_cselect_b32 s56, -1, 0
	;; [unrolled: 2-line block ×3, first 2 shown]
	s_lshl_b32 s63, s15, 10
	s_cmp_gt_i32 s13, 0
	v_or_b32_e32 v24, s63, v21
	s_cselect_b32 s2, -1, 0
	s_delay_alu instid0(VALU_DEP_1) | instskip(SKIP_1) | instid1(SALU_CYCLE_1)
	v_cmp_gt_i32_e32 vcc_lo, s35, v24
	s_and_b32 s2, s2, vcc_lo
	s_and_saveexec_b32 s58, s2
	s_cbranch_execz .LBB40_172
; %bb.1:
	s_clause 0x9
	s_load_b32 s60, s[0:1], 0x40
	s_load_b32 s61, s[0:1], 0x70
	s_load_b32 s62, s[0:1], 0xa0
	s_load_b64 s[14:15], s[0:1], 0x98
	s_load_b64 s[52:53], s[0:1], 0x68
	;; [unrolled: 1-line block ×3, first 2 shown]
	s_load_b128 s[48:51], s[0:1], 0xa8
	s_load_b256 s[16:23], s[0:1], 0x78
	s_load_b256 s[24:31], s[0:1], 0x48
	;; [unrolled: 1-line block ×3, first 2 shown]
	s_addk_i32 s63, 0x400
	v_cmp_eq_u32_e64 s2, 31, v23
	v_dual_mov_b32 v4, 0 :: v_dual_lshlrev_b32 v25, 2, v21
	v_cmp_gt_u32_e64 s3, 16, v0
	v_cmp_gt_u32_e64 s4, 8, v0
	;; [unrolled: 1-line block ×4, first 2 shown]
	v_cmp_eq_u32_e64 s7, 0, v0
	v_cmp_gt_u32_e64 s8, s63, v24
	s_waitcnt lgkmcnt(0)
	v_subrev_nc_u32_e32 v26, s60, v23
	v_subrev_nc_u32_e32 v27, s61, v23
	;; [unrolled: 1-line block ×3, first 2 shown]
	v_cmp_eq_u32_e64 s9, 0, v23
	v_dual_mov_b32 v29, 0 :: v_dual_mov_b32 v2, 0
	v_mov_b32_e32 v1, 0
	s_and_b32 s10, s56, s33
	s_xor_b32 s64, s56, -1
	s_xor_b32 s65, s10, -1
	s_mov_b32 s66, 0
	s_branch .LBB40_3
.LBB40_2:                               ;   in Loop: Header=BB40_3 Depth=1
	s_or_b32 exec_lo, exec_lo, s12
	s_delay_alu instid0(SALU_CYCLE_1) | instskip(NEXT) | instid1(SALU_CYCLE_1)
	s_and_b32 s10, exec_lo, s11
	s_or_b32 s59, s10, s59
	s_delay_alu instid0(SALU_CYCLE_1)
	s_and_not1_b32 exec_lo, exec_lo, s59
	s_cbranch_execz .LBB40_171
.LBB40_3:                               ; =>This Loop Header: Depth=1
                                        ;     Child Loop BB40_7 Depth 2
                                        ;       Child Loop BB40_12 Depth 3
                                        ;         Child Loop BB40_16 Depth 4
                                        ;         Child Loop BB40_51 Depth 4
                                        ;         Child Loop BB40_67 Depth 4
                                        ;         Child Loop BB40_89 Depth 4
                                        ;         Child Loop BB40_102 Depth 4
                                        ;     Child Loop BB40_150 Depth 2
                                        ;       Child Loop BB40_153 Depth 3
                                        ;       Child Loop BB40_156 Depth 3
	v_cndmask_b32_e64 v2, v2, 0, s56
	v_cndmask_b32_e64 v1, v1, 0, s33
	s_mov_b32 s67, 0
	s_branch .LBB40_7
.LBB40_4:                               ;   in Loop: Header=BB40_7 Depth=2
	s_or_b32 exec_lo, exec_lo, s70
.LBB40_5:                               ;   in Loop: Header=BB40_7 Depth=2
	s_delay_alu instid0(SALU_CYCLE_1)
	s_or_b32 exec_lo, exec_lo, s69
.LBB40_6:                               ;   in Loop: Header=BB40_7 Depth=2
	s_delay_alu instid0(SALU_CYCLE_1) | instskip(SKIP_1) | instid1(SALU_CYCLE_1)
	s_or_b32 exec_lo, exec_lo, s68
	s_add_i32 s67, s67, 1
	s_cmp_eq_u32 s67, 32
	s_cbranch_scc1 .LBB40_119
.LBB40_7:                               ;   Parent Loop BB40_3 Depth=1
                                        ; =>  This Loop Header: Depth=2
                                        ;       Child Loop BB40_12 Depth 3
                                        ;         Child Loop BB40_16 Depth 4
                                        ;         Child Loop BB40_51 Depth 4
	;; [unrolled: 1-line block ×5, first 2 shown]
	v_lshl_add_u32 v5, s67, 5, v24
	s_mov_b32 s68, exec_lo
	s_delay_alu instid0(VALU_DEP_1)
	v_cmpx_gt_i32_e64 s35, v5
	s_cbranch_execz .LBB40_6
; %bb.8:                                ;   in Loop: Header=BB40_7 Depth=2
	v_ashrrev_i32_e32 v6, 31, v5
	s_mov_b32 s69, exec_lo
	s_delay_alu instid0(VALU_DEP_1) | instskip(NEXT) | instid1(VALU_DEP_1)
	v_lshlrev_b64 v[7:8], 2, v[5:6]
	v_add_co_u32 v9, vcc_lo, s36, v7
	s_delay_alu instid0(VALU_DEP_2)
	v_add_co_ci_u32_e32 v10, vcc_lo, s37, v8, vcc_lo
	v_add_co_u32 v11, vcc_lo, s38, v7
	v_add_co_ci_u32_e32 v12, vcc_lo, s39, v8, vcc_lo
	global_load_b32 v3, v[9:10], off
	global_load_b32 v9, v[11:12], off
	s_waitcnt vmcnt(1)
	v_add_nc_u32_e32 v6, v26, v3
	s_waitcnt vmcnt(0)
	v_subrev_nc_u32_e32 v30, s60, v9
	s_delay_alu instid0(VALU_DEP_1)
	v_cmpx_lt_i32_e64 v6, v30
	s_cbranch_execz .LBB40_5
; %bb.9:                                ;   in Loop: Header=BB40_7 Depth=2
	v_add_co_u32 v9, vcc_lo, s24, v7
	v_add_co_ci_u32_e32 v10, vcc_lo, s25, v8, vcc_lo
	v_add_co_u32 v7, vcc_lo, s26, v7
	v_add_co_ci_u32_e32 v8, vcc_lo, s27, v8, vcc_lo
	global_load_b32 v3, v[9:10], off
	s_mov_b32 s70, 0
	global_load_b32 v7, v[7:8], off
	s_waitcnt vmcnt(1)
	v_subrev_nc_u32_e32 v8, s61, v3
	s_waitcnt vmcnt(0)
	v_sub_nc_u32_e32 v31, v7, v3
	s_delay_alu instid0(VALU_DEP_2) | instskip(NEXT) | instid1(VALU_DEP_2)
	v_ashrrev_i32_e32 v9, 31, v8
	v_cmp_lt_i32_e64 s10, 0, v31
	s_delay_alu instid0(VALU_DEP_2) | instskip(SKIP_1) | instid1(VALU_DEP_2)
	v_lshlrev_b64 v[10:11], 2, v[8:9]
	v_lshlrev_b64 v[12:13], 3, v[8:9]
	v_add_co_u32 v32, vcc_lo, s28, v10
	s_delay_alu instid0(VALU_DEP_3) | instskip(NEXT) | instid1(VALU_DEP_3)
	v_add_co_ci_u32_e32 v33, vcc_lo, s29, v11, vcc_lo
	v_add_co_u32 v34, vcc_lo, s30, v12
	s_delay_alu instid0(VALU_DEP_4)
	v_add_co_ci_u32_e32 v35, vcc_lo, s31, v13, vcc_lo
	s_branch .LBB40_12
.LBB40_10:                              ;   in Loop: Header=BB40_12 Depth=3
	s_or_b32 exec_lo, exec_lo, s11
.LBB40_11:                              ;   in Loop: Header=BB40_12 Depth=3
	s_delay_alu instid0(SALU_CYCLE_1) | instskip(SKIP_1) | instid1(VALU_DEP_1)
	s_or_b32 exec_lo, exec_lo, s12
	v_add_nc_u32_e32 v6, 32, v6
	v_cmp_ge_i32_e32 vcc_lo, v6, v30
	s_or_b32 s70, vcc_lo, s70
	s_delay_alu instid0(SALU_CYCLE_1)
	s_and_not1_b32 exec_lo, exec_lo, s70
	s_cbranch_execz .LBB40_4
.LBB40_12:                              ;   Parent Loop BB40_3 Depth=1
                                        ;     Parent Loop BB40_7 Depth=2
                                        ; =>    This Loop Header: Depth=3
                                        ;         Child Loop BB40_16 Depth 4
                                        ;         Child Loop BB40_51 Depth 4
	;; [unrolled: 1-line block ×5, first 2 shown]
	v_ashrrev_i32_e32 v7, 31, v6
	v_dual_mov_b32 v36, 0 :: v_dual_mov_b32 v37, 0
	v_mov_b32_e32 v15, 0
	s_delay_alu instid0(VALU_DEP_3) | instskip(NEXT) | instid1(VALU_DEP_1)
	v_lshlrev_b64 v[9:10], 2, v[6:7]
	v_add_co_u32 v9, vcc_lo, s40, v9
	s_delay_alu instid0(VALU_DEP_2) | instskip(SKIP_4) | instid1(VALU_DEP_2)
	v_add_co_ci_u32_e32 v10, vcc_lo, s41, v10, vcc_lo
	global_load_b32 v3, v[9:10], off
	s_waitcnt vmcnt(0)
	v_subrev_nc_u32_e32 v9, s60, v3
	v_mov_b32_e32 v3, 0
	v_ashrrev_i32_e32 v10, 31, v9
	s_delay_alu instid0(VALU_DEP_1) | instskip(NEXT) | instid1(VALU_DEP_1)
	v_lshlrev_b64 v[11:12], 2, v[9:10]
	v_add_co_u32 v13, vcc_lo, s16, v11
	s_delay_alu instid0(VALU_DEP_2)
	v_add_co_ci_u32_e32 v14, vcc_lo, s17, v12, vcc_lo
	v_add_co_u32 v11, vcc_lo, s18, v11
	v_add_co_ci_u32_e32 v12, vcc_lo, s19, v12, vcc_lo
	global_load_b32 v14, v[13:14], off
	global_load_b32 v11, v[11:12], off
	s_waitcnt vmcnt(1)
	v_subrev_nc_u32_e32 v13, s62, v14
	s_waitcnt vmcnt(0)
	v_sub_nc_u32_e32 v38, v11, v14
	s_and_saveexec_b32 s12, s10
	s_cbranch_execz .LBB40_20
; %bb.13:                               ;   in Loop: Header=BB40_12 Depth=3
	v_ashrrev_i32_e32 v14, 31, v13
	v_dual_mov_b32 v15, 0 :: v_dual_mov_b32 v36, 0
	v_mov_b32_e32 v37, 0
	s_mov_b32 s71, 0
	s_delay_alu instid0(VALU_DEP_3) | instskip(SKIP_2) | instid1(VALU_DEP_3)
	v_lshlrev_b64 v[11:12], 2, v[13:14]
	v_lshlrev_b64 v[16:17], 3, v[13:14]
	v_mov_b32_e32 v3, v15
                                        ; implicit-def: $sgpr72
	v_add_co_u32 v11, vcc_lo, s20, v11
	s_delay_alu instid0(VALU_DEP_4) | instskip(NEXT) | instid1(VALU_DEP_4)
	v_add_co_ci_u32_e32 v12, vcc_lo, s21, v12, vcc_lo
	v_add_co_u32 v14, vcc_lo, s22, v16
	v_add_co_ci_u32_e32 v17, vcc_lo, s23, v17, vcc_lo
	s_branch .LBB40_16
.LBB40_14:                              ;   in Loop: Header=BB40_16 Depth=4
	s_or_b32 exec_lo, exec_lo, s11
	v_cmp_le_i32_e32 vcc_lo, v18, v19
	v_cmp_ge_i32_e64 s11, v18, v19
	v_add_co_ci_u32_e32 v3, vcc_lo, 0, v3, vcc_lo
	s_delay_alu instid0(VALU_DEP_2) | instskip(SKIP_1) | instid1(VALU_DEP_2)
	v_add_co_ci_u32_e64 v15, s11, 0, v15, s11
	s_and_not1_b32 s11, s72, exec_lo
	v_cmp_ge_i32_e32 vcc_lo, v3, v31
	s_and_b32 s72, vcc_lo, exec_lo
	s_delay_alu instid0(SALU_CYCLE_1)
	s_or_b32 s72, s11, s72
.LBB40_15:                              ;   in Loop: Header=BB40_16 Depth=4
	s_or_b32 exec_lo, exec_lo, s73
	s_delay_alu instid0(SALU_CYCLE_1) | instskip(NEXT) | instid1(SALU_CYCLE_1)
	s_and_b32 s11, exec_lo, s72
	s_or_b32 s71, s11, s71
	s_delay_alu instid0(SALU_CYCLE_1)
	s_and_not1_b32 exec_lo, exec_lo, s71
	s_cbranch_execz .LBB40_19
.LBB40_16:                              ;   Parent Loop BB40_3 Depth=1
                                        ;     Parent Loop BB40_7 Depth=2
                                        ;       Parent Loop BB40_12 Depth=3
                                        ; =>      This Inner Loop Header: Depth=4
	s_or_b32 s72, s72, exec_lo
	s_mov_b32 s73, exec_lo
	v_cmpx_lt_i32_e64 v15, v38
	s_cbranch_execz .LBB40_15
; %bb.17:                               ;   in Loop: Header=BB40_16 Depth=4
	v_mov_b32_e32 v16, v4
	v_lshlrev_b64 v[18:19], 2, v[3:4]
	s_mov_b32 s11, exec_lo
	s_delay_alu instid0(VALU_DEP_2) | instskip(NEXT) | instid1(VALU_DEP_2)
	v_lshlrev_b64 v[39:40], 2, v[15:16]
	v_add_co_u32 v18, vcc_lo, v32, v18
	s_delay_alu instid0(VALU_DEP_3) | instskip(NEXT) | instid1(VALU_DEP_3)
	v_add_co_ci_u32_e32 v19, vcc_lo, v33, v19, vcc_lo
	v_add_co_u32 v39, vcc_lo, v11, v39
	s_delay_alu instid0(VALU_DEP_4)
	v_add_co_ci_u32_e32 v40, vcc_lo, v12, v40, vcc_lo
	global_load_b32 v18, v[18:19], off
	global_load_b32 v19, v[39:40], off
	s_waitcnt vmcnt(1)
	v_subrev_nc_u32_e32 v18, s61, v18
	s_waitcnt vmcnt(0)
	v_subrev_nc_u32_e32 v19, s62, v19
	s_delay_alu instid0(VALU_DEP_1)
	v_cmpx_eq_u32_e64 v18, v19
	s_cbranch_execz .LBB40_14
; %bb.18:                               ;   in Loop: Header=BB40_16 Depth=4
	v_lshlrev_b64 v[39:40], 3, v[3:4]
	v_lshlrev_b64 v[41:42], 3, v[15:16]
	s_delay_alu instid0(VALU_DEP_2) | instskip(NEXT) | instid1(VALU_DEP_3)
	v_add_co_u32 v39, vcc_lo, v34, v39
	v_add_co_ci_u32_e32 v40, vcc_lo, v35, v40, vcc_lo
	s_delay_alu instid0(VALU_DEP_3) | instskip(NEXT) | instid1(VALU_DEP_4)
	v_add_co_u32 v41, vcc_lo, v14, v41
	v_add_co_ci_u32_e32 v42, vcc_lo, v17, v42, vcc_lo
	global_load_b64 v[39:40], v[39:40], off
	global_load_b64 v[41:42], v[41:42], off
	s_waitcnt vmcnt(0)
	v_fmac_f32_e32 v36, v39, v41
	v_fmac_f32_e32 v37, v40, v41
	s_delay_alu instid0(VALU_DEP_2) | instskip(NEXT) | instid1(VALU_DEP_2)
	v_fma_f32 v36, -v40, v42, v36
	v_fmac_f32_e32 v37, v39, v42
	s_branch .LBB40_14
.LBB40_19:                              ;   in Loop: Header=BB40_12 Depth=3
	s_or_b32 exec_lo, exec_lo, s71
.LBB40_20:                              ;   in Loop: Header=BB40_12 Depth=3
	s_delay_alu instid0(SALU_CYCLE_1) | instskip(SKIP_3) | instid1(VALU_DEP_2)
	s_or_b32 exec_lo, exec_lo, s12
	v_lshlrev_b64 v[11:12], 3, v[6:7]
	v_cmp_le_i32_e64 s11, v5, v9
	s_mov_b32 s71, exec_lo
	v_add_co_u32 v11, vcc_lo, s42, v11
	s_delay_alu instid0(VALU_DEP_3)
	v_add_co_ci_u32_e32 v12, vcc_lo, s43, v12, vcc_lo
	global_load_b64 v[11:12], v[11:12], off
	s_waitcnt vmcnt(0)
	v_dual_sub_f32 v16, v11, v36 :: v_dual_sub_f32 v17, v12, v37
	v_cmpx_gt_i32_e64 v5, v9
	s_cbranch_execz .LBB40_30
; %bb.21:                               ;   in Loop: Header=BB40_12 Depth=3
	v_lshlrev_b64 v[18:19], 3, v[9:10]
                                        ; implicit-def: $vgpr39
	s_mov_b32 s12, exec_lo
	s_delay_alu instid0(VALU_DEP_1) | instskip(NEXT) | instid1(VALU_DEP_2)
	v_add_co_u32 v18, vcc_lo, s48, v18
	v_add_co_ci_u32_e32 v19, vcc_lo, s49, v19, vcc_lo
	global_load_b64 v[18:19], v[18:19], off
	s_waitcnt vmcnt(0)
	v_cmp_gt_f32_e32 vcc_lo, 0, v18
	v_cndmask_b32_e64 v7, v18, -v18, vcc_lo
	v_cmp_gt_f32_e32 vcc_lo, 0, v19
	v_cndmask_b32_e64 v14, v19, -v19, vcc_lo
	s_delay_alu instid0(VALU_DEP_1)
	v_cmpx_ngt_f32_e32 v7, v14
	s_xor_b32 s72, exec_lo, s12
	s_cbranch_execz .LBB40_25
; %bb.22:                               ;   in Loop: Header=BB40_12 Depth=3
	v_mov_b32_e32 v39, 0
	s_mov_b32 s73, exec_lo
	v_cmpx_neq_f32_e32 0, v19
	s_cbranch_execz .LBB40_24
; %bb.23:                               ;   in Loop: Header=BB40_12 Depth=3
	v_div_scale_f32 v39, null, v14, v14, v7
	v_div_scale_f32 v42, vcc_lo, v7, v14, v7
	s_delay_alu instid0(VALU_DEP_2) | instskip(SKIP_2) | instid1(VALU_DEP_1)
	v_rcp_f32_e32 v40, v39
	s_waitcnt_depctr 0xfff
	v_fma_f32 v41, -v39, v40, 1.0
	v_fmac_f32_e32 v40, v41, v40
	s_delay_alu instid0(VALU_DEP_1) | instskip(NEXT) | instid1(VALU_DEP_1)
	v_mul_f32_e32 v41, v42, v40
	v_fma_f32 v43, -v39, v41, v42
	s_delay_alu instid0(VALU_DEP_1) | instskip(NEXT) | instid1(VALU_DEP_1)
	v_fmac_f32_e32 v41, v43, v40
	v_fma_f32 v39, -v39, v41, v42
	s_delay_alu instid0(VALU_DEP_1) | instskip(NEXT) | instid1(VALU_DEP_1)
	v_div_fmas_f32 v39, v39, v40, v41
	v_div_fixup_f32 v7, v39, v14, v7
	s_delay_alu instid0(VALU_DEP_1) | instskip(NEXT) | instid1(VALU_DEP_1)
	v_fma_f32 v7, v7, v7, 1.0
	v_mul_f32_e32 v39, 0x4f800000, v7
	v_cmp_gt_f32_e32 vcc_lo, 0xf800000, v7
	s_delay_alu instid0(VALU_DEP_2) | instskip(NEXT) | instid1(VALU_DEP_1)
	v_cndmask_b32_e32 v7, v7, v39, vcc_lo
	v_sqrt_f32_e32 v39, v7
	s_waitcnt_depctr 0xfff
	v_add_nc_u32_e32 v40, -1, v39
	v_add_nc_u32_e32 v41, 1, v39
	s_delay_alu instid0(VALU_DEP_2) | instskip(NEXT) | instid1(VALU_DEP_2)
	v_fma_f32 v42, -v40, v39, v7
	v_fma_f32 v43, -v41, v39, v7
	s_delay_alu instid0(VALU_DEP_2) | instskip(NEXT) | instid1(VALU_DEP_1)
	v_cmp_ge_f32_e64 s12, 0, v42
	v_cndmask_b32_e64 v39, v39, v40, s12
	s_delay_alu instid0(VALU_DEP_3) | instskip(NEXT) | instid1(VALU_DEP_1)
	v_cmp_lt_f32_e64 s12, 0, v43
	v_cndmask_b32_e64 v39, v39, v41, s12
	s_delay_alu instid0(VALU_DEP_1) | instskip(NEXT) | instid1(VALU_DEP_1)
	v_mul_f32_e32 v40, 0x37800000, v39
	v_cndmask_b32_e32 v39, v39, v40, vcc_lo
	v_cmp_class_f32_e64 vcc_lo, v7, 0x260
	s_delay_alu instid0(VALU_DEP_2) | instskip(NEXT) | instid1(VALU_DEP_1)
	v_cndmask_b32_e32 v7, v39, v7, vcc_lo
	v_mul_f32_e32 v39, v14, v7
.LBB40_24:                              ;   in Loop: Header=BB40_12 Depth=3
	s_or_b32 exec_lo, exec_lo, s73
                                        ; implicit-def: $vgpr7
                                        ; implicit-def: $vgpr14
.LBB40_25:                              ;   in Loop: Header=BB40_12 Depth=3
	s_and_not1_saveexec_b32 s72, s72
	s_cbranch_execz .LBB40_27
; %bb.26:                               ;   in Loop: Header=BB40_12 Depth=3
	v_div_scale_f32 v39, null, v7, v7, v14
	v_div_scale_f32 v42, vcc_lo, v14, v7, v14
	s_delay_alu instid0(VALU_DEP_2) | instskip(SKIP_2) | instid1(VALU_DEP_1)
	v_rcp_f32_e32 v40, v39
	s_waitcnt_depctr 0xfff
	v_fma_f32 v41, -v39, v40, 1.0
	v_fmac_f32_e32 v40, v41, v40
	s_delay_alu instid0(VALU_DEP_1) | instskip(NEXT) | instid1(VALU_DEP_1)
	v_mul_f32_e32 v41, v42, v40
	v_fma_f32 v43, -v39, v41, v42
	s_delay_alu instid0(VALU_DEP_1) | instskip(NEXT) | instid1(VALU_DEP_1)
	v_fmac_f32_e32 v41, v43, v40
	v_fma_f32 v39, -v39, v41, v42
	s_delay_alu instid0(VALU_DEP_1) | instskip(NEXT) | instid1(VALU_DEP_1)
	v_div_fmas_f32 v39, v39, v40, v41
	v_div_fixup_f32 v14, v39, v7, v14
	s_delay_alu instid0(VALU_DEP_1) | instskip(NEXT) | instid1(VALU_DEP_1)
	v_fma_f32 v14, v14, v14, 1.0
	v_mul_f32_e32 v39, 0x4f800000, v14
	v_cmp_gt_f32_e32 vcc_lo, 0xf800000, v14
	s_delay_alu instid0(VALU_DEP_2) | instskip(NEXT) | instid1(VALU_DEP_1)
	v_cndmask_b32_e32 v14, v14, v39, vcc_lo
	v_sqrt_f32_e32 v39, v14
	s_waitcnt_depctr 0xfff
	v_add_nc_u32_e32 v40, -1, v39
	v_add_nc_u32_e32 v41, 1, v39
	s_delay_alu instid0(VALU_DEP_2) | instskip(NEXT) | instid1(VALU_DEP_2)
	v_fma_f32 v42, -v40, v39, v14
	v_fma_f32 v43, -v41, v39, v14
	s_delay_alu instid0(VALU_DEP_2) | instskip(NEXT) | instid1(VALU_DEP_1)
	v_cmp_ge_f32_e64 s12, 0, v42
	v_cndmask_b32_e64 v39, v39, v40, s12
	s_delay_alu instid0(VALU_DEP_3) | instskip(NEXT) | instid1(VALU_DEP_1)
	v_cmp_lt_f32_e64 s12, 0, v43
	v_cndmask_b32_e64 v39, v39, v41, s12
	s_delay_alu instid0(VALU_DEP_1) | instskip(NEXT) | instid1(VALU_DEP_1)
	v_mul_f32_e32 v40, 0x37800000, v39
	v_cndmask_b32_e32 v39, v39, v40, vcc_lo
	v_cmp_class_f32_e64 vcc_lo, v14, 0x260
	s_delay_alu instid0(VALU_DEP_2) | instskip(NEXT) | instid1(VALU_DEP_1)
	v_cndmask_b32_e32 v14, v39, v14, vcc_lo
	v_mul_f32_e32 v39, v7, v14
.LBB40_27:                              ;   in Loop: Header=BB40_12 Depth=3
	s_or_b32 exec_lo, exec_lo, s72
	v_dual_mov_b32 v7, 0 :: v_dual_mov_b32 v14, 0
	s_mov_b32 s12, exec_lo
	s_delay_alu instid0(VALU_DEP_2)
	v_cmpx_lt_f32_e32 0, v39
	s_cbranch_execz .LBB40_29
; %bb.28:                               ;   in Loop: Header=BB40_12 Depth=3
	v_mul_f32_e32 v7, v19, v19
	s_delay_alu instid0(VALU_DEP_1) | instskip(NEXT) | instid1(VALU_DEP_1)
	v_fmac_f32_e32 v7, v18, v18
	v_div_scale_f32 v14, null, v7, v7, 1.0
	v_div_scale_f32 v41, vcc_lo, 1.0, v7, 1.0
	s_delay_alu instid0(VALU_DEP_2) | instskip(SKIP_2) | instid1(VALU_DEP_1)
	v_rcp_f32_e32 v39, v14
	s_waitcnt_depctr 0xfff
	v_fma_f32 v40, -v14, v39, 1.0
	v_fmac_f32_e32 v39, v40, v39
	s_delay_alu instid0(VALU_DEP_1) | instskip(NEXT) | instid1(VALU_DEP_1)
	v_mul_f32_e32 v40, v41, v39
	v_fma_f32 v42, -v14, v40, v41
	s_delay_alu instid0(VALU_DEP_1) | instskip(NEXT) | instid1(VALU_DEP_1)
	v_fmac_f32_e32 v40, v42, v39
	v_fma_f32 v14, -v14, v40, v41
	v_mul_f32_e32 v41, v17, v19
	v_mul_f32_e64 v19, v19, -v16
	s_delay_alu instid0(VALU_DEP_2) | instskip(NEXT) | instid1(VALU_DEP_4)
	v_fmac_f32_e32 v41, v16, v18
	v_div_fmas_f32 v14, v14, v39, v40
	s_delay_alu instid0(VALU_DEP_3) | instskip(NEXT) | instid1(VALU_DEP_2)
	v_fmac_f32_e32 v19, v17, v18
	v_div_fixup_f32 v7, v14, v7, 1.0
	s_delay_alu instid0(VALU_DEP_1) | instskip(NEXT) | instid1(VALU_DEP_3)
	v_mul_f32_e32 v14, v41, v7
	v_mul_f32_e32 v7, v19, v7
.LBB40_29:                              ;   in Loop: Header=BB40_12 Depth=3
	s_or_b32 exec_lo, exec_lo, s12
	s_delay_alu instid0(VALU_DEP_1)
	v_dual_mov_b32 v17, v7 :: v_dual_mov_b32 v16, v14
.LBB40_30:                              ;   in Loop: Header=BB40_12 Depth=3
	s_or_b32 exec_lo, exec_lo, s71
	s_delay_alu instid0(VALU_DEP_1) | instskip(SKIP_4) | instid1(VALU_DEP_1)
	v_cmp_gt_f32_e32 vcc_lo, 0, v16
                                        ; implicit-def: $vgpr18
	s_mov_b32 s12, exec_lo
	v_cndmask_b32_e64 v7, v16, -v16, vcc_lo
	v_cmp_gt_f32_e32 vcc_lo, 0, v17
	v_cndmask_b32_e64 v14, v17, -v17, vcc_lo
	v_cmpx_ngt_f32_e32 v7, v14
	s_xor_b32 s71, exec_lo, s12
	s_cbranch_execnz .LBB40_34
; %bb.31:                               ;   in Loop: Header=BB40_12 Depth=3
	s_and_not1_saveexec_b32 s71, s71
	s_cbranch_execnz .LBB40_37
.LBB40_32:                              ;   in Loop: Header=BB40_12 Depth=3
	s_or_b32 exec_lo, exec_lo, s71
	v_cmp_class_f32_e64 s12, v18, 0x1f8
	s_delay_alu instid0(VALU_DEP_1)
	s_and_saveexec_b32 s71, s12
	s_cbranch_execnz .LBB40_38
.LBB40_33:                              ;   in Loop: Header=BB40_12 Depth=3
	s_or_b32 exec_lo, exec_lo, s71
	s_and_b32 s11, s12, s33
	s_delay_alu instid0(SALU_CYCLE_1)
	s_and_saveexec_b32 s12, s11
	s_cbranch_execz .LBB40_11
	s_branch .LBB40_79
.LBB40_34:                              ;   in Loop: Header=BB40_12 Depth=3
	v_mov_b32_e32 v18, 0
	s_mov_b32 s72, exec_lo
	v_cmpx_neq_f32_e32 0, v17
	s_cbranch_execz .LBB40_36
; %bb.35:                               ;   in Loop: Header=BB40_12 Depth=3
	v_div_scale_f32 v18, null, v14, v14, v7
	v_div_scale_f32 v40, vcc_lo, v7, v14, v7
	s_delay_alu instid0(VALU_DEP_2) | instskip(SKIP_2) | instid1(VALU_DEP_1)
	v_rcp_f32_e32 v19, v18
	s_waitcnt_depctr 0xfff
	v_fma_f32 v39, -v18, v19, 1.0
	v_fmac_f32_e32 v19, v39, v19
	s_delay_alu instid0(VALU_DEP_1) | instskip(NEXT) | instid1(VALU_DEP_1)
	v_mul_f32_e32 v39, v40, v19
	v_fma_f32 v41, -v18, v39, v40
	s_delay_alu instid0(VALU_DEP_1) | instskip(NEXT) | instid1(VALU_DEP_1)
	v_fmac_f32_e32 v39, v41, v19
	v_fma_f32 v18, -v18, v39, v40
	s_delay_alu instid0(VALU_DEP_1) | instskip(NEXT) | instid1(VALU_DEP_1)
	v_div_fmas_f32 v18, v18, v19, v39
	v_div_fixup_f32 v7, v18, v14, v7
	s_delay_alu instid0(VALU_DEP_1) | instskip(NEXT) | instid1(VALU_DEP_1)
	v_fma_f32 v7, v7, v7, 1.0
	v_mul_f32_e32 v18, 0x4f800000, v7
	v_cmp_gt_f32_e32 vcc_lo, 0xf800000, v7
	s_delay_alu instid0(VALU_DEP_2) | instskip(NEXT) | instid1(VALU_DEP_1)
	v_cndmask_b32_e32 v7, v7, v18, vcc_lo
	v_sqrt_f32_e32 v18, v7
	s_waitcnt_depctr 0xfff
	v_add_nc_u32_e32 v19, -1, v18
	v_add_nc_u32_e32 v39, 1, v18
	s_delay_alu instid0(VALU_DEP_2) | instskip(NEXT) | instid1(VALU_DEP_2)
	v_fma_f32 v40, -v19, v18, v7
	v_fma_f32 v41, -v39, v18, v7
	s_delay_alu instid0(VALU_DEP_2) | instskip(NEXT) | instid1(VALU_DEP_1)
	v_cmp_ge_f32_e64 s12, 0, v40
	v_cndmask_b32_e64 v18, v18, v19, s12
	s_delay_alu instid0(VALU_DEP_3) | instskip(NEXT) | instid1(VALU_DEP_1)
	v_cmp_lt_f32_e64 s12, 0, v41
	v_cndmask_b32_e64 v18, v18, v39, s12
	s_delay_alu instid0(VALU_DEP_1) | instskip(NEXT) | instid1(VALU_DEP_1)
	v_mul_f32_e32 v19, 0x37800000, v18
	v_cndmask_b32_e32 v18, v18, v19, vcc_lo
	v_cmp_class_f32_e64 vcc_lo, v7, 0x260
	s_delay_alu instid0(VALU_DEP_2) | instskip(NEXT) | instid1(VALU_DEP_1)
	v_cndmask_b32_e32 v7, v18, v7, vcc_lo
	v_mul_f32_e32 v18, v14, v7
.LBB40_36:                              ;   in Loop: Header=BB40_12 Depth=3
	s_or_b32 exec_lo, exec_lo, s72
                                        ; implicit-def: $vgpr7
                                        ; implicit-def: $vgpr14
	s_and_not1_saveexec_b32 s71, s71
	s_cbranch_execz .LBB40_32
.LBB40_37:                              ;   in Loop: Header=BB40_12 Depth=3
	v_div_scale_f32 v18, null, v7, v7, v14
	v_div_scale_f32 v40, vcc_lo, v14, v7, v14
	s_delay_alu instid0(VALU_DEP_2) | instskip(SKIP_2) | instid1(VALU_DEP_1)
	v_rcp_f32_e32 v19, v18
	s_waitcnt_depctr 0xfff
	v_fma_f32 v39, -v18, v19, 1.0
	v_fmac_f32_e32 v19, v39, v19
	s_delay_alu instid0(VALU_DEP_1) | instskip(NEXT) | instid1(VALU_DEP_1)
	v_mul_f32_e32 v39, v40, v19
	v_fma_f32 v41, -v18, v39, v40
	s_delay_alu instid0(VALU_DEP_1) | instskip(NEXT) | instid1(VALU_DEP_1)
	v_fmac_f32_e32 v39, v41, v19
	v_fma_f32 v18, -v18, v39, v40
	s_delay_alu instid0(VALU_DEP_1) | instskip(NEXT) | instid1(VALU_DEP_1)
	v_div_fmas_f32 v18, v18, v19, v39
	v_div_fixup_f32 v14, v18, v7, v14
	s_delay_alu instid0(VALU_DEP_1) | instskip(NEXT) | instid1(VALU_DEP_1)
	v_fma_f32 v14, v14, v14, 1.0
	v_mul_f32_e32 v18, 0x4f800000, v14
	v_cmp_gt_f32_e32 vcc_lo, 0xf800000, v14
	s_delay_alu instid0(VALU_DEP_2) | instskip(NEXT) | instid1(VALU_DEP_1)
	v_cndmask_b32_e32 v14, v14, v18, vcc_lo
	v_sqrt_f32_e32 v18, v14
	s_waitcnt_depctr 0xfff
	v_add_nc_u32_e32 v19, -1, v18
	v_add_nc_u32_e32 v39, 1, v18
	s_delay_alu instid0(VALU_DEP_2) | instskip(NEXT) | instid1(VALU_DEP_2)
	v_fma_f32 v40, -v19, v18, v14
	v_fma_f32 v41, -v39, v18, v14
	s_delay_alu instid0(VALU_DEP_2) | instskip(NEXT) | instid1(VALU_DEP_1)
	v_cmp_ge_f32_e64 s12, 0, v40
	v_cndmask_b32_e64 v18, v18, v19, s12
	s_delay_alu instid0(VALU_DEP_3) | instskip(NEXT) | instid1(VALU_DEP_1)
	v_cmp_lt_f32_e64 s12, 0, v41
	v_cndmask_b32_e64 v18, v18, v39, s12
	s_delay_alu instid0(VALU_DEP_1) | instskip(NEXT) | instid1(VALU_DEP_1)
	v_mul_f32_e32 v19, 0x37800000, v18
	v_cndmask_b32_e32 v18, v18, v19, vcc_lo
	v_cmp_class_f32_e64 vcc_lo, v14, 0x260
	s_delay_alu instid0(VALU_DEP_2) | instskip(NEXT) | instid1(VALU_DEP_1)
	v_cndmask_b32_e32 v14, v18, v14, vcc_lo
	v_mul_f32_e32 v18, v7, v14
	s_or_b32 exec_lo, exec_lo, s71
	s_delay_alu instid0(VALU_DEP_1) | instskip(NEXT) | instid1(VALU_DEP_1)
	v_cmp_class_f32_e64 s12, v18, 0x1f8
	s_and_saveexec_b32 s71, s12
	s_cbranch_execz .LBB40_33
.LBB40_38:                              ;   in Loop: Header=BB40_12 Depth=3
	s_and_saveexec_b32 s72, s11
	s_delay_alu instid0(SALU_CYCLE_1)
	s_xor_b32 s72, exec_lo, s72
	s_cbranch_execz .LBB40_63
; %bb.39:                               ;   in Loop: Header=BB40_12 Depth=3
	s_mov_b32 s11, exec_lo
	v_cmpx_ge_i32_e64 v5, v9
	s_xor_b32 s73, exec_lo, s11
	s_cbranch_execz .LBB40_47
; %bb.40:                               ;   in Loop: Header=BB40_12 Depth=3
	v_lshlrev_b64 v[18:19], 3, v[9:10]
	s_delay_alu instid0(VALU_DEP_1) | instskip(NEXT) | instid1(VALU_DEP_2)
	v_add_co_u32 v39, vcc_lo, s50, v18
	v_add_co_ci_u32_e32 v40, vcc_lo, s51, v19, vcc_lo
	s_and_not1_b32 vcc_lo, exec_lo, s56
	global_store_b64 v[39:40], v[16:17], off
	s_cbranch_vccnz .LBB40_46
; %bb.41:                               ;   in Loop: Header=BB40_12 Depth=3
	v_add_co_u32 v18, vcc_lo, s48, v18
	v_add_co_ci_u32_e32 v19, vcc_lo, s49, v19, vcc_lo
	s_mov_b32 s11, exec_lo
	global_load_b64 v[18:19], v[18:19], off
	s_waitcnt vmcnt(0)
	v_sub_f32_e32 v7, v18, v16
	v_sub_f32_e32 v17, v19, v17
                                        ; implicit-def: $vgpr16
	s_delay_alu instid0(VALU_DEP_2) | instskip(SKIP_1) | instid1(VALU_DEP_3)
	v_cmp_gt_f32_e32 vcc_lo, 0, v7
	v_cndmask_b32_e64 v7, v7, -v7, vcc_lo
	v_cmp_gt_f32_e32 vcc_lo, 0, v17
	v_cndmask_b32_e64 v14, v17, -v17, vcc_lo
	s_delay_alu instid0(VALU_DEP_1)
	v_cmpx_ngt_f32_e32 v7, v14
	s_xor_b32 s74, exec_lo, s11
	s_cbranch_execnz .LBB40_107
; %bb.42:                               ;   in Loop: Header=BB40_12 Depth=3
	s_and_not1_saveexec_b32 s74, s74
	s_cbranch_execnz .LBB40_110
.LBB40_43:                              ;   in Loop: Header=BB40_12 Depth=3
	s_or_b32 exec_lo, exec_lo, s74
	v_cmp_class_f32_e64 s74, v16, 0x1f8
	s_delay_alu instid0(VALU_DEP_1)
	s_and_saveexec_b32 s11, s74
.LBB40_44:                              ;   in Loop: Header=BB40_12 Depth=3
	v_cmp_lt_f32_e32 vcc_lo, v2, v16
	v_cndmask_b32_e32 v2, v2, v16, vcc_lo
.LBB40_45:                              ;   in Loop: Header=BB40_12 Depth=3
	s_or_b32 exec_lo, exec_lo, s11
.LBB40_46:                              ;   in Loop: Header=BB40_12 Depth=3
                                        ; implicit-def: $vgpr16
.LBB40_47:                              ;   in Loop: Header=BB40_12 Depth=3
	s_and_not1_saveexec_b32 s73, s73
	s_cbranch_execz .LBB40_62
; %bb.48:                               ;   in Loop: Header=BB40_12 Depth=3
	s_mov_b32 s74, exec_lo
	v_cmpx_lt_i32_e64 v15, v38
	s_cbranch_execz .LBB40_61
; %bb.49:                               ;   in Loop: Header=BB40_12 Depth=3
	v_mov_b32_e32 v7, v15
	s_mov_b32 s11, 0
                                        ; implicit-def: $sgpr75
                                        ; implicit-def: $sgpr77
                                        ; implicit-def: $sgpr76
	s_set_inst_prefetch_distance 0x1
	s_branch .LBB40_51
	.p2align	6
.LBB40_50:                              ;   in Loop: Header=BB40_51 Depth=4
	s_or_b32 exec_lo, exec_lo, s78
	s_delay_alu instid0(SALU_CYCLE_1) | instskip(NEXT) | instid1(SALU_CYCLE_1)
	s_and_b32 s78, exec_lo, s77
	s_or_b32 s11, s78, s11
	s_and_not1_b32 s75, s75, exec_lo
	s_and_b32 s78, s76, exec_lo
	s_delay_alu instid0(SALU_CYCLE_1)
	s_or_b32 s75, s75, s78
	s_and_not1_b32 exec_lo, exec_lo, s11
	s_cbranch_execz .LBB40_53
.LBB40_51:                              ;   Parent Loop BB40_3 Depth=1
                                        ;     Parent Loop BB40_7 Depth=2
                                        ;       Parent Loop BB40_12 Depth=3
                                        ; =>      This Inner Loop Header: Depth=4
	s_delay_alu instid0(VALU_DEP_1) | instskip(SKIP_3) | instid1(VALU_DEP_1)
	v_add_nc_u32_e32 v18, v13, v7
	s_or_b32 s76, s76, exec_lo
	s_or_b32 s77, s77, exec_lo
	s_mov_b32 s78, exec_lo
	v_ashrrev_i32_e32 v19, 31, v18
	s_delay_alu instid0(VALU_DEP_1) | instskip(NEXT) | instid1(VALU_DEP_1)
	v_lshlrev_b64 v[39:40], 2, v[18:19]
	v_add_co_u32 v39, vcc_lo, s20, v39
	s_delay_alu instid0(VALU_DEP_2) | instskip(SKIP_3) | instid1(VALU_DEP_1)
	v_add_co_ci_u32_e32 v40, vcc_lo, s21, v40, vcc_lo
	global_load_b32 v14, v[39:40], off
	s_waitcnt vmcnt(0)
	v_subrev_nc_u32_e32 v14, s62, v14
	v_cmpx_ne_u32_e64 v14, v5
	s_cbranch_execz .LBB40_50
; %bb.52:                               ;   in Loop: Header=BB40_51 Depth=4
	v_add_nc_u32_e32 v7, 1, v7
	s_and_not1_b32 s77, s77, exec_lo
	s_and_not1_b32 s76, s76, exec_lo
	s_delay_alu instid0(VALU_DEP_1) | instskip(SKIP_1) | instid1(SALU_CYCLE_1)
	v_cmp_ge_i32_e32 vcc_lo, v7, v38
	s_and_b32 s79, vcc_lo, exec_lo
	s_or_b32 s77, s77, s79
	s_branch .LBB40_50
.LBB40_53:                              ;   in Loop: Header=BB40_12 Depth=3
	s_set_inst_prefetch_distance 0x2
	s_or_b32 exec_lo, exec_lo, s11
	s_and_saveexec_b32 s11, s75
	s_delay_alu instid0(SALU_CYCLE_1)
	s_xor_b32 s75, exec_lo, s11
	s_cbranch_execz .LBB40_60
; %bb.54:                               ;   in Loop: Header=BB40_12 Depth=3
	v_lshlrev_b64 v[18:19], 3, v[18:19]
	s_delay_alu instid0(VALU_DEP_1) | instskip(NEXT) | instid1(VALU_DEP_2)
	v_add_co_u32 v39, vcc_lo, s14, v18
	v_add_co_ci_u32_e32 v40, vcc_lo, s15, v19, vcc_lo
	s_and_not1_b32 vcc_lo, exec_lo, s56
	global_store_b64 v[39:40], v[16:17], off
	s_cbranch_vccnz .LBB40_60
; %bb.55:                               ;   in Loop: Header=BB40_12 Depth=3
	v_add_co_u32 v18, vcc_lo, s22, v18
	v_add_co_ci_u32_e32 v19, vcc_lo, s23, v19, vcc_lo
	s_mov_b32 s11, exec_lo
	global_load_b64 v[18:19], v[18:19], off
	s_waitcnt vmcnt(0)
	v_sub_f32_e32 v7, v18, v16
	v_sub_f32_e32 v17, v19, v17
                                        ; implicit-def: $vgpr16
	s_delay_alu instid0(VALU_DEP_2) | instskip(SKIP_1) | instid1(VALU_DEP_3)
	v_cmp_gt_f32_e32 vcc_lo, 0, v7
	v_cndmask_b32_e64 v7, v7, -v7, vcc_lo
	v_cmp_gt_f32_e32 vcc_lo, 0, v17
	v_cndmask_b32_e64 v14, v17, -v17, vcc_lo
	s_delay_alu instid0(VALU_DEP_1)
	v_cmpx_ngt_f32_e32 v7, v14
	s_xor_b32 s76, exec_lo, s11
	s_cbranch_execnz .LBB40_115
; %bb.56:                               ;   in Loop: Header=BB40_12 Depth=3
	s_and_not1_saveexec_b32 s76, s76
	s_cbranch_execnz .LBB40_118
.LBB40_57:                              ;   in Loop: Header=BB40_12 Depth=3
	s_or_b32 exec_lo, exec_lo, s76
	v_cmp_class_f32_e64 s76, v16, 0x1f8
	s_delay_alu instid0(VALU_DEP_1)
	s_and_saveexec_b32 s11, s76
.LBB40_58:                              ;   in Loop: Header=BB40_12 Depth=3
	v_cmp_lt_f32_e32 vcc_lo, v2, v16
	v_cndmask_b32_e32 v2, v2, v16, vcc_lo
.LBB40_59:                              ;   in Loop: Header=BB40_12 Depth=3
	s_or_b32 exec_lo, exec_lo, s11
.LBB40_60:                              ;   in Loop: Header=BB40_12 Depth=3
	s_delay_alu instid0(SALU_CYCLE_1)
	s_or_b32 exec_lo, exec_lo, s75
.LBB40_61:                              ;   in Loop: Header=BB40_12 Depth=3
	s_delay_alu instid0(SALU_CYCLE_1)
	s_or_b32 exec_lo, exec_lo, s74
.LBB40_62:                              ;   in Loop: Header=BB40_12 Depth=3
	s_delay_alu instid0(SALU_CYCLE_1)
	s_or_b32 exec_lo, exec_lo, s73
                                        ; implicit-def: $vgpr16
.LBB40_63:                              ;   in Loop: Header=BB40_12 Depth=3
	s_and_not1_saveexec_b32 s72, s72
	s_cbranch_execz .LBB40_78
; %bb.64:                               ;   in Loop: Header=BB40_12 Depth=3
	s_mov_b32 s73, exec_lo
	v_cmpx_lt_i32_e64 v3, v31
	s_cbranch_execz .LBB40_77
; %bb.65:                               ;   in Loop: Header=BB40_12 Depth=3
	v_mov_b32_e32 v7, v3
	s_mov_b32 s11, 0
                                        ; implicit-def: $sgpr74
                                        ; implicit-def: $sgpr76
                                        ; implicit-def: $sgpr75
	s_set_inst_prefetch_distance 0x1
	s_branch .LBB40_67
	.p2align	6
.LBB40_66:                              ;   in Loop: Header=BB40_67 Depth=4
	s_or_b32 exec_lo, exec_lo, s77
	s_delay_alu instid0(SALU_CYCLE_1) | instskip(NEXT) | instid1(SALU_CYCLE_1)
	s_and_b32 s77, exec_lo, s76
	s_or_b32 s11, s77, s11
	s_and_not1_b32 s74, s74, exec_lo
	s_and_b32 s77, s75, exec_lo
	s_delay_alu instid0(SALU_CYCLE_1)
	s_or_b32 s74, s74, s77
	s_and_not1_b32 exec_lo, exec_lo, s11
	s_cbranch_execz .LBB40_69
.LBB40_67:                              ;   Parent Loop BB40_3 Depth=1
                                        ;     Parent Loop BB40_7 Depth=2
                                        ;       Parent Loop BB40_12 Depth=3
                                        ; =>      This Inner Loop Header: Depth=4
	s_delay_alu instid0(VALU_DEP_1) | instskip(SKIP_3) | instid1(VALU_DEP_1)
	v_add_nc_u32_e32 v18, v8, v7
	s_or_b32 s75, s75, exec_lo
	s_or_b32 s76, s76, exec_lo
	s_mov_b32 s77, exec_lo
	v_ashrrev_i32_e32 v19, 31, v18
	s_delay_alu instid0(VALU_DEP_1) | instskip(NEXT) | instid1(VALU_DEP_1)
	v_lshlrev_b64 v[39:40], 2, v[18:19]
	v_add_co_u32 v39, vcc_lo, s28, v39
	s_delay_alu instid0(VALU_DEP_2) | instskip(SKIP_3) | instid1(VALU_DEP_1)
	v_add_co_ci_u32_e32 v40, vcc_lo, s29, v40, vcc_lo
	global_load_b32 v14, v[39:40], off
	s_waitcnt vmcnt(0)
	v_subrev_nc_u32_e32 v14, s61, v14
	v_cmpx_ne_u32_e64 v14, v9
	s_cbranch_execz .LBB40_66
; %bb.68:                               ;   in Loop: Header=BB40_67 Depth=4
	v_add_nc_u32_e32 v7, 1, v7
	s_and_not1_b32 s76, s76, exec_lo
	s_and_not1_b32 s75, s75, exec_lo
	s_delay_alu instid0(VALU_DEP_1) | instskip(SKIP_1) | instid1(SALU_CYCLE_1)
	v_cmp_ge_i32_e32 vcc_lo, v7, v31
	s_and_b32 s78, vcc_lo, exec_lo
	s_or_b32 s76, s76, s78
	s_branch .LBB40_66
.LBB40_69:                              ;   in Loop: Header=BB40_12 Depth=3
	s_set_inst_prefetch_distance 0x2
	s_or_b32 exec_lo, exec_lo, s11
	s_and_saveexec_b32 s11, s74
	s_delay_alu instid0(SALU_CYCLE_1)
	s_xor_b32 s74, exec_lo, s11
	s_cbranch_execz .LBB40_76
; %bb.70:                               ;   in Loop: Header=BB40_12 Depth=3
	v_lshlrev_b64 v[18:19], 3, v[18:19]
	s_delay_alu instid0(VALU_DEP_1) | instskip(NEXT) | instid1(VALU_DEP_2)
	v_add_co_u32 v39, vcc_lo, s52, v18
	v_add_co_ci_u32_e32 v40, vcc_lo, s53, v19, vcc_lo
	s_and_not1_b32 vcc_lo, exec_lo, s56
	global_store_b64 v[39:40], v[16:17], off
	s_cbranch_vccnz .LBB40_76
; %bb.71:                               ;   in Loop: Header=BB40_12 Depth=3
	v_add_co_u32 v18, vcc_lo, s30, v18
	v_add_co_ci_u32_e32 v19, vcc_lo, s31, v19, vcc_lo
	s_mov_b32 s11, exec_lo
	global_load_b64 v[18:19], v[18:19], off
	s_waitcnt vmcnt(0)
	v_sub_f32_e32 v7, v18, v16
	v_sub_f32_e32 v17, v19, v17
                                        ; implicit-def: $vgpr16
	s_delay_alu instid0(VALU_DEP_2) | instskip(SKIP_1) | instid1(VALU_DEP_3)
	v_cmp_gt_f32_e32 vcc_lo, 0, v7
	v_cndmask_b32_e64 v7, v7, -v7, vcc_lo
	v_cmp_gt_f32_e32 vcc_lo, 0, v17
	v_cndmask_b32_e64 v14, v17, -v17, vcc_lo
	s_delay_alu instid0(VALU_DEP_1)
	v_cmpx_ngt_f32_e32 v7, v14
	s_xor_b32 s75, exec_lo, s11
	s_cbranch_execnz .LBB40_111
; %bb.72:                               ;   in Loop: Header=BB40_12 Depth=3
	s_and_not1_saveexec_b32 s75, s75
	s_cbranch_execnz .LBB40_114
.LBB40_73:                              ;   in Loop: Header=BB40_12 Depth=3
	s_or_b32 exec_lo, exec_lo, s75
	v_cmp_class_f32_e64 s75, v16, 0x1f8
	s_delay_alu instid0(VALU_DEP_1)
	s_and_saveexec_b32 s11, s75
.LBB40_74:                              ;   in Loop: Header=BB40_12 Depth=3
	v_cmp_lt_f32_e32 vcc_lo, v2, v16
	v_cndmask_b32_e32 v2, v2, v16, vcc_lo
.LBB40_75:                              ;   in Loop: Header=BB40_12 Depth=3
	s_or_b32 exec_lo, exec_lo, s11
.LBB40_76:                              ;   in Loop: Header=BB40_12 Depth=3
	s_delay_alu instid0(SALU_CYCLE_1)
	s_or_b32 exec_lo, exec_lo, s74
.LBB40_77:                              ;   in Loop: Header=BB40_12 Depth=3
	s_delay_alu instid0(SALU_CYCLE_1)
	s_or_b32 exec_lo, exec_lo, s73
.LBB40_78:                              ;   in Loop: Header=BB40_12 Depth=3
	s_delay_alu instid0(SALU_CYCLE_1) | instskip(NEXT) | instid1(SALU_CYCLE_1)
	s_or_b32 exec_lo, exec_lo, s72
	s_or_b32 exec_lo, exec_lo, s71
	s_and_b32 s11, s12, s33
	s_delay_alu instid0(SALU_CYCLE_1)
	s_and_saveexec_b32 s12, s11
	s_cbranch_execz .LBB40_11
.LBB40_79:                              ;   in Loop: Header=BB40_12 Depth=3
	s_mov_b32 s11, exec_lo
	v_cmpx_ge_i32_e64 v15, v38
	s_xor_b32 s11, exec_lo, s11
	s_cbranch_execnz .LBB40_86
; %bb.80:                               ;   in Loop: Header=BB40_12 Depth=3
	s_and_not1_saveexec_b32 s11, s11
	s_cbranch_execnz .LBB40_100
.LBB40_81:                              ;   in Loop: Header=BB40_12 Depth=3
	s_or_b32 exec_lo, exec_lo, s11
	s_delay_alu instid0(SALU_CYCLE_1)
	s_mov_b32 s11, exec_lo
	v_cmpx_eq_u32_e64 v5, v9
	s_cbranch_execz .LBB40_83
.LBB40_82:                              ;   in Loop: Header=BB40_12 Depth=3
	v_lshlrev_b64 v[9:10], 3, v[9:10]
	s_delay_alu instid0(VALU_DEP_1) | instskip(NEXT) | instid1(VALU_DEP_2)
	v_add_co_u32 v9, vcc_lo, s48, v9
	v_add_co_ci_u32_e32 v10, vcc_lo, s49, v10, vcc_lo
	global_load_b64 v[9:10], v[9:10], off
	s_waitcnt vmcnt(0)
	v_dual_add_f32 v36, v36, v9 :: v_dual_add_f32 v37, v37, v10
.LBB40_83:                              ;   in Loop: Header=BB40_12 Depth=3
	s_or_b32 exec_lo, exec_lo, s11
	s_delay_alu instid0(VALU_DEP_1) | instskip(SKIP_1) | instid1(VALU_DEP_1)
	v_dual_sub_f32 v3, v11, v36 :: v_dual_sub_f32 v10, v12, v37
                                        ; implicit-def: $vgpr9
	s_mov_b32 s11, exec_lo
	v_cmp_gt_f32_e32 vcc_lo, 0, v3
	v_cndmask_b32_e64 v3, v3, -v3, vcc_lo
	s_delay_alu instid0(VALU_DEP_3) | instskip(SKIP_1) | instid1(VALU_DEP_1)
	v_cmp_gt_f32_e32 vcc_lo, 0, v10
	v_cndmask_b32_e64 v7, v10, -v10, vcc_lo
	v_cmpx_ngt_f32_e32 v3, v7
	s_xor_b32 s71, exec_lo, s11
	s_cbranch_execnz .LBB40_91
; %bb.84:                               ;   in Loop: Header=BB40_12 Depth=3
	s_and_not1_saveexec_b32 s71, s71
	s_cbranch_execnz .LBB40_94
.LBB40_85:                              ;   in Loop: Header=BB40_12 Depth=3
	s_or_b32 exec_lo, exec_lo, s71
	v_cmp_class_f32_e64 s71, v9, 0x1f8
	s_delay_alu instid0(VALU_DEP_1)
	s_and_saveexec_b32 s11, s71
	s_cbranch_execz .LBB40_10
	s_branch .LBB40_95
.LBB40_86:                              ;   in Loop: Header=BB40_12 Depth=3
	s_mov_b32 s71, exec_lo
	v_cmpx_lt_i32_e64 v3, v31
	s_cbranch_execz .LBB40_99
; %bb.87:                               ;   in Loop: Header=BB40_12 Depth=3
	s_mov_b32 s73, 0
                                        ; implicit-def: $sgpr72
                                        ; implicit-def: $sgpr75
                                        ; implicit-def: $sgpr74
	s_set_inst_prefetch_distance 0x1
	s_branch .LBB40_89
	.p2align	6
.LBB40_88:                              ;   in Loop: Header=BB40_89 Depth=4
	s_or_b32 exec_lo, exec_lo, s76
	s_delay_alu instid0(SALU_CYCLE_1) | instskip(NEXT) | instid1(SALU_CYCLE_1)
	s_and_b32 s76, exec_lo, s75
	s_or_b32 s73, s76, s73
	s_and_not1_b32 s72, s72, exec_lo
	s_and_b32 s76, s74, exec_lo
	s_delay_alu instid0(SALU_CYCLE_1)
	s_or_b32 s72, s72, s76
	s_and_not1_b32 exec_lo, exec_lo, s73
	s_cbranch_execz .LBB40_96
.LBB40_89:                              ;   Parent Loop BB40_3 Depth=1
                                        ;     Parent Loop BB40_7 Depth=2
                                        ;       Parent Loop BB40_12 Depth=3
                                        ; =>      This Inner Loop Header: Depth=4
	v_add_nc_u32_e32 v13, v8, v3
	s_or_b32 s74, s74, exec_lo
	s_or_b32 s75, s75, exec_lo
	s_mov_b32 s76, exec_lo
	s_delay_alu instid0(VALU_DEP_1) | instskip(NEXT) | instid1(VALU_DEP_1)
	v_ashrrev_i32_e32 v14, 31, v13
	v_lshlrev_b64 v[15:16], 2, v[13:14]
	s_delay_alu instid0(VALU_DEP_1) | instskip(NEXT) | instid1(VALU_DEP_2)
	v_add_co_u32 v15, vcc_lo, s28, v15
	v_add_co_ci_u32_e32 v16, vcc_lo, s29, v16, vcc_lo
	global_load_b32 v7, v[15:16], off
	s_waitcnt vmcnt(0)
	v_subrev_nc_u32_e32 v7, s61, v7
	s_delay_alu instid0(VALU_DEP_1)
	v_cmpx_ne_u32_e64 v7, v9
	s_cbranch_execz .LBB40_88
; %bb.90:                               ;   in Loop: Header=BB40_89 Depth=4
	v_add_nc_u32_e32 v3, 1, v3
	s_and_not1_b32 s75, s75, exec_lo
	s_and_not1_b32 s74, s74, exec_lo
	s_delay_alu instid0(VALU_DEP_1) | instskip(SKIP_1) | instid1(SALU_CYCLE_1)
	v_cmp_ge_i32_e32 vcc_lo, v3, v31
	s_and_b32 s77, vcc_lo, exec_lo
	s_or_b32 s75, s75, s77
	s_branch .LBB40_88
.LBB40_91:                              ;   in Loop: Header=BB40_12 Depth=3
	v_mov_b32_e32 v9, 0
	s_mov_b32 s72, exec_lo
	v_cmpx_neq_f32_e32 0, v10
	s_cbranch_execz .LBB40_93
; %bb.92:                               ;   in Loop: Header=BB40_12 Depth=3
	v_div_scale_f32 v9, null, v7, v7, v3
	v_div_scale_f32 v12, vcc_lo, v3, v7, v3
	s_delay_alu instid0(VALU_DEP_2) | instskip(SKIP_2) | instid1(VALU_DEP_1)
	v_rcp_f32_e32 v10, v9
	s_waitcnt_depctr 0xfff
	v_fma_f32 v11, -v9, v10, 1.0
	v_fmac_f32_e32 v10, v11, v10
	s_delay_alu instid0(VALU_DEP_1) | instskip(NEXT) | instid1(VALU_DEP_1)
	v_mul_f32_e32 v11, v12, v10
	v_fma_f32 v13, -v9, v11, v12
	s_delay_alu instid0(VALU_DEP_1) | instskip(NEXT) | instid1(VALU_DEP_1)
	v_fmac_f32_e32 v11, v13, v10
	v_fma_f32 v9, -v9, v11, v12
	s_delay_alu instid0(VALU_DEP_1) | instskip(NEXT) | instid1(VALU_DEP_1)
	v_div_fmas_f32 v9, v9, v10, v11
	v_div_fixup_f32 v3, v9, v7, v3
	s_delay_alu instid0(VALU_DEP_1) | instskip(NEXT) | instid1(VALU_DEP_1)
	v_fma_f32 v3, v3, v3, 1.0
	v_mul_f32_e32 v9, 0x4f800000, v3
	v_cmp_gt_f32_e32 vcc_lo, 0xf800000, v3
	s_delay_alu instid0(VALU_DEP_2) | instskip(NEXT) | instid1(VALU_DEP_1)
	v_cndmask_b32_e32 v3, v3, v9, vcc_lo
	v_sqrt_f32_e32 v9, v3
	s_waitcnt_depctr 0xfff
	v_add_nc_u32_e32 v10, -1, v9
	v_add_nc_u32_e32 v11, 1, v9
	s_delay_alu instid0(VALU_DEP_2) | instskip(NEXT) | instid1(VALU_DEP_2)
	v_fma_f32 v12, -v10, v9, v3
	v_fma_f32 v13, -v11, v9, v3
	s_delay_alu instid0(VALU_DEP_2) | instskip(NEXT) | instid1(VALU_DEP_1)
	v_cmp_ge_f32_e64 s11, 0, v12
	v_cndmask_b32_e64 v9, v9, v10, s11
	s_delay_alu instid0(VALU_DEP_3) | instskip(NEXT) | instid1(VALU_DEP_1)
	v_cmp_lt_f32_e64 s11, 0, v13
	v_cndmask_b32_e64 v9, v9, v11, s11
	s_delay_alu instid0(VALU_DEP_1) | instskip(NEXT) | instid1(VALU_DEP_1)
	v_mul_f32_e32 v10, 0x37800000, v9
	v_cndmask_b32_e32 v9, v9, v10, vcc_lo
	v_cmp_class_f32_e64 vcc_lo, v3, 0x260
	s_delay_alu instid0(VALU_DEP_2) | instskip(NEXT) | instid1(VALU_DEP_1)
	v_cndmask_b32_e32 v3, v9, v3, vcc_lo
	v_mul_f32_e32 v9, v7, v3
.LBB40_93:                              ;   in Loop: Header=BB40_12 Depth=3
	s_or_b32 exec_lo, exec_lo, s72
                                        ; implicit-def: $vgpr3
                                        ; implicit-def: $vgpr7
	s_and_not1_saveexec_b32 s71, s71
	s_cbranch_execz .LBB40_85
.LBB40_94:                              ;   in Loop: Header=BB40_12 Depth=3
	v_div_scale_f32 v9, null, v3, v3, v7
	v_div_scale_f32 v12, vcc_lo, v7, v3, v7
	s_delay_alu instid0(VALU_DEP_2) | instskip(SKIP_2) | instid1(VALU_DEP_1)
	v_rcp_f32_e32 v10, v9
	s_waitcnt_depctr 0xfff
	v_fma_f32 v11, -v9, v10, 1.0
	v_fmac_f32_e32 v10, v11, v10
	s_delay_alu instid0(VALU_DEP_1) | instskip(NEXT) | instid1(VALU_DEP_1)
	v_mul_f32_e32 v11, v12, v10
	v_fma_f32 v13, -v9, v11, v12
	s_delay_alu instid0(VALU_DEP_1) | instskip(NEXT) | instid1(VALU_DEP_1)
	v_fmac_f32_e32 v11, v13, v10
	v_fma_f32 v9, -v9, v11, v12
	s_delay_alu instid0(VALU_DEP_1) | instskip(NEXT) | instid1(VALU_DEP_1)
	v_div_fmas_f32 v9, v9, v10, v11
	v_div_fixup_f32 v7, v9, v3, v7
	s_delay_alu instid0(VALU_DEP_1) | instskip(NEXT) | instid1(VALU_DEP_1)
	v_fma_f32 v7, v7, v7, 1.0
	v_mul_f32_e32 v9, 0x4f800000, v7
	v_cmp_gt_f32_e32 vcc_lo, 0xf800000, v7
	s_delay_alu instid0(VALU_DEP_2) | instskip(NEXT) | instid1(VALU_DEP_1)
	v_cndmask_b32_e32 v7, v7, v9, vcc_lo
	v_sqrt_f32_e32 v9, v7
	s_waitcnt_depctr 0xfff
	v_add_nc_u32_e32 v10, -1, v9
	v_add_nc_u32_e32 v11, 1, v9
	s_delay_alu instid0(VALU_DEP_2) | instskip(NEXT) | instid1(VALU_DEP_2)
	v_fma_f32 v12, -v10, v9, v7
	v_fma_f32 v13, -v11, v9, v7
	s_delay_alu instid0(VALU_DEP_2) | instskip(NEXT) | instid1(VALU_DEP_1)
	v_cmp_ge_f32_e64 s11, 0, v12
	v_cndmask_b32_e64 v9, v9, v10, s11
	s_delay_alu instid0(VALU_DEP_3) | instskip(NEXT) | instid1(VALU_DEP_1)
	v_cmp_lt_f32_e64 s11, 0, v13
	v_cndmask_b32_e64 v9, v9, v11, s11
	s_delay_alu instid0(VALU_DEP_1) | instskip(NEXT) | instid1(VALU_DEP_1)
	v_mul_f32_e32 v10, 0x37800000, v9
	v_cndmask_b32_e32 v9, v9, v10, vcc_lo
	v_cmp_class_f32_e64 vcc_lo, v7, 0x260
	s_delay_alu instid0(VALU_DEP_2) | instskip(NEXT) | instid1(VALU_DEP_1)
	v_cndmask_b32_e32 v7, v9, v7, vcc_lo
	v_mul_f32_e32 v9, v3, v7
	s_or_b32 exec_lo, exec_lo, s71
	s_delay_alu instid0(VALU_DEP_1) | instskip(NEXT) | instid1(VALU_DEP_1)
	v_cmp_class_f32_e64 s71, v9, 0x1f8
	s_and_saveexec_b32 s11, s71
	s_cbranch_execz .LBB40_10
.LBB40_95:                              ;   in Loop: Header=BB40_12 Depth=3
	v_cmp_lt_f32_e32 vcc_lo, v1, v9
	v_cndmask_b32_e32 v1, v1, v9, vcc_lo
	s_branch .LBB40_10
.LBB40_96:                              ;   in Loop: Header=BB40_12 Depth=3
	s_set_inst_prefetch_distance 0x2
	s_or_b32 exec_lo, exec_lo, s73
	s_and_saveexec_b32 s73, s72
	s_delay_alu instid0(SALU_CYCLE_1)
	s_xor_b32 s72, exec_lo, s73
	s_cbranch_execz .LBB40_98
; %bb.97:                               ;   in Loop: Header=BB40_12 Depth=3
	v_lshlrev_b64 v[13:14], 3, v[13:14]
	v_lshlrev_b64 v[15:16], 3, v[9:10]
	s_delay_alu instid0(VALU_DEP_2) | instskip(NEXT) | instid1(VALU_DEP_3)
	v_add_co_u32 v13, vcc_lo, s30, v13
	v_add_co_ci_u32_e32 v14, vcc_lo, s31, v14, vcc_lo
	s_delay_alu instid0(VALU_DEP_3) | instskip(NEXT) | instid1(VALU_DEP_4)
	v_add_co_u32 v15, vcc_lo, s48, v15
	v_add_co_ci_u32_e32 v16, vcc_lo, s49, v16, vcc_lo
	global_load_b64 v[13:14], v[13:14], off
	global_load_b64 v[15:16], v[15:16], off
	s_waitcnt vmcnt(0)
	v_mul_f32_e64 v3, v16, -v14
	v_mul_f32_e32 v7, v16, v13
	s_delay_alu instid0(VALU_DEP_2) | instskip(NEXT) | instid1(VALU_DEP_2)
	v_fmac_f32_e32 v3, v13, v15
	v_fmac_f32_e32 v7, v14, v15
	s_delay_alu instid0(VALU_DEP_2) | instskip(NEXT) | instid1(VALU_DEP_2)
	v_add_f32_e32 v36, v36, v3
	v_add_f32_e32 v37, v37, v7
.LBB40_98:                              ;   in Loop: Header=BB40_12 Depth=3
	s_or_b32 exec_lo, exec_lo, s72
.LBB40_99:                              ;   in Loop: Header=BB40_12 Depth=3
	s_delay_alu instid0(SALU_CYCLE_1)
	s_or_b32 exec_lo, exec_lo, s71
                                        ; implicit-def: $vgpr15
                                        ; implicit-def: $vgpr13
                                        ; implicit-def: $vgpr38
	s_and_not1_saveexec_b32 s11, s11
	s_cbranch_execz .LBB40_81
.LBB40_100:                             ;   in Loop: Header=BB40_12 Depth=3
	s_mov_b32 s72, 0
                                        ; implicit-def: $sgpr71
                                        ; implicit-def: $sgpr74
                                        ; implicit-def: $sgpr73
	s_set_inst_prefetch_distance 0x1
	s_branch .LBB40_102
	.p2align	6
.LBB40_101:                             ;   in Loop: Header=BB40_102 Depth=4
	s_or_b32 exec_lo, exec_lo, s75
	s_delay_alu instid0(SALU_CYCLE_1) | instskip(NEXT) | instid1(SALU_CYCLE_1)
	s_and_b32 s75, exec_lo, s74
	s_or_b32 s72, s75, s72
	s_and_not1_b32 s71, s71, exec_lo
	s_and_b32 s75, s73, exec_lo
	s_delay_alu instid0(SALU_CYCLE_1)
	s_or_b32 s71, s71, s75
	s_and_not1_b32 exec_lo, exec_lo, s72
	s_cbranch_execz .LBB40_104
.LBB40_102:                             ;   Parent Loop BB40_3 Depth=1
                                        ;     Parent Loop BB40_7 Depth=2
                                        ;       Parent Loop BB40_12 Depth=3
                                        ; =>      This Inner Loop Header: Depth=4
	v_add_nc_u32_e32 v16, v13, v15
	s_or_b32 s73, s73, exec_lo
	s_or_b32 s74, s74, exec_lo
	s_mov_b32 s75, exec_lo
	s_delay_alu instid0(VALU_DEP_1) | instskip(NEXT) | instid1(VALU_DEP_1)
	v_ashrrev_i32_e32 v17, 31, v16
	v_lshlrev_b64 v[18:19], 2, v[16:17]
	s_delay_alu instid0(VALU_DEP_1) | instskip(NEXT) | instid1(VALU_DEP_2)
	v_add_co_u32 v18, vcc_lo, s20, v18
	v_add_co_ci_u32_e32 v19, vcc_lo, s21, v19, vcc_lo
	global_load_b32 v3, v[18:19], off
	s_waitcnt vmcnt(0)
	v_subrev_nc_u32_e32 v3, s62, v3
	s_delay_alu instid0(VALU_DEP_1)
	v_cmpx_ne_u32_e64 v3, v5
	s_cbranch_execz .LBB40_101
; %bb.103:                              ;   in Loop: Header=BB40_102 Depth=4
	v_add_nc_u32_e32 v15, 1, v15
	s_and_not1_b32 s74, s74, exec_lo
	s_and_not1_b32 s73, s73, exec_lo
	s_delay_alu instid0(VALU_DEP_1) | instskip(SKIP_1) | instid1(SALU_CYCLE_1)
	v_cmp_ge_i32_e32 vcc_lo, v15, v38
	s_and_b32 s76, vcc_lo, exec_lo
	s_or_b32 s74, s74, s76
	s_branch .LBB40_101
.LBB40_104:                             ;   in Loop: Header=BB40_12 Depth=3
	s_set_inst_prefetch_distance 0x2
	s_or_b32 exec_lo, exec_lo, s72
	s_and_saveexec_b32 s72, s71
	s_delay_alu instid0(SALU_CYCLE_1)
	s_xor_b32 s71, exec_lo, s72
	s_cbranch_execz .LBB40_106
; %bb.105:                              ;   in Loop: Header=BB40_12 Depth=3
	v_lshlrev_b64 v[13:14], 3, v[16:17]
	s_delay_alu instid0(VALU_DEP_1) | instskip(NEXT) | instid1(VALU_DEP_2)
	v_add_co_u32 v13, vcc_lo, s22, v13
	v_add_co_ci_u32_e32 v14, vcc_lo, s23, v14, vcc_lo
	global_load_b64 v[13:14], v[13:14], off
	s_waitcnt vmcnt(0)
	v_dual_add_f32 v36, v36, v13 :: v_dual_add_f32 v37, v37, v14
.LBB40_106:                             ;   in Loop: Header=BB40_12 Depth=3
	s_or_b32 exec_lo, exec_lo, s71
	s_delay_alu instid0(SALU_CYCLE_1) | instskip(NEXT) | instid1(SALU_CYCLE_1)
	s_or_b32 exec_lo, exec_lo, s11
	s_mov_b32 s11, exec_lo
	v_cmpx_eq_u32_e64 v5, v9
	s_cbranch_execnz .LBB40_82
	s_branch .LBB40_83
.LBB40_107:                             ;   in Loop: Header=BB40_12 Depth=3
	v_mov_b32_e32 v16, 0
	s_mov_b32 s75, exec_lo
	v_cmpx_neq_f32_e32 0, v17
	s_cbranch_execz .LBB40_109
; %bb.108:                              ;   in Loop: Header=BB40_12 Depth=3
	v_div_scale_f32 v16, null, v14, v14, v7
	v_div_scale_f32 v19, vcc_lo, v7, v14, v7
	s_delay_alu instid0(VALU_DEP_2) | instskip(SKIP_2) | instid1(VALU_DEP_1)
	v_rcp_f32_e32 v17, v16
	s_waitcnt_depctr 0xfff
	v_fma_f32 v18, -v16, v17, 1.0
	v_fmac_f32_e32 v17, v18, v17
	s_delay_alu instid0(VALU_DEP_1) | instskip(NEXT) | instid1(VALU_DEP_1)
	v_mul_f32_e32 v18, v19, v17
	v_fma_f32 v39, -v16, v18, v19
	s_delay_alu instid0(VALU_DEP_1) | instskip(NEXT) | instid1(VALU_DEP_1)
	v_fmac_f32_e32 v18, v39, v17
	v_fma_f32 v16, -v16, v18, v19
	s_delay_alu instid0(VALU_DEP_1) | instskip(NEXT) | instid1(VALU_DEP_1)
	v_div_fmas_f32 v16, v16, v17, v18
	v_div_fixup_f32 v7, v16, v14, v7
	s_delay_alu instid0(VALU_DEP_1) | instskip(NEXT) | instid1(VALU_DEP_1)
	v_fma_f32 v7, v7, v7, 1.0
	v_mul_f32_e32 v16, 0x4f800000, v7
	v_cmp_gt_f32_e32 vcc_lo, 0xf800000, v7
	s_delay_alu instid0(VALU_DEP_2) | instskip(NEXT) | instid1(VALU_DEP_1)
	v_cndmask_b32_e32 v7, v7, v16, vcc_lo
	v_sqrt_f32_e32 v16, v7
	s_waitcnt_depctr 0xfff
	v_add_nc_u32_e32 v17, -1, v16
	v_add_nc_u32_e32 v18, 1, v16
	s_delay_alu instid0(VALU_DEP_2) | instskip(NEXT) | instid1(VALU_DEP_2)
	v_fma_f32 v19, -v17, v16, v7
	v_fma_f32 v39, -v18, v16, v7
	s_delay_alu instid0(VALU_DEP_2) | instskip(NEXT) | instid1(VALU_DEP_1)
	v_cmp_ge_f32_e64 s11, 0, v19
	v_cndmask_b32_e64 v16, v16, v17, s11
	s_delay_alu instid0(VALU_DEP_3) | instskip(NEXT) | instid1(VALU_DEP_1)
	v_cmp_lt_f32_e64 s11, 0, v39
	v_cndmask_b32_e64 v16, v16, v18, s11
	s_delay_alu instid0(VALU_DEP_1) | instskip(NEXT) | instid1(VALU_DEP_1)
	v_mul_f32_e32 v17, 0x37800000, v16
	v_cndmask_b32_e32 v16, v16, v17, vcc_lo
	v_cmp_class_f32_e64 vcc_lo, v7, 0x260
	s_delay_alu instid0(VALU_DEP_2) | instskip(NEXT) | instid1(VALU_DEP_1)
	v_cndmask_b32_e32 v7, v16, v7, vcc_lo
	v_mul_f32_e32 v16, v14, v7
.LBB40_109:                             ;   in Loop: Header=BB40_12 Depth=3
	s_or_b32 exec_lo, exec_lo, s75
                                        ; implicit-def: $vgpr7
                                        ; implicit-def: $vgpr14
	s_and_not1_saveexec_b32 s74, s74
	s_cbranch_execz .LBB40_43
.LBB40_110:                             ;   in Loop: Header=BB40_12 Depth=3
	v_div_scale_f32 v16, null, v7, v7, v14
	v_div_scale_f32 v19, vcc_lo, v14, v7, v14
	s_delay_alu instid0(VALU_DEP_2) | instskip(SKIP_2) | instid1(VALU_DEP_1)
	v_rcp_f32_e32 v17, v16
	s_waitcnt_depctr 0xfff
	v_fma_f32 v18, -v16, v17, 1.0
	v_fmac_f32_e32 v17, v18, v17
	s_delay_alu instid0(VALU_DEP_1) | instskip(NEXT) | instid1(VALU_DEP_1)
	v_mul_f32_e32 v18, v19, v17
	v_fma_f32 v39, -v16, v18, v19
	s_delay_alu instid0(VALU_DEP_1) | instskip(NEXT) | instid1(VALU_DEP_1)
	v_fmac_f32_e32 v18, v39, v17
	v_fma_f32 v16, -v16, v18, v19
	s_delay_alu instid0(VALU_DEP_1) | instskip(NEXT) | instid1(VALU_DEP_1)
	v_div_fmas_f32 v16, v16, v17, v18
	v_div_fixup_f32 v14, v16, v7, v14
	s_delay_alu instid0(VALU_DEP_1) | instskip(NEXT) | instid1(VALU_DEP_1)
	v_fma_f32 v14, v14, v14, 1.0
	v_mul_f32_e32 v16, 0x4f800000, v14
	v_cmp_gt_f32_e32 vcc_lo, 0xf800000, v14
	s_delay_alu instid0(VALU_DEP_2) | instskip(NEXT) | instid1(VALU_DEP_1)
	v_cndmask_b32_e32 v14, v14, v16, vcc_lo
	v_sqrt_f32_e32 v16, v14
	s_waitcnt_depctr 0xfff
	v_add_nc_u32_e32 v17, -1, v16
	v_add_nc_u32_e32 v18, 1, v16
	s_delay_alu instid0(VALU_DEP_2) | instskip(NEXT) | instid1(VALU_DEP_2)
	v_fma_f32 v19, -v17, v16, v14
	v_fma_f32 v39, -v18, v16, v14
	s_delay_alu instid0(VALU_DEP_2) | instskip(NEXT) | instid1(VALU_DEP_1)
	v_cmp_ge_f32_e64 s11, 0, v19
	v_cndmask_b32_e64 v16, v16, v17, s11
	s_delay_alu instid0(VALU_DEP_3) | instskip(NEXT) | instid1(VALU_DEP_1)
	v_cmp_lt_f32_e64 s11, 0, v39
	v_cndmask_b32_e64 v16, v16, v18, s11
	s_delay_alu instid0(VALU_DEP_1) | instskip(NEXT) | instid1(VALU_DEP_1)
	v_mul_f32_e32 v17, 0x37800000, v16
	v_cndmask_b32_e32 v16, v16, v17, vcc_lo
	v_cmp_class_f32_e64 vcc_lo, v14, 0x260
	s_delay_alu instid0(VALU_DEP_2) | instskip(NEXT) | instid1(VALU_DEP_1)
	v_cndmask_b32_e32 v14, v16, v14, vcc_lo
	v_mul_f32_e32 v16, v7, v14
	s_or_b32 exec_lo, exec_lo, s74
	s_delay_alu instid0(VALU_DEP_1) | instskip(NEXT) | instid1(VALU_DEP_1)
	v_cmp_class_f32_e64 s74, v16, 0x1f8
	s_and_saveexec_b32 s11, s74
	s_cbranch_execnz .LBB40_44
	s_branch .LBB40_45
.LBB40_111:                             ;   in Loop: Header=BB40_12 Depth=3
	v_mov_b32_e32 v16, 0
	s_mov_b32 s76, exec_lo
	v_cmpx_neq_f32_e32 0, v17
	s_cbranch_execz .LBB40_113
; %bb.112:                              ;   in Loop: Header=BB40_12 Depth=3
	v_div_scale_f32 v16, null, v14, v14, v7
	v_div_scale_f32 v19, vcc_lo, v7, v14, v7
	s_delay_alu instid0(VALU_DEP_2) | instskip(SKIP_2) | instid1(VALU_DEP_1)
	v_rcp_f32_e32 v17, v16
	s_waitcnt_depctr 0xfff
	v_fma_f32 v18, -v16, v17, 1.0
	v_fmac_f32_e32 v17, v18, v17
	s_delay_alu instid0(VALU_DEP_1) | instskip(NEXT) | instid1(VALU_DEP_1)
	v_mul_f32_e32 v18, v19, v17
	v_fma_f32 v39, -v16, v18, v19
	s_delay_alu instid0(VALU_DEP_1) | instskip(NEXT) | instid1(VALU_DEP_1)
	v_fmac_f32_e32 v18, v39, v17
	v_fma_f32 v16, -v16, v18, v19
	s_delay_alu instid0(VALU_DEP_1) | instskip(NEXT) | instid1(VALU_DEP_1)
	v_div_fmas_f32 v16, v16, v17, v18
	v_div_fixup_f32 v7, v16, v14, v7
	s_delay_alu instid0(VALU_DEP_1) | instskip(NEXT) | instid1(VALU_DEP_1)
	v_fma_f32 v7, v7, v7, 1.0
	v_mul_f32_e32 v16, 0x4f800000, v7
	v_cmp_gt_f32_e32 vcc_lo, 0xf800000, v7
	s_delay_alu instid0(VALU_DEP_2) | instskip(NEXT) | instid1(VALU_DEP_1)
	v_cndmask_b32_e32 v7, v7, v16, vcc_lo
	v_sqrt_f32_e32 v16, v7
	s_waitcnt_depctr 0xfff
	v_add_nc_u32_e32 v17, -1, v16
	v_add_nc_u32_e32 v18, 1, v16
	s_delay_alu instid0(VALU_DEP_2) | instskip(NEXT) | instid1(VALU_DEP_2)
	v_fma_f32 v19, -v17, v16, v7
	v_fma_f32 v39, -v18, v16, v7
	s_delay_alu instid0(VALU_DEP_2) | instskip(NEXT) | instid1(VALU_DEP_1)
	v_cmp_ge_f32_e64 s11, 0, v19
	v_cndmask_b32_e64 v16, v16, v17, s11
	s_delay_alu instid0(VALU_DEP_3) | instskip(NEXT) | instid1(VALU_DEP_1)
	v_cmp_lt_f32_e64 s11, 0, v39
	v_cndmask_b32_e64 v16, v16, v18, s11
	s_delay_alu instid0(VALU_DEP_1) | instskip(NEXT) | instid1(VALU_DEP_1)
	v_mul_f32_e32 v17, 0x37800000, v16
	v_cndmask_b32_e32 v16, v16, v17, vcc_lo
	v_cmp_class_f32_e64 vcc_lo, v7, 0x260
	s_delay_alu instid0(VALU_DEP_2) | instskip(NEXT) | instid1(VALU_DEP_1)
	v_cndmask_b32_e32 v7, v16, v7, vcc_lo
	v_mul_f32_e32 v16, v14, v7
.LBB40_113:                             ;   in Loop: Header=BB40_12 Depth=3
	s_or_b32 exec_lo, exec_lo, s76
                                        ; implicit-def: $vgpr7
                                        ; implicit-def: $vgpr14
	s_and_not1_saveexec_b32 s75, s75
	s_cbranch_execz .LBB40_73
.LBB40_114:                             ;   in Loop: Header=BB40_12 Depth=3
	v_div_scale_f32 v16, null, v7, v7, v14
	v_div_scale_f32 v19, vcc_lo, v14, v7, v14
	s_delay_alu instid0(VALU_DEP_2) | instskip(SKIP_2) | instid1(VALU_DEP_1)
	v_rcp_f32_e32 v17, v16
	s_waitcnt_depctr 0xfff
	v_fma_f32 v18, -v16, v17, 1.0
	v_fmac_f32_e32 v17, v18, v17
	s_delay_alu instid0(VALU_DEP_1) | instskip(NEXT) | instid1(VALU_DEP_1)
	v_mul_f32_e32 v18, v19, v17
	v_fma_f32 v39, -v16, v18, v19
	s_delay_alu instid0(VALU_DEP_1) | instskip(NEXT) | instid1(VALU_DEP_1)
	v_fmac_f32_e32 v18, v39, v17
	v_fma_f32 v16, -v16, v18, v19
	s_delay_alu instid0(VALU_DEP_1) | instskip(NEXT) | instid1(VALU_DEP_1)
	v_div_fmas_f32 v16, v16, v17, v18
	v_div_fixup_f32 v14, v16, v7, v14
	s_delay_alu instid0(VALU_DEP_1) | instskip(NEXT) | instid1(VALU_DEP_1)
	v_fma_f32 v14, v14, v14, 1.0
	v_mul_f32_e32 v16, 0x4f800000, v14
	v_cmp_gt_f32_e32 vcc_lo, 0xf800000, v14
	s_delay_alu instid0(VALU_DEP_2) | instskip(NEXT) | instid1(VALU_DEP_1)
	v_cndmask_b32_e32 v14, v14, v16, vcc_lo
	v_sqrt_f32_e32 v16, v14
	s_waitcnt_depctr 0xfff
	v_add_nc_u32_e32 v17, -1, v16
	v_add_nc_u32_e32 v18, 1, v16
	s_delay_alu instid0(VALU_DEP_2) | instskip(NEXT) | instid1(VALU_DEP_2)
	v_fma_f32 v19, -v17, v16, v14
	v_fma_f32 v39, -v18, v16, v14
	s_delay_alu instid0(VALU_DEP_2) | instskip(NEXT) | instid1(VALU_DEP_1)
	v_cmp_ge_f32_e64 s11, 0, v19
	v_cndmask_b32_e64 v16, v16, v17, s11
	s_delay_alu instid0(VALU_DEP_3) | instskip(NEXT) | instid1(VALU_DEP_1)
	v_cmp_lt_f32_e64 s11, 0, v39
	v_cndmask_b32_e64 v16, v16, v18, s11
	s_delay_alu instid0(VALU_DEP_1) | instskip(NEXT) | instid1(VALU_DEP_1)
	v_mul_f32_e32 v17, 0x37800000, v16
	v_cndmask_b32_e32 v16, v16, v17, vcc_lo
	v_cmp_class_f32_e64 vcc_lo, v14, 0x260
	s_delay_alu instid0(VALU_DEP_2) | instskip(NEXT) | instid1(VALU_DEP_1)
	v_cndmask_b32_e32 v14, v16, v14, vcc_lo
	v_mul_f32_e32 v16, v7, v14
	s_or_b32 exec_lo, exec_lo, s75
	s_delay_alu instid0(VALU_DEP_1) | instskip(NEXT) | instid1(VALU_DEP_1)
	v_cmp_class_f32_e64 s75, v16, 0x1f8
	s_and_saveexec_b32 s11, s75
	s_cbranch_execnz .LBB40_74
	s_branch .LBB40_75
.LBB40_115:                             ;   in Loop: Header=BB40_12 Depth=3
	v_mov_b32_e32 v16, 0
	s_mov_b32 s77, exec_lo
	v_cmpx_neq_f32_e32 0, v17
	s_cbranch_execz .LBB40_117
; %bb.116:                              ;   in Loop: Header=BB40_12 Depth=3
	v_div_scale_f32 v16, null, v14, v14, v7
	v_div_scale_f32 v19, vcc_lo, v7, v14, v7
	s_delay_alu instid0(VALU_DEP_2) | instskip(SKIP_2) | instid1(VALU_DEP_1)
	v_rcp_f32_e32 v17, v16
	s_waitcnt_depctr 0xfff
	v_fma_f32 v18, -v16, v17, 1.0
	v_fmac_f32_e32 v17, v18, v17
	s_delay_alu instid0(VALU_DEP_1) | instskip(NEXT) | instid1(VALU_DEP_1)
	v_mul_f32_e32 v18, v19, v17
	v_fma_f32 v39, -v16, v18, v19
	s_delay_alu instid0(VALU_DEP_1) | instskip(NEXT) | instid1(VALU_DEP_1)
	v_fmac_f32_e32 v18, v39, v17
	v_fma_f32 v16, -v16, v18, v19
	s_delay_alu instid0(VALU_DEP_1) | instskip(NEXT) | instid1(VALU_DEP_1)
	v_div_fmas_f32 v16, v16, v17, v18
	v_div_fixup_f32 v7, v16, v14, v7
	s_delay_alu instid0(VALU_DEP_1) | instskip(NEXT) | instid1(VALU_DEP_1)
	v_fma_f32 v7, v7, v7, 1.0
	v_mul_f32_e32 v16, 0x4f800000, v7
	v_cmp_gt_f32_e32 vcc_lo, 0xf800000, v7
	s_delay_alu instid0(VALU_DEP_2) | instskip(NEXT) | instid1(VALU_DEP_1)
	v_cndmask_b32_e32 v7, v7, v16, vcc_lo
	v_sqrt_f32_e32 v16, v7
	s_waitcnt_depctr 0xfff
	v_add_nc_u32_e32 v17, -1, v16
	v_add_nc_u32_e32 v18, 1, v16
	s_delay_alu instid0(VALU_DEP_2) | instskip(NEXT) | instid1(VALU_DEP_2)
	v_fma_f32 v19, -v17, v16, v7
	v_fma_f32 v39, -v18, v16, v7
	s_delay_alu instid0(VALU_DEP_2) | instskip(NEXT) | instid1(VALU_DEP_1)
	v_cmp_ge_f32_e64 s11, 0, v19
	v_cndmask_b32_e64 v16, v16, v17, s11
	s_delay_alu instid0(VALU_DEP_3) | instskip(NEXT) | instid1(VALU_DEP_1)
	v_cmp_lt_f32_e64 s11, 0, v39
	v_cndmask_b32_e64 v16, v16, v18, s11
	s_delay_alu instid0(VALU_DEP_1) | instskip(NEXT) | instid1(VALU_DEP_1)
	v_mul_f32_e32 v17, 0x37800000, v16
	v_cndmask_b32_e32 v16, v16, v17, vcc_lo
	v_cmp_class_f32_e64 vcc_lo, v7, 0x260
	s_delay_alu instid0(VALU_DEP_2) | instskip(NEXT) | instid1(VALU_DEP_1)
	v_cndmask_b32_e32 v7, v16, v7, vcc_lo
	v_mul_f32_e32 v16, v14, v7
.LBB40_117:                             ;   in Loop: Header=BB40_12 Depth=3
	s_or_b32 exec_lo, exec_lo, s77
                                        ; implicit-def: $vgpr7
                                        ; implicit-def: $vgpr14
	s_and_not1_saveexec_b32 s76, s76
	s_cbranch_execz .LBB40_57
.LBB40_118:                             ;   in Loop: Header=BB40_12 Depth=3
	v_div_scale_f32 v16, null, v7, v7, v14
	v_div_scale_f32 v19, vcc_lo, v14, v7, v14
	s_delay_alu instid0(VALU_DEP_2) | instskip(SKIP_2) | instid1(VALU_DEP_1)
	v_rcp_f32_e32 v17, v16
	s_waitcnt_depctr 0xfff
	v_fma_f32 v18, -v16, v17, 1.0
	v_fmac_f32_e32 v17, v18, v17
	s_delay_alu instid0(VALU_DEP_1) | instskip(NEXT) | instid1(VALU_DEP_1)
	v_mul_f32_e32 v18, v19, v17
	v_fma_f32 v39, -v16, v18, v19
	s_delay_alu instid0(VALU_DEP_1) | instskip(NEXT) | instid1(VALU_DEP_1)
	v_fmac_f32_e32 v18, v39, v17
	v_fma_f32 v16, -v16, v18, v19
	s_delay_alu instid0(VALU_DEP_1) | instskip(NEXT) | instid1(VALU_DEP_1)
	v_div_fmas_f32 v16, v16, v17, v18
	v_div_fixup_f32 v14, v16, v7, v14
	s_delay_alu instid0(VALU_DEP_1) | instskip(NEXT) | instid1(VALU_DEP_1)
	v_fma_f32 v14, v14, v14, 1.0
	v_mul_f32_e32 v16, 0x4f800000, v14
	v_cmp_gt_f32_e32 vcc_lo, 0xf800000, v14
	s_delay_alu instid0(VALU_DEP_2) | instskip(NEXT) | instid1(VALU_DEP_1)
	v_cndmask_b32_e32 v14, v14, v16, vcc_lo
	v_sqrt_f32_e32 v16, v14
	s_waitcnt_depctr 0xfff
	v_add_nc_u32_e32 v17, -1, v16
	v_add_nc_u32_e32 v18, 1, v16
	s_delay_alu instid0(VALU_DEP_2) | instskip(NEXT) | instid1(VALU_DEP_2)
	v_fma_f32 v19, -v17, v16, v14
	v_fma_f32 v39, -v18, v16, v14
	s_delay_alu instid0(VALU_DEP_2) | instskip(NEXT) | instid1(VALU_DEP_1)
	v_cmp_ge_f32_e64 s11, 0, v19
	v_cndmask_b32_e64 v16, v16, v17, s11
	s_delay_alu instid0(VALU_DEP_3) | instskip(NEXT) | instid1(VALU_DEP_1)
	v_cmp_lt_f32_e64 s11, 0, v39
	v_cndmask_b32_e64 v16, v16, v18, s11
	s_delay_alu instid0(VALU_DEP_1) | instskip(NEXT) | instid1(VALU_DEP_1)
	v_mul_f32_e32 v17, 0x37800000, v16
	v_cndmask_b32_e32 v16, v16, v17, vcc_lo
	v_cmp_class_f32_e64 vcc_lo, v14, 0x260
	s_delay_alu instid0(VALU_DEP_2) | instskip(NEXT) | instid1(VALU_DEP_1)
	v_cndmask_b32_e32 v14, v16, v14, vcc_lo
	v_mul_f32_e32 v16, v7, v14
	s_or_b32 exec_lo, exec_lo, s76
	s_delay_alu instid0(VALU_DEP_1) | instskip(NEXT) | instid1(VALU_DEP_1)
	v_cmp_class_f32_e64 s76, v16, 0x1f8
	s_and_saveexec_b32 s11, s76
	s_cbranch_execnz .LBB40_58
	s_branch .LBB40_59
.LBB40_119:                             ;   in Loop: Header=BB40_3 Depth=1
	v_xor_b32_e32 v8, 16, v22
	v_xor_b32_e32 v7, 8, v22
	v_xor_b32_e32 v6, 4, v22
	v_xor_b32_e32 v5, 2, v22
	v_xor_b32_e32 v3, 1, v22
	s_and_b32 vcc_lo, exec_lo, s56
	s_cbranch_vccnz .LBB40_122
; %bb.120:                              ;   in Loop: Header=BB40_3 Depth=1
	s_and_not1_b32 vcc_lo, exec_lo, s33
	s_cbranch_vccz .LBB40_135
.LBB40_121:                             ;   in Loop: Header=BB40_3 Depth=1
	s_and_saveexec_b32 s11, s8
	s_cbranch_execnz .LBB40_148
	s_branch .LBB40_159
.LBB40_122:                             ;   in Loop: Header=BB40_3 Depth=1
	v_cmp_gt_i32_e32 vcc_lo, 32, v8
	v_cndmask_b32_e32 v9, v22, v8, vcc_lo
	v_cmp_gt_i32_e32 vcc_lo, 32, v7
	v_cndmask_b32_e32 v10, v22, v7, vcc_lo
	s_delay_alu instid0(VALU_DEP_1) | instskip(NEXT) | instid1(VALU_DEP_4)
	v_lshlrev_b32_e32 v10, 2, v10
	v_lshlrev_b32_e32 v9, 2, v9
	ds_bpermute_b32 v9, v9, v2
	s_waitcnt lgkmcnt(0)
	v_cmp_lt_f32_e32 vcc_lo, v2, v9
	v_cndmask_b32_e32 v2, v2, v9, vcc_lo
	v_cmp_gt_i32_e32 vcc_lo, 32, v6
	ds_bpermute_b32 v9, v10, v2
	v_cndmask_b32_e32 v10, v22, v6, vcc_lo
	s_delay_alu instid0(VALU_DEP_1)
	v_lshlrev_b32_e32 v10, 2, v10
	s_waitcnt lgkmcnt(0)
	v_cmp_lt_f32_e32 vcc_lo, v2, v9
	v_cndmask_b32_e32 v2, v2, v9, vcc_lo
	v_cmp_gt_i32_e32 vcc_lo, 32, v5
	ds_bpermute_b32 v9, v10, v2
	v_cndmask_b32_e32 v10, v22, v5, vcc_lo
	s_delay_alu instid0(VALU_DEP_1)
	v_lshlrev_b32_e32 v10, 2, v10
	s_waitcnt lgkmcnt(0)
	v_cmp_lt_f32_e32 vcc_lo, v2, v9
	v_cndmask_b32_e32 v2, v2, v9, vcc_lo
	v_cmp_gt_i32_e32 vcc_lo, 32, v3
	ds_bpermute_b32 v9, v10, v2
	v_cndmask_b32_e32 v10, v22, v3, vcc_lo
	s_waitcnt lgkmcnt(0)
	v_cmp_lt_f32_e32 vcc_lo, v2, v9
	s_delay_alu instid0(VALU_DEP_2)
	v_dual_cndmask_b32 v2, v2, v9 :: v_dual_lshlrev_b32 v9, 2, v10
	ds_bpermute_b32 v9, v9, v2
	s_and_saveexec_b32 s10, s2
	s_cbranch_execz .LBB40_124
; %bb.123:                              ;   in Loop: Header=BB40_3 Depth=1
	s_waitcnt lgkmcnt(0)
	v_cmp_lt_f32_e32 vcc_lo, v2, v9
	v_cndmask_b32_e32 v2, v2, v9, vcc_lo
	ds_store_b32 v25, v2
.LBB40_124:                             ;   in Loop: Header=BB40_3 Depth=1
	s_or_b32 exec_lo, exec_lo, s10
	s_waitcnt lgkmcnt(0)
	s_waitcnt_vscnt null, 0x0
	s_barrier
	buffer_gl0_inv
	s_and_saveexec_b32 s10, s3
	s_cbranch_execz .LBB40_126
; %bb.125:                              ;   in Loop: Header=BB40_3 Depth=1
	ds_load_2addr_b32 v[9:10], v20 offset1:16
	s_waitcnt lgkmcnt(0)
	v_cmp_lt_f32_e32 vcc_lo, v9, v10
	v_cndmask_b32_e32 v2, v9, v10, vcc_lo
	ds_store_b32 v20, v2
.LBB40_126:                             ;   in Loop: Header=BB40_3 Depth=1
	s_or_b32 exec_lo, exec_lo, s10
	s_waitcnt lgkmcnt(0)
	s_barrier
	buffer_gl0_inv
	s_and_saveexec_b32 s10, s4
	s_cbranch_execz .LBB40_128
; %bb.127:                              ;   in Loop: Header=BB40_3 Depth=1
	ds_load_2addr_b32 v[9:10], v20 offset1:8
	s_waitcnt lgkmcnt(0)
	v_cmp_lt_f32_e32 vcc_lo, v9, v10
	v_cndmask_b32_e32 v2, v9, v10, vcc_lo
	ds_store_b32 v20, v2
.LBB40_128:                             ;   in Loop: Header=BB40_3 Depth=1
	s_or_b32 exec_lo, exec_lo, s10
	s_waitcnt lgkmcnt(0)
	;; [unrolled: 13-line block ×4, first 2 shown]
	s_barrier
	buffer_gl0_inv
	s_and_saveexec_b32 s10, s7
	s_cbranch_execz .LBB40_134
; %bb.133:                              ;   in Loop: Header=BB40_3 Depth=1
	ds_load_b64 v[9:10], v29
	s_waitcnt lgkmcnt(0)
	v_cmp_lt_f32_e32 vcc_lo, v9, v10
	v_cndmask_b32_e32 v2, v9, v10, vcc_lo
	ds_store_b32 v29, v2
.LBB40_134:                             ;   in Loop: Header=BB40_3 Depth=1
	s_or_b32 exec_lo, exec_lo, s10
	s_waitcnt lgkmcnt(0)
	s_barrier
	buffer_gl0_inv
	ds_load_b32 v2, v29
	s_load_b32 s10, s[54:55], 0x0
	s_waitcnt lgkmcnt(0)
	v_div_scale_f32 v9, null, s10, s10, v2
	s_delay_alu instid0(VALU_DEP_1) | instskip(SKIP_2) | instid1(VALU_DEP_1)
	v_rcp_f32_e32 v10, v9
	s_waitcnt_depctr 0xfff
	v_fma_f32 v11, -v9, v10, 1.0
	v_fmac_f32_e32 v10, v11, v10
	v_div_scale_f32 v11, vcc_lo, v2, s10, v2
	s_delay_alu instid0(VALU_DEP_1) | instskip(NEXT) | instid1(VALU_DEP_1)
	v_mul_f32_e32 v12, v11, v10
	v_fma_f32 v13, -v9, v12, v11
	s_delay_alu instid0(VALU_DEP_1) | instskip(NEXT) | instid1(VALU_DEP_1)
	v_fmac_f32_e32 v12, v13, v10
	v_fma_f32 v9, -v9, v12, v11
	s_delay_alu instid0(VALU_DEP_1) | instskip(NEXT) | instid1(VALU_DEP_1)
	v_div_fmas_f32 v9, v9, v10, v12
	v_div_fixup_f32 v2, v9, s10, v2
	s_and_not1_b32 vcc_lo, exec_lo, s33
	s_cbranch_vccnz .LBB40_121
.LBB40_135:                             ;   in Loop: Header=BB40_3 Depth=1
	v_cmp_gt_i32_e32 vcc_lo, 32, v8
	v_cndmask_b32_e32 v8, v22, v8, vcc_lo
	v_cmp_gt_i32_e32 vcc_lo, 32, v7
	v_cndmask_b32_e32 v7, v22, v7, vcc_lo
	s_delay_alu instid0(VALU_DEP_1) | instskip(NEXT) | instid1(VALU_DEP_4)
	v_lshlrev_b32_e32 v7, 2, v7
	v_lshlrev_b32_e32 v8, 2, v8
	ds_bpermute_b32 v8, v8, v1
	s_waitcnt lgkmcnt(0)
	v_cmp_lt_f32_e32 vcc_lo, v1, v8
	v_cndmask_b32_e32 v1, v1, v8, vcc_lo
	v_cmp_gt_i32_e32 vcc_lo, 32, v6
	v_cndmask_b32_e32 v6, v22, v6, vcc_lo
	ds_bpermute_b32 v7, v7, v1
	v_lshlrev_b32_e32 v6, 2, v6
	s_waitcnt lgkmcnt(0)
	v_cmp_lt_f32_e32 vcc_lo, v1, v7
	v_cndmask_b32_e32 v1, v1, v7, vcc_lo
	v_cmp_gt_i32_e32 vcc_lo, 32, v5
	ds_bpermute_b32 v6, v6, v1
	v_cndmask_b32_e32 v5, v22, v5, vcc_lo
	s_delay_alu instid0(VALU_DEP_1)
	v_lshlrev_b32_e32 v5, 2, v5
	s_waitcnt lgkmcnt(0)
	v_cmp_lt_f32_e32 vcc_lo, v1, v6
	v_cndmask_b32_e32 v1, v1, v6, vcc_lo
	v_cmp_gt_i32_e32 vcc_lo, 32, v3
	ds_bpermute_b32 v5, v5, v1
	v_cndmask_b32_e32 v3, v22, v3, vcc_lo
	s_delay_alu instid0(VALU_DEP_1)
	v_lshlrev_b32_e32 v3, 2, v3
	s_waitcnt lgkmcnt(0)
	v_cmp_lt_f32_e32 vcc_lo, v1, v5
	v_cndmask_b32_e32 v1, v1, v5, vcc_lo
	ds_bpermute_b32 v3, v3, v1
	s_and_saveexec_b32 s10, s2
	s_cbranch_execz .LBB40_137
; %bb.136:                              ;   in Loop: Header=BB40_3 Depth=1
	s_waitcnt lgkmcnt(0)
	v_cmp_lt_f32_e32 vcc_lo, v1, v3
	v_cndmask_b32_e32 v1, v1, v3, vcc_lo
	ds_store_b32 v25, v1
.LBB40_137:                             ;   in Loop: Header=BB40_3 Depth=1
	s_or_b32 exec_lo, exec_lo, s10
	s_waitcnt lgkmcnt(0)
	s_waitcnt_vscnt null, 0x0
	s_barrier
	buffer_gl0_inv
	s_and_saveexec_b32 s10, s3
	s_cbranch_execz .LBB40_139
; %bb.138:                              ;   in Loop: Header=BB40_3 Depth=1
	ds_load_2addr_b32 v[5:6], v20 offset1:16
	s_waitcnt lgkmcnt(0)
	v_cmp_lt_f32_e32 vcc_lo, v5, v6
	v_cndmask_b32_e32 v1, v5, v6, vcc_lo
	ds_store_b32 v20, v1
.LBB40_139:                             ;   in Loop: Header=BB40_3 Depth=1
	s_or_b32 exec_lo, exec_lo, s10
	s_waitcnt lgkmcnt(0)
	s_barrier
	buffer_gl0_inv
	s_and_saveexec_b32 s10, s4
	s_cbranch_execz .LBB40_141
; %bb.140:                              ;   in Loop: Header=BB40_3 Depth=1
	ds_load_2addr_b32 v[5:6], v20 offset1:8
	s_waitcnt lgkmcnt(0)
	v_cmp_lt_f32_e32 vcc_lo, v5, v6
	v_cndmask_b32_e32 v1, v5, v6, vcc_lo
	ds_store_b32 v20, v1
.LBB40_141:                             ;   in Loop: Header=BB40_3 Depth=1
	s_or_b32 exec_lo, exec_lo, s10
	s_waitcnt lgkmcnt(0)
	;; [unrolled: 13-line block ×4, first 2 shown]
	s_barrier
	buffer_gl0_inv
	s_and_saveexec_b32 s10, s7
	s_cbranch_execz .LBB40_147
; %bb.146:                              ;   in Loop: Header=BB40_3 Depth=1
	ds_load_b64 v[5:6], v29
	s_waitcnt lgkmcnt(0)
	v_cmp_lt_f32_e32 vcc_lo, v5, v6
	v_cndmask_b32_e32 v1, v5, v6, vcc_lo
	ds_store_b32 v29, v1
.LBB40_147:                             ;   in Loop: Header=BB40_3 Depth=1
	s_or_b32 exec_lo, exec_lo, s10
	s_waitcnt lgkmcnt(0)
	s_barrier
	buffer_gl0_inv
	ds_load_b32 v1, v29
	s_load_b32 s10, s[54:55], 0x0
	s_waitcnt lgkmcnt(0)
	v_div_scale_f32 v3, null, s10, s10, v1
	s_delay_alu instid0(VALU_DEP_1) | instskip(SKIP_2) | instid1(VALU_DEP_1)
	v_rcp_f32_e32 v5, v3
	s_waitcnt_depctr 0xfff
	v_fma_f32 v6, -v3, v5, 1.0
	v_fmac_f32_e32 v5, v6, v5
	v_div_scale_f32 v6, vcc_lo, v1, s10, v1
	s_delay_alu instid0(VALU_DEP_1) | instskip(NEXT) | instid1(VALU_DEP_1)
	v_mul_f32_e32 v7, v6, v5
	v_fma_f32 v8, -v3, v7, v6
	s_delay_alu instid0(VALU_DEP_1) | instskip(NEXT) | instid1(VALU_DEP_1)
	v_fmac_f32_e32 v7, v8, v5
	v_fma_f32 v3, -v3, v7, v6
	s_delay_alu instid0(VALU_DEP_1) | instskip(NEXT) | instid1(VALU_DEP_1)
	v_div_fmas_f32 v3, v3, v5, v7
	v_div_fixup_f32 v1, v3, s10, v1
	s_and_saveexec_b32 s11, s8
	s_cbranch_execz .LBB40_159
.LBB40_148:                             ;   in Loop: Header=BB40_3 Depth=1
	v_mov_b32_e32 v5, v24
	s_mov_b32 s12, 0
	s_branch .LBB40_150
.LBB40_149:                             ;   in Loop: Header=BB40_150 Depth=2
	s_or_b32 exec_lo, exec_lo, s67
	v_add_nc_u32_e32 v5, 32, v5
	s_delay_alu instid0(VALU_DEP_1) | instskip(SKIP_1) | instid1(SALU_CYCLE_1)
	v_cmp_le_u32_e32 vcc_lo, s63, v5
	s_or_b32 s12, vcc_lo, s12
	s_and_not1_b32 exec_lo, exec_lo, s12
	s_cbranch_execz .LBB40_159
.LBB40_150:                             ;   Parent Loop BB40_3 Depth=1
                                        ; =>  This Loop Header: Depth=2
                                        ;       Child Loop BB40_153 Depth 3
                                        ;       Child Loop BB40_156 Depth 3
	s_mov_b32 s67, exec_lo
	s_delay_alu instid0(VALU_DEP_1)
	v_cmpx_gt_i32_e64 s35, v5
	s_cbranch_execz .LBB40_149
; %bb.151:                              ;   in Loop: Header=BB40_150 Depth=2
	v_ashrrev_i32_e32 v6, 31, v5
	s_mov_b32 s68, exec_lo
	s_delay_alu instid0(VALU_DEP_1) | instskip(NEXT) | instid1(VALU_DEP_1)
	v_lshlrev_b64 v[7:8], 2, v[5:6]
	v_add_co_u32 v9, vcc_lo, s24, v7
	s_delay_alu instid0(VALU_DEP_2)
	v_add_co_ci_u32_e32 v10, vcc_lo, s25, v8, vcc_lo
	v_add_co_u32 v11, vcc_lo, s26, v7
	v_add_co_ci_u32_e32 v12, vcc_lo, s27, v8, vcc_lo
	global_load_b32 v3, v[9:10], off
	global_load_b32 v10, v[11:12], off
	s_waitcnt vmcnt(1)
	v_add_nc_u32_e32 v9, v27, v3
	s_waitcnt vmcnt(0)
	v_subrev_nc_u32_e32 v3, s61, v10
	s_delay_alu instid0(VALU_DEP_1)
	v_cmpx_lt_i32_e64 v9, v3
	s_cbranch_execz .LBB40_154
; %bb.152:                              ;   in Loop: Header=BB40_150 Depth=2
	v_ashrrev_i32_e32 v10, 31, v9
	s_mov_b32 s69, 0
	s_delay_alu instid0(VALU_DEP_1) | instskip(NEXT) | instid1(VALU_DEP_1)
	v_lshlrev_b64 v[12:13], 3, v[9:10]
	v_add_co_u32 v10, vcc_lo, s52, v12
	s_delay_alu instid0(VALU_DEP_2)
	v_add_co_ci_u32_e32 v11, vcc_lo, s53, v13, vcc_lo
	v_add_co_u32 v12, vcc_lo, s30, v12
	v_add_co_ci_u32_e32 v13, vcc_lo, s31, v13, vcc_lo
	.p2align	6
.LBB40_153:                             ;   Parent Loop BB40_3 Depth=1
                                        ;     Parent Loop BB40_150 Depth=2
                                        ; =>    This Inner Loop Header: Depth=3
	global_load_b64 v[14:15], v[10:11], off
	v_add_nc_u32_e32 v9, 32, v9
	v_add_co_u32 v10, vcc_lo, 0x100, v10
	v_add_co_ci_u32_e32 v11, vcc_lo, 0, v11, vcc_lo
	s_delay_alu instid0(VALU_DEP_3) | instskip(SKIP_4) | instid1(VALU_DEP_1)
	v_cmp_ge_i32_e32 vcc_lo, v9, v3
	s_or_b32 s69, vcc_lo, s69
	s_waitcnt vmcnt(0)
	global_store_b64 v[12:13], v[14:15], off
	v_add_co_u32 v12, s10, 0x100, v12
	v_add_co_ci_u32_e64 v13, s10, 0, v13, s10
	s_and_not1_b32 exec_lo, exec_lo, s69
	s_cbranch_execnz .LBB40_153
.LBB40_154:                             ;   in Loop: Header=BB40_150 Depth=2
	s_or_b32 exec_lo, exec_lo, s68
	v_add_co_u32 v9, vcc_lo, s16, v7
	v_add_co_ci_u32_e32 v10, vcc_lo, s17, v8, vcc_lo
	v_add_co_u32 v7, vcc_lo, s18, v7
	v_add_co_ci_u32_e32 v8, vcc_lo, s19, v8, vcc_lo
	s_mov_b32 s68, exec_lo
	global_load_b32 v3, v[9:10], off
	global_load_b32 v8, v[7:8], off
	s_waitcnt vmcnt(1)
	v_add_nc_u32_e32 v7, v28, v3
	s_waitcnt vmcnt(0)
	v_subrev_nc_u32_e32 v3, s62, v8
	s_delay_alu instid0(VALU_DEP_1)
	v_cmpx_lt_i32_e64 v7, v3
	s_cbranch_execz .LBB40_157
; %bb.155:                              ;   in Loop: Header=BB40_150 Depth=2
	v_ashrrev_i32_e32 v8, 31, v7
	s_mov_b32 s69, 0
	s_delay_alu instid0(VALU_DEP_1) | instskip(NEXT) | instid1(VALU_DEP_1)
	v_lshlrev_b64 v[10:11], 3, v[7:8]
	v_add_co_u32 v8, vcc_lo, s14, v10
	s_delay_alu instid0(VALU_DEP_2)
	v_add_co_ci_u32_e32 v9, vcc_lo, s15, v11, vcc_lo
	v_add_co_u32 v10, vcc_lo, s22, v10
	v_add_co_ci_u32_e32 v11, vcc_lo, s23, v11, vcc_lo
	.p2align	6
.LBB40_156:                             ;   Parent Loop BB40_3 Depth=1
                                        ;     Parent Loop BB40_150 Depth=2
                                        ; =>    This Inner Loop Header: Depth=3
	global_load_b64 v[12:13], v[8:9], off
	v_add_nc_u32_e32 v7, 32, v7
	v_add_co_u32 v8, vcc_lo, 0x100, v8
	v_add_co_ci_u32_e32 v9, vcc_lo, 0, v9, vcc_lo
	s_delay_alu instid0(VALU_DEP_3) | instskip(SKIP_4) | instid1(VALU_DEP_1)
	v_cmp_ge_i32_e32 vcc_lo, v7, v3
	s_or_b32 s69, vcc_lo, s69
	s_waitcnt vmcnt(0)
	global_store_b64 v[10:11], v[12:13], off
	v_add_co_u32 v10, s10, 0x100, v10
	v_add_co_ci_u32_e64 v11, s10, 0, v11, s10
	s_and_not1_b32 exec_lo, exec_lo, s69
	s_cbranch_execnz .LBB40_156
.LBB40_157:                             ;   in Loop: Header=BB40_150 Depth=2
	s_or_b32 exec_lo, exec_lo, s68
	s_delay_alu instid0(SALU_CYCLE_1)
	s_and_b32 exec_lo, exec_lo, s9
	s_cbranch_execz .LBB40_149
; %bb.158:                              ;   in Loop: Header=BB40_150 Depth=2
	v_lshlrev_b64 v[6:7], 3, v[5:6]
	s_delay_alu instid0(VALU_DEP_1) | instskip(NEXT) | instid1(VALU_DEP_2)
	v_add_co_u32 v8, vcc_lo, s50, v6
	v_add_co_ci_u32_e32 v9, vcc_lo, s51, v7, vcc_lo
	v_add_co_u32 v6, vcc_lo, s48, v6
	v_add_co_ci_u32_e32 v7, vcc_lo, s49, v7, vcc_lo
	global_load_b64 v[8:9], v[8:9], off
	s_waitcnt vmcnt(0)
	global_store_b64 v[6:7], v[8:9], off
	s_branch .LBB40_149
.LBB40_159:                             ;   in Loop: Header=BB40_3 Depth=1
	s_or_b32 exec_lo, exec_lo, s11
	s_mov_b32 s11, -1
	s_and_b32 vcc_lo, exec_lo, s57
	s_mov_b32 s10, -1
	s_cbranch_vccz .LBB40_169
; %bb.160:                              ;   in Loop: Header=BB40_3 Depth=1
	s_and_b32 vcc_lo, exec_lo, s65
                                        ; implicit-def: $sgpr12
	s_cbranch_vccz .LBB40_166
; %bb.161:                              ;   in Loop: Header=BB40_3 Depth=1
	s_and_b32 vcc_lo, exec_lo, s64
                                        ; implicit-def: $sgpr12
	s_cbranch_vccz .LBB40_163
; %bb.162:                              ;   in Loop: Header=BB40_3 Depth=1
	v_cmp_ge_f32_e32 vcc_lo, s34, v1
	s_mov_b32 s10, 0
	s_and_b32 s12, vcc_lo, exec_lo
.LBB40_163:                             ;   in Loop: Header=BB40_3 Depth=1
	s_and_not1_b32 vcc_lo, exec_lo, s10
	s_cbranch_vccnz .LBB40_165
; %bb.164:                              ;   in Loop: Header=BB40_3 Depth=1
	v_cmp_ge_f32_e32 vcc_lo, s34, v2
	s_and_not1_b32 s10, s12, exec_lo
	s_and_b32 s12, vcc_lo, exec_lo
	s_delay_alu instid0(SALU_CYCLE_1)
	s_or_b32 s12, s10, s12
.LBB40_165:                             ;   in Loop: Header=BB40_3 Depth=1
	s_mov_b32 s10, 0
.LBB40_166:                             ;   in Loop: Header=BB40_3 Depth=1
	s_delay_alu instid0(SALU_CYCLE_1)
	s_and_not1_b32 vcc_lo, exec_lo, s10
	s_cbranch_vccnz .LBB40_168
; %bb.167:                              ;   in Loop: Header=BB40_3 Depth=1
	v_cmp_ge_f32_e32 vcc_lo, s34, v2
	v_cmp_ge_f32_e64 s10, s34, v1
	s_and_not1_b32 s12, s12, exec_lo
	s_delay_alu instid0(VALU_DEP_1) | instskip(NEXT) | instid1(SALU_CYCLE_1)
	s_and_b32 s10, vcc_lo, s10
	s_and_b32 s10, s10, exec_lo
	s_delay_alu instid0(SALU_CYCLE_1)
	s_or_b32 s12, s12, s10
.LBB40_168:                             ;   in Loop: Header=BB40_3 Depth=1
	s_delay_alu instid0(SALU_CYCLE_1)
	s_xor_b32 s10, s12, -1
.LBB40_169:                             ;   in Loop: Header=BB40_3 Depth=1
	v_mov_b32_e32 v3, s66
	s_and_saveexec_b32 s12, s10
	s_cbranch_execz .LBB40_2
; %bb.170:                              ;   in Loop: Header=BB40_3 Depth=1
	s_add_i32 s66, s66, 1
	v_mov_b32_e32 v3, s13
	s_cmp_eq_u32 s66, s13
	s_cselect_b32 s10, -1, 0
	s_delay_alu instid0(SALU_CYCLE_1)
	s_or_not1_b32 s11, s10, exec_lo
	s_branch .LBB40_2
.LBB40_171:
	s_or_b32 exec_lo, exec_lo, s59
.LBB40_172:
	s_delay_alu instid0(SALU_CYCLE_1) | instskip(NEXT) | instid1(SALU_CYCLE_1)
	s_or_b32 exec_lo, exec_lo, s58
	s_and_not1_b32 vcc_lo, exec_lo, s57
	s_cbranch_vccnz .LBB40_189
; %bb.173:
	v_xor_b32_e32 v4, 16, v22
	v_xor_b32_e32 v5, 8, v22
	s_mov_b32 s2, exec_lo
	s_delay_alu instid0(VALU_DEP_2) | instskip(SKIP_1) | instid1(VALU_DEP_3)
	v_cmp_gt_i32_e32 vcc_lo, 32, v4
	v_cndmask_b32_e32 v4, v22, v4, vcc_lo
	v_cmp_gt_i32_e32 vcc_lo, 32, v5
	v_cndmask_b32_e32 v5, v22, v5, vcc_lo
	s_delay_alu instid0(VALU_DEP_1) | instskip(NEXT) | instid1(VALU_DEP_4)
	v_lshlrev_b32_e32 v5, 2, v5
	v_lshlrev_b32_e32 v4, 2, v4
	ds_bpermute_b32 v4, v4, v3
	s_waitcnt lgkmcnt(0)
	v_max_i32_e32 v3, v3, v4
	ds_bpermute_b32 v4, v5, v3
	v_xor_b32_e32 v5, 4, v22
	s_delay_alu instid0(VALU_DEP_1) | instskip(SKIP_1) | instid1(VALU_DEP_1)
	v_cmp_gt_i32_e32 vcc_lo, 32, v5
	v_cndmask_b32_e32 v5, v22, v5, vcc_lo
	v_lshlrev_b32_e32 v5, 2, v5
	s_waitcnt lgkmcnt(0)
	v_max_i32_e32 v3, v3, v4
	ds_bpermute_b32 v4, v5, v3
	v_xor_b32_e32 v5, 2, v22
	s_delay_alu instid0(VALU_DEP_1) | instskip(SKIP_1) | instid1(VALU_DEP_1)
	v_cmp_gt_i32_e32 vcc_lo, 32, v5
	v_cndmask_b32_e32 v5, v22, v5, vcc_lo
	v_lshlrev_b32_e32 v5, 2, v5
	s_waitcnt lgkmcnt(0)
	v_max_i32_e32 v3, v3, v4
	ds_bpermute_b32 v4, v5, v3
	v_xor_b32_e32 v5, 1, v22
	s_delay_alu instid0(VALU_DEP_1) | instskip(SKIP_3) | instid1(VALU_DEP_2)
	v_cmp_gt_i32_e32 vcc_lo, 32, v5
	v_cndmask_b32_e32 v5, v22, v5, vcc_lo
	s_waitcnt lgkmcnt(0)
	v_max_i32_e32 v3, v3, v4
	v_lshlrev_b32_e32 v4, 2, v5
	ds_bpermute_b32 v4, v4, v3
	v_cmpx_eq_u32_e32 31, v23
	s_cbranch_execz .LBB40_175
; %bb.174:
	v_lshlrev_b32_e32 v5, 2, v21
	s_waitcnt lgkmcnt(0)
	v_max_i32_e32 v3, v3, v4
	ds_store_b32 v5, v3 offset:128
.LBB40_175:
	s_or_b32 exec_lo, exec_lo, s2
	s_delay_alu instid0(SALU_CYCLE_1)
	s_mov_b32 s2, exec_lo
	s_waitcnt lgkmcnt(0)
	s_waitcnt_vscnt null, 0x0
	s_barrier
	buffer_gl0_inv
	v_cmpx_gt_u32_e32 16, v0
	s_cbranch_execz .LBB40_177
; %bb.176:
	ds_load_2addr_b32 v[3:4], v20 offset0:32 offset1:48
	s_waitcnt lgkmcnt(0)
	v_max_i32_e32 v3, v3, v4
	ds_store_b32 v20, v3 offset:128
.LBB40_177:
	s_or_b32 exec_lo, exec_lo, s2
	s_delay_alu instid0(SALU_CYCLE_1)
	s_mov_b32 s2, exec_lo
	s_waitcnt lgkmcnt(0)
	s_barrier
	buffer_gl0_inv
	v_cmpx_gt_u32_e32 8, v0
	s_cbranch_execz .LBB40_179
; %bb.178:
	ds_load_2addr_b32 v[3:4], v20 offset0:32 offset1:40
	s_waitcnt lgkmcnt(0)
	v_max_i32_e32 v3, v3, v4
	ds_store_b32 v20, v3 offset:128
.LBB40_179:
	s_or_b32 exec_lo, exec_lo, s2
	s_delay_alu instid0(SALU_CYCLE_1)
	s_mov_b32 s2, exec_lo
	s_waitcnt lgkmcnt(0)
	;; [unrolled: 14-line block ×3, first 2 shown]
	s_barrier
	buffer_gl0_inv
	v_cmpx_gt_u32_e32 2, v0
	s_cbranch_execz .LBB40_183
; %bb.182:
	ds_load_2addr_b32 v[3:4], v20 offset0:32 offset1:34
	s_waitcnt lgkmcnt(0)
	v_max_i32_e32 v3, v3, v4
	ds_store_b32 v20, v3 offset:128
.LBB40_183:
	s_or_b32 exec_lo, exec_lo, s2
	v_cmp_eq_u32_e32 vcc_lo, 0, v0
	s_waitcnt lgkmcnt(0)
	s_barrier
	buffer_gl0_inv
	s_and_saveexec_b32 s2, vcc_lo
	s_cbranch_execz .LBB40_185
; %bb.184:
	v_mov_b32_e32 v5, 0
	ds_load_b64 v[3:4], v5 offset:128
	s_waitcnt lgkmcnt(0)
	v_max_i32_e32 v3, v3, v4
	ds_store_b32 v5, v3 offset:128
.LBB40_185:
	s_or_b32 exec_lo, exec_lo, s2
	s_waitcnt lgkmcnt(0)
	s_barrier
	buffer_gl0_inv
	s_and_saveexec_b32 s2, vcc_lo
	s_cbranch_execz .LBB40_188
; %bb.186:
	v_mbcnt_lo_u32_b32 v3, exec_lo, 0
	s_delay_alu instid0(VALU_DEP_1)
	v_cmp_eq_u32_e32 vcc_lo, 0, v3
	s_and_b32 exec_lo, exec_lo, vcc_lo
	s_cbranch_execz .LBB40_188
; %bb.187:
	v_mov_b32_e32 v3, 0
	s_load_b64 s[0:1], s[0:1], 0x8
	ds_load_b32 v4, v3 offset:128
	s_waitcnt lgkmcnt(0)
	v_add_nc_u32_e32 v4, 1, v4
	global_atomic_max_i32 v3, v4, s[0:1]
.LBB40_188:
	s_or_b32 exec_lo, exec_lo, s2
.LBB40_189:
	v_cmp_eq_u32_e32 vcc_lo, 0, v0
	s_mov_b32 s2, 0
	s_and_b32 s0, vcc_lo, s56
	s_delay_alu instid0(SALU_CYCLE_1)
	s_and_saveexec_b32 s3, s0
	s_cbranch_execz .LBB40_194
; %bb.190:
	v_mov_b32_e32 v0, 0
	v_cmp_eq_f32_e64 s0, 0, v2
                                        ; implicit-def: $sgpr4
                                        ; implicit-def: $sgpr5
	global_load_b32 v3, v0, s[44:45] glc
	s_waitcnt vmcnt(0)
	v_cmp_eq_u32_e64 s6, 0x80000000, v3
	s_set_inst_prefetch_distance 0x1
	s_branch .LBB40_192
	.p2align	6
.LBB40_191:                             ;   in Loop: Header=BB40_192 Depth=1
	s_or_b32 exec_lo, exec_lo, s7
	s_delay_alu instid0(SALU_CYCLE_1) | instskip(NEXT) | instid1(SALU_CYCLE_1)
	s_and_b32 s1, exec_lo, s4
	s_or_b32 s2, s1, s2
	s_and_not1_b32 s1, s6, exec_lo
	s_and_b32 s6, s5, exec_lo
	s_delay_alu instid0(SALU_CYCLE_1)
	s_or_b32 s6, s1, s6
	s_and_not1_b32 exec_lo, exec_lo, s2
	s_cbranch_execz .LBB40_194
.LBB40_192:                             ; =>This Inner Loop Header: Depth=1
	v_cmp_lt_f32_e64 s1, v3, v2
	s_delay_alu instid0(VALU_DEP_2) | instskip(SKIP_2) | instid1(VALU_DEP_1)
	s_and_b32 s7, s0, s6
	s_and_not1_b32 s5, s5, exec_lo
	s_or_b32 s4, s4, exec_lo
	s_or_b32 s1, s1, s7
	s_delay_alu instid0(SALU_CYCLE_1)
	s_and_saveexec_b32 s7, s1
	s_cbranch_execz .LBB40_191
; %bb.193:                              ;   in Loop: Header=BB40_192 Depth=1
	global_atomic_cmpswap_b32 v4, v0, v[2:3], s[44:45] glc
	s_and_not1_b32 s5, s5, exec_lo
	s_and_not1_b32 s4, s4, exec_lo
	s_waitcnt vmcnt(0)
	v_cmp_eq_u32_e64 s1, v4, v3
	s_delay_alu instid0(VALU_DEP_1) | instskip(SKIP_1) | instid1(SALU_CYCLE_1)
	v_cndmask_b32_e64 v3, v4, v3, s1
	s_and_b32 s1, s1, exec_lo
	s_or_b32 s4, s4, s1
	s_delay_alu instid0(VALU_DEP_1) | instskip(SKIP_1) | instid1(VALU_DEP_2)
	v_cmp_class_f32_e64 s6, v3, 32
	v_mov_b32_e32 v3, v4
	s_and_b32 s6, s6, exec_lo
	s_delay_alu instid0(SALU_CYCLE_1)
	s_or_b32 s5, s5, s6
                                        ; implicit-def: $sgpr6
	s_branch .LBB40_191
.LBB40_194:
	s_set_inst_prefetch_distance 0x2
	s_or_b32 exec_lo, exec_lo, s3
	s_and_b32 s0, vcc_lo, s33
	s_delay_alu instid0(SALU_CYCLE_1)
	s_and_saveexec_b32 s1, s0
	s_cbranch_execz .LBB40_199
; %bb.195:
	v_mov_b32_e32 v0, 0
	v_cmp_eq_f32_e32 vcc_lo, 0, v1
	s_mov_b32 s1, 0
                                        ; implicit-def: $sgpr2
                                        ; implicit-def: $sgpr3
	global_load_b32 v2, v0, s[46:47] glc
	s_waitcnt vmcnt(0)
	v_cmp_eq_u32_e64 s4, 0x80000000, v2
	s_set_inst_prefetch_distance 0x1
	s_branch .LBB40_197
	.p2align	6
.LBB40_196:                             ;   in Loop: Header=BB40_197 Depth=1
	s_or_b32 exec_lo, exec_lo, s5
	s_delay_alu instid0(SALU_CYCLE_1) | instskip(NEXT) | instid1(SALU_CYCLE_1)
	s_and_b32 s0, exec_lo, s2
	s_or_b32 s1, s0, s1
	s_and_not1_b32 s0, s4, exec_lo
	s_and_b32 s4, s3, exec_lo
	s_delay_alu instid0(SALU_CYCLE_1)
	s_or_b32 s4, s0, s4
	s_and_not1_b32 exec_lo, exec_lo, s1
	s_cbranch_execz .LBB40_199
.LBB40_197:                             ; =>This Inner Loop Header: Depth=1
	v_cmp_lt_f32_e64 s0, v2, v1
	s_delay_alu instid0(VALU_DEP_2) | instskip(SKIP_2) | instid1(VALU_DEP_1)
	s_and_b32 s5, vcc_lo, s4
	s_and_not1_b32 s3, s3, exec_lo
	s_or_b32 s2, s2, exec_lo
	s_or_b32 s0, s0, s5
	s_delay_alu instid0(SALU_CYCLE_1)
	s_and_saveexec_b32 s5, s0
	s_cbranch_execz .LBB40_196
; %bb.198:                              ;   in Loop: Header=BB40_197 Depth=1
	global_atomic_cmpswap_b32 v3, v0, v[1:2], s[46:47] glc
	s_and_not1_b32 s3, s3, exec_lo
	s_and_not1_b32 s2, s2, exec_lo
	s_waitcnt vmcnt(0)
	v_cmp_eq_u32_e64 s0, v3, v2
	s_delay_alu instid0(VALU_DEP_1) | instskip(SKIP_1) | instid1(SALU_CYCLE_1)
	v_cndmask_b32_e64 v2, v3, v2, s0
	s_and_b32 s0, s0, exec_lo
	s_or_b32 s2, s2, s0
	s_delay_alu instid0(VALU_DEP_1) | instskip(SKIP_1) | instid1(VALU_DEP_2)
	v_cmp_class_f32_e64 s4, v2, 32
	v_mov_b32_e32 v2, v3
	s_and_b32 s4, s4, exec_lo
	s_delay_alu instid0(SALU_CYCLE_1)
	s_or_b32 s3, s3, s4
                                        ; implicit-def: $sgpr4
	s_branch .LBB40_196
.LBB40_199:
	s_set_inst_prefetch_distance 0x2
	s_nop 0
	s_sendmsg sendmsg(MSG_DEALLOC_VGPRS)
	s_endpgm
	.section	.rodata,"a",@progbits
	.p2align	6, 0x0
	.amdhsa_kernel _ZN9rocsparseL6kernelILi1024ELi32E21rocsparse_complex_numIfEiiEEvbbbT3_PS3_NS_15floating_traitsIT1_E6data_tES3_T2_PKS9_SB_PKS3_PKS6_21rocsparse_index_base_SB_SB_SD_PS6_SH_SG_SB_SB_SD_SH_SH_SG_SH_SH_PS8_SI_PKS8_
		.amdhsa_group_segment_fixed_size 256
		.amdhsa_private_segment_fixed_size 0
		.amdhsa_kernarg_size 208
		.amdhsa_user_sgpr_count 15
		.amdhsa_user_sgpr_dispatch_ptr 0
		.amdhsa_user_sgpr_queue_ptr 0
		.amdhsa_user_sgpr_kernarg_segment_ptr 1
		.amdhsa_user_sgpr_dispatch_id 0
		.amdhsa_user_sgpr_private_segment_size 0
		.amdhsa_wavefront_size32 1
		.amdhsa_uses_dynamic_stack 0
		.amdhsa_enable_private_segment 0
		.amdhsa_system_sgpr_workgroup_id_x 1
		.amdhsa_system_sgpr_workgroup_id_y 0
		.amdhsa_system_sgpr_workgroup_id_z 0
		.amdhsa_system_sgpr_workgroup_info 0
		.amdhsa_system_vgpr_workitem_id 0
		.amdhsa_next_free_vgpr 44
		.amdhsa_next_free_sgpr 80
		.amdhsa_reserve_vcc 1
		.amdhsa_float_round_mode_32 0
		.amdhsa_float_round_mode_16_64 0
		.amdhsa_float_denorm_mode_32 3
		.amdhsa_float_denorm_mode_16_64 3
		.amdhsa_dx10_clamp 1
		.amdhsa_ieee_mode 1
		.amdhsa_fp16_overflow 0
		.amdhsa_workgroup_processor_mode 1
		.amdhsa_memory_ordered 1
		.amdhsa_forward_progress 0
		.amdhsa_shared_vgpr_count 0
		.amdhsa_exception_fp_ieee_invalid_op 0
		.amdhsa_exception_fp_denorm_src 0
		.amdhsa_exception_fp_ieee_div_zero 0
		.amdhsa_exception_fp_ieee_overflow 0
		.amdhsa_exception_fp_ieee_underflow 0
		.amdhsa_exception_fp_ieee_inexact 0
		.amdhsa_exception_int_div_zero 0
	.end_amdhsa_kernel
	.section	.text._ZN9rocsparseL6kernelILi1024ELi32E21rocsparse_complex_numIfEiiEEvbbbT3_PS3_NS_15floating_traitsIT1_E6data_tES3_T2_PKS9_SB_PKS3_PKS6_21rocsparse_index_base_SB_SB_SD_PS6_SH_SG_SB_SB_SD_SH_SH_SG_SH_SH_PS8_SI_PKS8_,"axG",@progbits,_ZN9rocsparseL6kernelILi1024ELi32E21rocsparse_complex_numIfEiiEEvbbbT3_PS3_NS_15floating_traitsIT1_E6data_tES3_T2_PKS9_SB_PKS3_PKS6_21rocsparse_index_base_SB_SB_SD_PS6_SH_SG_SB_SB_SD_SH_SH_SG_SH_SH_PS8_SI_PKS8_,comdat
.Lfunc_end40:
	.size	_ZN9rocsparseL6kernelILi1024ELi32E21rocsparse_complex_numIfEiiEEvbbbT3_PS3_NS_15floating_traitsIT1_E6data_tES3_T2_PKS9_SB_PKS3_PKS6_21rocsparse_index_base_SB_SB_SD_PS6_SH_SG_SB_SB_SD_SH_SH_SG_SH_SH_PS8_SI_PKS8_, .Lfunc_end40-_ZN9rocsparseL6kernelILi1024ELi32E21rocsparse_complex_numIfEiiEEvbbbT3_PS3_NS_15floating_traitsIT1_E6data_tES3_T2_PKS9_SB_PKS3_PKS6_21rocsparse_index_base_SB_SB_SD_PS6_SH_SG_SB_SB_SD_SH_SH_SG_SH_SH_PS8_SI_PKS8_
                                        ; -- End function
	.section	.AMDGPU.csdata,"",@progbits
; Kernel info:
; codeLenInByte = 9908
; NumSgprs: 82
; NumVgprs: 44
; ScratchSize: 0
; MemoryBound: 0
; FloatMode: 240
; IeeeMode: 1
; LDSByteSize: 256 bytes/workgroup (compile time only)
; SGPRBlocks: 10
; VGPRBlocks: 5
; NumSGPRsForWavesPerEU: 82
; NumVGPRsForWavesPerEU: 44
; Occupancy: 16
; WaveLimiterHint : 1
; COMPUTE_PGM_RSRC2:SCRATCH_EN: 0
; COMPUTE_PGM_RSRC2:USER_SGPR: 15
; COMPUTE_PGM_RSRC2:TRAP_HANDLER: 0
; COMPUTE_PGM_RSRC2:TGID_X_EN: 1
; COMPUTE_PGM_RSRC2:TGID_Y_EN: 0
; COMPUTE_PGM_RSRC2:TGID_Z_EN: 0
; COMPUTE_PGM_RSRC2:TIDIG_COMP_CNT: 0
	.section	.text._ZN9rocsparseL6kernelILi1024ELi64E21rocsparse_complex_numIfEiiEEvbbbT3_PS3_NS_15floating_traitsIT1_E6data_tES3_T2_PKS9_SB_PKS3_PKS6_21rocsparse_index_base_SB_SB_SD_PS6_SH_SG_SB_SB_SD_SH_SH_SG_SH_SH_PS8_SI_PKS8_,"axG",@progbits,_ZN9rocsparseL6kernelILi1024ELi64E21rocsparse_complex_numIfEiiEEvbbbT3_PS3_NS_15floating_traitsIT1_E6data_tES3_T2_PKS9_SB_PKS3_PKS6_21rocsparse_index_base_SB_SB_SD_PS6_SH_SG_SB_SB_SD_SH_SH_SG_SH_SH_PS8_SI_PKS8_,comdat
	.globl	_ZN9rocsparseL6kernelILi1024ELi64E21rocsparse_complex_numIfEiiEEvbbbT3_PS3_NS_15floating_traitsIT1_E6data_tES3_T2_PKS9_SB_PKS3_PKS6_21rocsparse_index_base_SB_SB_SD_PS6_SH_SG_SB_SB_SD_SH_SH_SG_SH_SH_PS8_SI_PKS8_ ; -- Begin function _ZN9rocsparseL6kernelILi1024ELi64E21rocsparse_complex_numIfEiiEEvbbbT3_PS3_NS_15floating_traitsIT1_E6data_tES3_T2_PKS9_SB_PKS3_PKS6_21rocsparse_index_base_SB_SB_SD_PS6_SH_SG_SB_SB_SD_SH_SH_SG_SH_SH_PS8_SI_PKS8_
	.p2align	8
	.type	_ZN9rocsparseL6kernelILi1024ELi64E21rocsparse_complex_numIfEiiEEvbbbT3_PS3_NS_15floating_traitsIT1_E6data_tES3_T2_PKS9_SB_PKS3_PKS6_21rocsparse_index_base_SB_SB_SD_PS6_SH_SG_SB_SB_SD_SH_SH_SG_SH_SH_PS8_SI_PKS8_,@function
_ZN9rocsparseL6kernelILi1024ELi64E21rocsparse_complex_numIfEiiEEvbbbT3_PS3_NS_15floating_traitsIT1_E6data_tES3_T2_PKS9_SB_PKS3_PKS6_21rocsparse_index_base_SB_SB_SD_PS6_SH_SG_SB_SB_SD_SH_SH_SG_SH_SH_PS8_SI_PKS8_: ; @_ZN9rocsparseL6kernelILi1024ELi64E21rocsparse_complex_numIfEiiEEvbbbT3_PS3_NS_15floating_traitsIT1_E6data_tES3_T2_PKS9_SB_PKS3_PKS6_21rocsparse_index_base_SB_SB_SD_PS6_SH_SG_SB_SB_SD_SH_SH_SG_SH_SH_PS8_SI_PKS8_
; %bb.0:
	s_clause 0x3
	s_load_b32 s2, s[0:1], 0x0
	s_load_b64 s[34:35], s[0:1], 0x0
	s_load_b64 s[48:49], s[0:1], 0x10
	s_load_b128 s[28:31], s[0:1], 0xb8
	v_lshrrev_b32_e32 v21, 6, v0
	v_dual_mov_b32 v3, 0 :: v_dual_lshlrev_b32 v20, 2, v0
	v_mbcnt_lo_u32_b32 v22, -1, 0
	v_dual_mov_b32 v2, 0 :: v_dual_mov_b32 v1, 0
	v_and_b32_e32 v23, 63, v0
	s_mov_b32 s58, 0
	ds_store_b32 v20, v3
	s_waitcnt lgkmcnt(0)
	s_barrier
	buffer_gl0_inv
	s_bitcmp1_b32 s2, 0
	s_cselect_b32 s57, -1, 0
	s_bitcmp1_b32 s2, 8
	s_cselect_b32 s56, -1, 0
	s_bitcmp1_b32 s34, 16
	s_cselect_b32 s33, -1, 0
	s_lshl_b32 s62, s15, 10
	s_cmp_gt_i32 s35, 0
	v_or_b32_e32 v24, s62, v21
	s_cselect_b32 s2, -1, 0
	s_delay_alu instid0(VALU_DEP_1) | instskip(SKIP_1) | instid1(SALU_CYCLE_1)
	v_cmp_gt_i32_e32 vcc_lo, s49, v24
	s_and_b32 s2, s2, vcc_lo
	s_and_saveexec_b32 s34, s2
	s_cbranch_execz .LBB41_168
; %bb.1:
	s_clause 0x9
	s_load_b32 s59, s[0:1], 0x40
	s_load_b32 s60, s[0:1], 0x70
	;; [unrolled: 1-line block ×3, first 2 shown]
	s_load_b64 s[50:51], s[0:1], 0x98
	s_load_b64 s[52:53], s[0:1], 0x68
	;; [unrolled: 1-line block ×3, first 2 shown]
	s_load_b128 s[44:47], s[0:1], 0xa8
	s_load_b256 s[12:19], s[0:1], 0x78
	s_load_b256 s[20:27], s[0:1], 0x48
	;; [unrolled: 1-line block ×3, first 2 shown]
	s_addk_i32 s62, 0x400
	v_cmp_eq_u32_e64 s2, 63, v23
	v_dual_mov_b32 v4, 0 :: v_dual_lshlrev_b32 v25, 2, v21
	v_cmp_gt_u32_e64 s3, 8, v0
	v_cmp_gt_u32_e64 s4, 4, v0
	;; [unrolled: 1-line block ×3, first 2 shown]
	v_cmp_eq_u32_e64 s6, 0, v0
	v_cmp_gt_u32_e64 s7, s62, v24
	v_cmp_eq_u32_e64 s8, 0, v23
	s_waitcnt lgkmcnt(0)
	v_subrev_nc_u32_e32 v26, s59, v23
	v_subrev_nc_u32_e32 v27, s60, v23
	v_subrev_nc_u32_e32 v28, s61, v23
	v_dual_mov_b32 v29, 0 :: v_dual_mov_b32 v2, 0
	v_mov_b32_e32 v1, 0
	s_and_b32 s9, s56, s33
	s_xor_b32 s63, s56, -1
	s_xor_b32 s64, s9, -1
	s_mov_b32 s65, 0
	s_branch .LBB41_3
.LBB41_2:                               ;   in Loop: Header=BB41_3 Depth=1
	s_or_b32 exec_lo, exec_lo, s11
	s_delay_alu instid0(SALU_CYCLE_1) | instskip(NEXT) | instid1(SALU_CYCLE_1)
	s_and_b32 s9, exec_lo, s10
	s_or_b32 s58, s9, s58
	s_delay_alu instid0(SALU_CYCLE_1)
	s_and_not1_b32 exec_lo, exec_lo, s58
	s_cbranch_execz .LBB41_167
.LBB41_3:                               ; =>This Loop Header: Depth=1
                                        ;     Child Loop BB41_7 Depth 2
                                        ;       Child Loop BB41_12 Depth 3
                                        ;         Child Loop BB41_16 Depth 4
                                        ;         Child Loop BB41_51 Depth 4
	;; [unrolled: 1-line block ×5, first 2 shown]
                                        ;     Child Loop BB41_146 Depth 2
                                        ;       Child Loop BB41_149 Depth 3
                                        ;       Child Loop BB41_152 Depth 3
	v_cndmask_b32_e64 v2, v2, 0, s56
	v_cndmask_b32_e64 v1, v1, 0, s33
	s_mov_b32 s66, 0
	s_branch .LBB41_7
.LBB41_4:                               ;   in Loop: Header=BB41_7 Depth=2
	s_or_b32 exec_lo, exec_lo, s69
.LBB41_5:                               ;   in Loop: Header=BB41_7 Depth=2
	s_delay_alu instid0(SALU_CYCLE_1)
	s_or_b32 exec_lo, exec_lo, s68
.LBB41_6:                               ;   in Loop: Header=BB41_7 Depth=2
	s_delay_alu instid0(SALU_CYCLE_1) | instskip(SKIP_1) | instid1(SALU_CYCLE_1)
	s_or_b32 exec_lo, exec_lo, s67
	s_add_i32 s66, s66, 1
	s_cmp_eq_u32 s66, 64
	s_cbranch_scc1 .LBB41_119
.LBB41_7:                               ;   Parent Loop BB41_3 Depth=1
                                        ; =>  This Loop Header: Depth=2
                                        ;       Child Loop BB41_12 Depth 3
                                        ;         Child Loop BB41_16 Depth 4
                                        ;         Child Loop BB41_51 Depth 4
	;; [unrolled: 1-line block ×5, first 2 shown]
	v_lshl_add_u32 v5, s66, 4, v24
	s_mov_b32 s67, exec_lo
	s_delay_alu instid0(VALU_DEP_1)
	v_cmpx_gt_i32_e64 s49, v5
	s_cbranch_execz .LBB41_6
; %bb.8:                                ;   in Loop: Header=BB41_7 Depth=2
	v_ashrrev_i32_e32 v6, 31, v5
	s_mov_b32 s68, exec_lo
	s_delay_alu instid0(VALU_DEP_1) | instskip(NEXT) | instid1(VALU_DEP_1)
	v_lshlrev_b64 v[7:8], 2, v[5:6]
	v_add_co_u32 v9, vcc_lo, s36, v7
	s_delay_alu instid0(VALU_DEP_2)
	v_add_co_ci_u32_e32 v10, vcc_lo, s37, v8, vcc_lo
	v_add_co_u32 v11, vcc_lo, s38, v7
	v_add_co_ci_u32_e32 v12, vcc_lo, s39, v8, vcc_lo
	global_load_b32 v3, v[9:10], off
	global_load_b32 v9, v[11:12], off
	s_waitcnt vmcnt(1)
	v_add_nc_u32_e32 v6, v26, v3
	s_waitcnt vmcnt(0)
	v_subrev_nc_u32_e32 v30, s59, v9
	s_delay_alu instid0(VALU_DEP_1)
	v_cmpx_lt_i32_e64 v6, v30
	s_cbranch_execz .LBB41_5
; %bb.9:                                ;   in Loop: Header=BB41_7 Depth=2
	v_add_co_u32 v9, vcc_lo, s20, v7
	v_add_co_ci_u32_e32 v10, vcc_lo, s21, v8, vcc_lo
	v_add_co_u32 v7, vcc_lo, s22, v7
	v_add_co_ci_u32_e32 v8, vcc_lo, s23, v8, vcc_lo
	global_load_b32 v3, v[9:10], off
	s_mov_b32 s69, 0
	global_load_b32 v7, v[7:8], off
	s_waitcnt vmcnt(1)
	v_subrev_nc_u32_e32 v8, s60, v3
	s_waitcnt vmcnt(0)
	v_sub_nc_u32_e32 v31, v7, v3
	s_delay_alu instid0(VALU_DEP_2) | instskip(NEXT) | instid1(VALU_DEP_2)
	v_ashrrev_i32_e32 v9, 31, v8
	v_cmp_lt_i32_e64 s9, 0, v31
	s_delay_alu instid0(VALU_DEP_2) | instskip(SKIP_1) | instid1(VALU_DEP_2)
	v_lshlrev_b64 v[10:11], 2, v[8:9]
	v_lshlrev_b64 v[12:13], 3, v[8:9]
	v_add_co_u32 v32, vcc_lo, s24, v10
	s_delay_alu instid0(VALU_DEP_3) | instskip(NEXT) | instid1(VALU_DEP_3)
	v_add_co_ci_u32_e32 v33, vcc_lo, s25, v11, vcc_lo
	v_add_co_u32 v34, vcc_lo, s26, v12
	s_delay_alu instid0(VALU_DEP_4)
	v_add_co_ci_u32_e32 v35, vcc_lo, s27, v13, vcc_lo
	s_branch .LBB41_12
.LBB41_10:                              ;   in Loop: Header=BB41_12 Depth=3
	s_or_b32 exec_lo, exec_lo, s10
.LBB41_11:                              ;   in Loop: Header=BB41_12 Depth=3
	s_delay_alu instid0(SALU_CYCLE_1) | instskip(SKIP_1) | instid1(VALU_DEP_1)
	s_or_b32 exec_lo, exec_lo, s11
	v_add_nc_u32_e32 v6, 64, v6
	v_cmp_ge_i32_e32 vcc_lo, v6, v30
	s_or_b32 s69, vcc_lo, s69
	s_delay_alu instid0(SALU_CYCLE_1)
	s_and_not1_b32 exec_lo, exec_lo, s69
	s_cbranch_execz .LBB41_4
.LBB41_12:                              ;   Parent Loop BB41_3 Depth=1
                                        ;     Parent Loop BB41_7 Depth=2
                                        ; =>    This Loop Header: Depth=3
                                        ;         Child Loop BB41_16 Depth 4
                                        ;         Child Loop BB41_51 Depth 4
	;; [unrolled: 1-line block ×5, first 2 shown]
	v_ashrrev_i32_e32 v7, 31, v6
	v_dual_mov_b32 v36, 0 :: v_dual_mov_b32 v37, 0
	v_mov_b32_e32 v15, 0
	s_delay_alu instid0(VALU_DEP_3) | instskip(NEXT) | instid1(VALU_DEP_1)
	v_lshlrev_b64 v[9:10], 2, v[6:7]
	v_add_co_u32 v9, vcc_lo, s40, v9
	s_delay_alu instid0(VALU_DEP_2) | instskip(SKIP_4) | instid1(VALU_DEP_2)
	v_add_co_ci_u32_e32 v10, vcc_lo, s41, v10, vcc_lo
	global_load_b32 v3, v[9:10], off
	s_waitcnt vmcnt(0)
	v_subrev_nc_u32_e32 v9, s59, v3
	v_mov_b32_e32 v3, 0
	v_ashrrev_i32_e32 v10, 31, v9
	s_delay_alu instid0(VALU_DEP_1) | instskip(NEXT) | instid1(VALU_DEP_1)
	v_lshlrev_b64 v[11:12], 2, v[9:10]
	v_add_co_u32 v13, vcc_lo, s12, v11
	s_delay_alu instid0(VALU_DEP_2)
	v_add_co_ci_u32_e32 v14, vcc_lo, s13, v12, vcc_lo
	v_add_co_u32 v11, vcc_lo, s14, v11
	v_add_co_ci_u32_e32 v12, vcc_lo, s15, v12, vcc_lo
	global_load_b32 v14, v[13:14], off
	global_load_b32 v11, v[11:12], off
	s_waitcnt vmcnt(1)
	v_subrev_nc_u32_e32 v13, s61, v14
	s_waitcnt vmcnt(0)
	v_sub_nc_u32_e32 v38, v11, v14
	s_and_saveexec_b32 s11, s9
	s_cbranch_execz .LBB41_20
; %bb.13:                               ;   in Loop: Header=BB41_12 Depth=3
	v_ashrrev_i32_e32 v14, 31, v13
	v_dual_mov_b32 v15, 0 :: v_dual_mov_b32 v36, 0
	v_mov_b32_e32 v37, 0
	s_mov_b32 s70, 0
	s_delay_alu instid0(VALU_DEP_3) | instskip(SKIP_2) | instid1(VALU_DEP_3)
	v_lshlrev_b64 v[11:12], 2, v[13:14]
	v_lshlrev_b64 v[16:17], 3, v[13:14]
	v_mov_b32_e32 v3, v15
                                        ; implicit-def: $sgpr71
	v_add_co_u32 v11, vcc_lo, s16, v11
	s_delay_alu instid0(VALU_DEP_4) | instskip(NEXT) | instid1(VALU_DEP_4)
	v_add_co_ci_u32_e32 v12, vcc_lo, s17, v12, vcc_lo
	v_add_co_u32 v14, vcc_lo, s18, v16
	v_add_co_ci_u32_e32 v17, vcc_lo, s19, v17, vcc_lo
	s_branch .LBB41_16
.LBB41_14:                              ;   in Loop: Header=BB41_16 Depth=4
	s_or_b32 exec_lo, exec_lo, s10
	v_cmp_le_i32_e32 vcc_lo, v18, v19
	v_cmp_ge_i32_e64 s10, v18, v19
	v_add_co_ci_u32_e32 v3, vcc_lo, 0, v3, vcc_lo
	s_delay_alu instid0(VALU_DEP_2) | instskip(SKIP_1) | instid1(VALU_DEP_2)
	v_add_co_ci_u32_e64 v15, s10, 0, v15, s10
	s_and_not1_b32 s10, s71, exec_lo
	v_cmp_ge_i32_e32 vcc_lo, v3, v31
	s_and_b32 s71, vcc_lo, exec_lo
	s_delay_alu instid0(SALU_CYCLE_1)
	s_or_b32 s71, s10, s71
.LBB41_15:                              ;   in Loop: Header=BB41_16 Depth=4
	s_or_b32 exec_lo, exec_lo, s72
	s_delay_alu instid0(SALU_CYCLE_1) | instskip(NEXT) | instid1(SALU_CYCLE_1)
	s_and_b32 s10, exec_lo, s71
	s_or_b32 s70, s10, s70
	s_delay_alu instid0(SALU_CYCLE_1)
	s_and_not1_b32 exec_lo, exec_lo, s70
	s_cbranch_execz .LBB41_19
.LBB41_16:                              ;   Parent Loop BB41_3 Depth=1
                                        ;     Parent Loop BB41_7 Depth=2
                                        ;       Parent Loop BB41_12 Depth=3
                                        ; =>      This Inner Loop Header: Depth=4
	s_or_b32 s71, s71, exec_lo
	s_mov_b32 s72, exec_lo
	v_cmpx_lt_i32_e64 v15, v38
	s_cbranch_execz .LBB41_15
; %bb.17:                               ;   in Loop: Header=BB41_16 Depth=4
	v_mov_b32_e32 v16, v4
	v_lshlrev_b64 v[18:19], 2, v[3:4]
	s_mov_b32 s10, exec_lo
	s_delay_alu instid0(VALU_DEP_2) | instskip(NEXT) | instid1(VALU_DEP_2)
	v_lshlrev_b64 v[39:40], 2, v[15:16]
	v_add_co_u32 v18, vcc_lo, v32, v18
	s_delay_alu instid0(VALU_DEP_3) | instskip(NEXT) | instid1(VALU_DEP_3)
	v_add_co_ci_u32_e32 v19, vcc_lo, v33, v19, vcc_lo
	v_add_co_u32 v39, vcc_lo, v11, v39
	s_delay_alu instid0(VALU_DEP_4)
	v_add_co_ci_u32_e32 v40, vcc_lo, v12, v40, vcc_lo
	global_load_b32 v18, v[18:19], off
	global_load_b32 v19, v[39:40], off
	s_waitcnt vmcnt(1)
	v_subrev_nc_u32_e32 v18, s60, v18
	s_waitcnt vmcnt(0)
	v_subrev_nc_u32_e32 v19, s61, v19
	s_delay_alu instid0(VALU_DEP_1)
	v_cmpx_eq_u32_e64 v18, v19
	s_cbranch_execz .LBB41_14
; %bb.18:                               ;   in Loop: Header=BB41_16 Depth=4
	v_lshlrev_b64 v[39:40], 3, v[3:4]
	v_lshlrev_b64 v[41:42], 3, v[15:16]
	s_delay_alu instid0(VALU_DEP_2) | instskip(NEXT) | instid1(VALU_DEP_3)
	v_add_co_u32 v39, vcc_lo, v34, v39
	v_add_co_ci_u32_e32 v40, vcc_lo, v35, v40, vcc_lo
	s_delay_alu instid0(VALU_DEP_3) | instskip(NEXT) | instid1(VALU_DEP_4)
	v_add_co_u32 v41, vcc_lo, v14, v41
	v_add_co_ci_u32_e32 v42, vcc_lo, v17, v42, vcc_lo
	global_load_b64 v[39:40], v[39:40], off
	global_load_b64 v[41:42], v[41:42], off
	s_waitcnt vmcnt(0)
	v_fmac_f32_e32 v36, v39, v41
	v_fmac_f32_e32 v37, v40, v41
	s_delay_alu instid0(VALU_DEP_2) | instskip(NEXT) | instid1(VALU_DEP_2)
	v_fma_f32 v36, -v40, v42, v36
	v_fmac_f32_e32 v37, v39, v42
	s_branch .LBB41_14
.LBB41_19:                              ;   in Loop: Header=BB41_12 Depth=3
	s_or_b32 exec_lo, exec_lo, s70
.LBB41_20:                              ;   in Loop: Header=BB41_12 Depth=3
	s_delay_alu instid0(SALU_CYCLE_1) | instskip(SKIP_3) | instid1(VALU_DEP_2)
	s_or_b32 exec_lo, exec_lo, s11
	v_lshlrev_b64 v[11:12], 3, v[6:7]
	v_cmp_le_i32_e64 s10, v5, v9
	s_mov_b32 s70, exec_lo
	v_add_co_u32 v11, vcc_lo, s42, v11
	s_delay_alu instid0(VALU_DEP_3)
	v_add_co_ci_u32_e32 v12, vcc_lo, s43, v12, vcc_lo
	global_load_b64 v[11:12], v[11:12], off
	s_waitcnt vmcnt(0)
	v_dual_sub_f32 v16, v11, v36 :: v_dual_sub_f32 v17, v12, v37
	v_cmpx_gt_i32_e64 v5, v9
	s_cbranch_execz .LBB41_30
; %bb.21:                               ;   in Loop: Header=BB41_12 Depth=3
	v_lshlrev_b64 v[18:19], 3, v[9:10]
                                        ; implicit-def: $vgpr39
	s_mov_b32 s11, exec_lo
	s_delay_alu instid0(VALU_DEP_1) | instskip(NEXT) | instid1(VALU_DEP_2)
	v_add_co_u32 v18, vcc_lo, s44, v18
	v_add_co_ci_u32_e32 v19, vcc_lo, s45, v19, vcc_lo
	global_load_b64 v[18:19], v[18:19], off
	s_waitcnt vmcnt(0)
	v_cmp_gt_f32_e32 vcc_lo, 0, v18
	v_cndmask_b32_e64 v7, v18, -v18, vcc_lo
	v_cmp_gt_f32_e32 vcc_lo, 0, v19
	v_cndmask_b32_e64 v14, v19, -v19, vcc_lo
	s_delay_alu instid0(VALU_DEP_1)
	v_cmpx_ngt_f32_e32 v7, v14
	s_xor_b32 s71, exec_lo, s11
	s_cbranch_execz .LBB41_25
; %bb.22:                               ;   in Loop: Header=BB41_12 Depth=3
	v_mov_b32_e32 v39, 0
	s_mov_b32 s72, exec_lo
	v_cmpx_neq_f32_e32 0, v19
	s_cbranch_execz .LBB41_24
; %bb.23:                               ;   in Loop: Header=BB41_12 Depth=3
	v_div_scale_f32 v39, null, v14, v14, v7
	v_div_scale_f32 v42, vcc_lo, v7, v14, v7
	s_delay_alu instid0(VALU_DEP_2) | instskip(SKIP_2) | instid1(VALU_DEP_1)
	v_rcp_f32_e32 v40, v39
	s_waitcnt_depctr 0xfff
	v_fma_f32 v41, -v39, v40, 1.0
	v_fmac_f32_e32 v40, v41, v40
	s_delay_alu instid0(VALU_DEP_1) | instskip(NEXT) | instid1(VALU_DEP_1)
	v_mul_f32_e32 v41, v42, v40
	v_fma_f32 v43, -v39, v41, v42
	s_delay_alu instid0(VALU_DEP_1) | instskip(NEXT) | instid1(VALU_DEP_1)
	v_fmac_f32_e32 v41, v43, v40
	v_fma_f32 v39, -v39, v41, v42
	s_delay_alu instid0(VALU_DEP_1) | instskip(NEXT) | instid1(VALU_DEP_1)
	v_div_fmas_f32 v39, v39, v40, v41
	v_div_fixup_f32 v7, v39, v14, v7
	s_delay_alu instid0(VALU_DEP_1) | instskip(NEXT) | instid1(VALU_DEP_1)
	v_fma_f32 v7, v7, v7, 1.0
	v_mul_f32_e32 v39, 0x4f800000, v7
	v_cmp_gt_f32_e32 vcc_lo, 0xf800000, v7
	s_delay_alu instid0(VALU_DEP_2) | instskip(NEXT) | instid1(VALU_DEP_1)
	v_cndmask_b32_e32 v7, v7, v39, vcc_lo
	v_sqrt_f32_e32 v39, v7
	s_waitcnt_depctr 0xfff
	v_add_nc_u32_e32 v40, -1, v39
	v_add_nc_u32_e32 v41, 1, v39
	s_delay_alu instid0(VALU_DEP_2) | instskip(NEXT) | instid1(VALU_DEP_2)
	v_fma_f32 v42, -v40, v39, v7
	v_fma_f32 v43, -v41, v39, v7
	s_delay_alu instid0(VALU_DEP_2) | instskip(NEXT) | instid1(VALU_DEP_1)
	v_cmp_ge_f32_e64 s11, 0, v42
	v_cndmask_b32_e64 v39, v39, v40, s11
	s_delay_alu instid0(VALU_DEP_3) | instskip(NEXT) | instid1(VALU_DEP_1)
	v_cmp_lt_f32_e64 s11, 0, v43
	v_cndmask_b32_e64 v39, v39, v41, s11
	s_delay_alu instid0(VALU_DEP_1) | instskip(NEXT) | instid1(VALU_DEP_1)
	v_mul_f32_e32 v40, 0x37800000, v39
	v_cndmask_b32_e32 v39, v39, v40, vcc_lo
	v_cmp_class_f32_e64 vcc_lo, v7, 0x260
	s_delay_alu instid0(VALU_DEP_2) | instskip(NEXT) | instid1(VALU_DEP_1)
	v_cndmask_b32_e32 v7, v39, v7, vcc_lo
	v_mul_f32_e32 v39, v14, v7
.LBB41_24:                              ;   in Loop: Header=BB41_12 Depth=3
	s_or_b32 exec_lo, exec_lo, s72
                                        ; implicit-def: $vgpr7
                                        ; implicit-def: $vgpr14
.LBB41_25:                              ;   in Loop: Header=BB41_12 Depth=3
	s_and_not1_saveexec_b32 s71, s71
	s_cbranch_execz .LBB41_27
; %bb.26:                               ;   in Loop: Header=BB41_12 Depth=3
	v_div_scale_f32 v39, null, v7, v7, v14
	v_div_scale_f32 v42, vcc_lo, v14, v7, v14
	s_delay_alu instid0(VALU_DEP_2) | instskip(SKIP_2) | instid1(VALU_DEP_1)
	v_rcp_f32_e32 v40, v39
	s_waitcnt_depctr 0xfff
	v_fma_f32 v41, -v39, v40, 1.0
	v_fmac_f32_e32 v40, v41, v40
	s_delay_alu instid0(VALU_DEP_1) | instskip(NEXT) | instid1(VALU_DEP_1)
	v_mul_f32_e32 v41, v42, v40
	v_fma_f32 v43, -v39, v41, v42
	s_delay_alu instid0(VALU_DEP_1) | instskip(NEXT) | instid1(VALU_DEP_1)
	v_fmac_f32_e32 v41, v43, v40
	v_fma_f32 v39, -v39, v41, v42
	s_delay_alu instid0(VALU_DEP_1) | instskip(NEXT) | instid1(VALU_DEP_1)
	v_div_fmas_f32 v39, v39, v40, v41
	v_div_fixup_f32 v14, v39, v7, v14
	s_delay_alu instid0(VALU_DEP_1) | instskip(NEXT) | instid1(VALU_DEP_1)
	v_fma_f32 v14, v14, v14, 1.0
	v_mul_f32_e32 v39, 0x4f800000, v14
	v_cmp_gt_f32_e32 vcc_lo, 0xf800000, v14
	s_delay_alu instid0(VALU_DEP_2) | instskip(NEXT) | instid1(VALU_DEP_1)
	v_cndmask_b32_e32 v14, v14, v39, vcc_lo
	v_sqrt_f32_e32 v39, v14
	s_waitcnt_depctr 0xfff
	v_add_nc_u32_e32 v40, -1, v39
	v_add_nc_u32_e32 v41, 1, v39
	s_delay_alu instid0(VALU_DEP_2) | instskip(NEXT) | instid1(VALU_DEP_2)
	v_fma_f32 v42, -v40, v39, v14
	v_fma_f32 v43, -v41, v39, v14
	s_delay_alu instid0(VALU_DEP_2) | instskip(NEXT) | instid1(VALU_DEP_1)
	v_cmp_ge_f32_e64 s11, 0, v42
	v_cndmask_b32_e64 v39, v39, v40, s11
	s_delay_alu instid0(VALU_DEP_3) | instskip(NEXT) | instid1(VALU_DEP_1)
	v_cmp_lt_f32_e64 s11, 0, v43
	v_cndmask_b32_e64 v39, v39, v41, s11
	s_delay_alu instid0(VALU_DEP_1) | instskip(NEXT) | instid1(VALU_DEP_1)
	v_mul_f32_e32 v40, 0x37800000, v39
	v_cndmask_b32_e32 v39, v39, v40, vcc_lo
	v_cmp_class_f32_e64 vcc_lo, v14, 0x260
	s_delay_alu instid0(VALU_DEP_2) | instskip(NEXT) | instid1(VALU_DEP_1)
	v_cndmask_b32_e32 v14, v39, v14, vcc_lo
	v_mul_f32_e32 v39, v7, v14
.LBB41_27:                              ;   in Loop: Header=BB41_12 Depth=3
	s_or_b32 exec_lo, exec_lo, s71
	v_dual_mov_b32 v7, 0 :: v_dual_mov_b32 v14, 0
	s_mov_b32 s11, exec_lo
	s_delay_alu instid0(VALU_DEP_2)
	v_cmpx_lt_f32_e32 0, v39
	s_cbranch_execz .LBB41_29
; %bb.28:                               ;   in Loop: Header=BB41_12 Depth=3
	v_mul_f32_e32 v7, v19, v19
	s_delay_alu instid0(VALU_DEP_1) | instskip(NEXT) | instid1(VALU_DEP_1)
	v_fmac_f32_e32 v7, v18, v18
	v_div_scale_f32 v14, null, v7, v7, 1.0
	v_div_scale_f32 v41, vcc_lo, 1.0, v7, 1.0
	s_delay_alu instid0(VALU_DEP_2) | instskip(SKIP_2) | instid1(VALU_DEP_1)
	v_rcp_f32_e32 v39, v14
	s_waitcnt_depctr 0xfff
	v_fma_f32 v40, -v14, v39, 1.0
	v_fmac_f32_e32 v39, v40, v39
	s_delay_alu instid0(VALU_DEP_1) | instskip(NEXT) | instid1(VALU_DEP_1)
	v_mul_f32_e32 v40, v41, v39
	v_fma_f32 v42, -v14, v40, v41
	s_delay_alu instid0(VALU_DEP_1) | instskip(NEXT) | instid1(VALU_DEP_1)
	v_fmac_f32_e32 v40, v42, v39
	v_fma_f32 v14, -v14, v40, v41
	v_mul_f32_e32 v41, v17, v19
	v_mul_f32_e64 v19, v19, -v16
	s_delay_alu instid0(VALU_DEP_2) | instskip(NEXT) | instid1(VALU_DEP_4)
	v_fmac_f32_e32 v41, v16, v18
	v_div_fmas_f32 v14, v14, v39, v40
	s_delay_alu instid0(VALU_DEP_3) | instskip(NEXT) | instid1(VALU_DEP_2)
	v_fmac_f32_e32 v19, v17, v18
	v_div_fixup_f32 v7, v14, v7, 1.0
	s_delay_alu instid0(VALU_DEP_1) | instskip(NEXT) | instid1(VALU_DEP_3)
	v_mul_f32_e32 v14, v41, v7
	v_mul_f32_e32 v7, v19, v7
.LBB41_29:                              ;   in Loop: Header=BB41_12 Depth=3
	s_or_b32 exec_lo, exec_lo, s11
	s_delay_alu instid0(VALU_DEP_1)
	v_dual_mov_b32 v17, v7 :: v_dual_mov_b32 v16, v14
.LBB41_30:                              ;   in Loop: Header=BB41_12 Depth=3
	s_or_b32 exec_lo, exec_lo, s70
	s_delay_alu instid0(VALU_DEP_1) | instskip(SKIP_4) | instid1(VALU_DEP_1)
	v_cmp_gt_f32_e32 vcc_lo, 0, v16
                                        ; implicit-def: $vgpr18
	s_mov_b32 s11, exec_lo
	v_cndmask_b32_e64 v7, v16, -v16, vcc_lo
	v_cmp_gt_f32_e32 vcc_lo, 0, v17
	v_cndmask_b32_e64 v14, v17, -v17, vcc_lo
	v_cmpx_ngt_f32_e32 v7, v14
	s_xor_b32 s70, exec_lo, s11
	s_cbranch_execnz .LBB41_34
; %bb.31:                               ;   in Loop: Header=BB41_12 Depth=3
	s_and_not1_saveexec_b32 s70, s70
	s_cbranch_execnz .LBB41_37
.LBB41_32:                              ;   in Loop: Header=BB41_12 Depth=3
	s_or_b32 exec_lo, exec_lo, s70
	v_cmp_class_f32_e64 s11, v18, 0x1f8
	s_delay_alu instid0(VALU_DEP_1)
	s_and_saveexec_b32 s70, s11
	s_cbranch_execnz .LBB41_38
.LBB41_33:                              ;   in Loop: Header=BB41_12 Depth=3
	s_or_b32 exec_lo, exec_lo, s70
	s_and_b32 s10, s11, s33
	s_delay_alu instid0(SALU_CYCLE_1)
	s_and_saveexec_b32 s11, s10
	s_cbranch_execz .LBB41_11
	s_branch .LBB41_79
.LBB41_34:                              ;   in Loop: Header=BB41_12 Depth=3
	v_mov_b32_e32 v18, 0
	s_mov_b32 s71, exec_lo
	v_cmpx_neq_f32_e32 0, v17
	s_cbranch_execz .LBB41_36
; %bb.35:                               ;   in Loop: Header=BB41_12 Depth=3
	v_div_scale_f32 v18, null, v14, v14, v7
	v_div_scale_f32 v40, vcc_lo, v7, v14, v7
	s_delay_alu instid0(VALU_DEP_2) | instskip(SKIP_2) | instid1(VALU_DEP_1)
	v_rcp_f32_e32 v19, v18
	s_waitcnt_depctr 0xfff
	v_fma_f32 v39, -v18, v19, 1.0
	v_fmac_f32_e32 v19, v39, v19
	s_delay_alu instid0(VALU_DEP_1) | instskip(NEXT) | instid1(VALU_DEP_1)
	v_mul_f32_e32 v39, v40, v19
	v_fma_f32 v41, -v18, v39, v40
	s_delay_alu instid0(VALU_DEP_1) | instskip(NEXT) | instid1(VALU_DEP_1)
	v_fmac_f32_e32 v39, v41, v19
	v_fma_f32 v18, -v18, v39, v40
	s_delay_alu instid0(VALU_DEP_1) | instskip(NEXT) | instid1(VALU_DEP_1)
	v_div_fmas_f32 v18, v18, v19, v39
	v_div_fixup_f32 v7, v18, v14, v7
	s_delay_alu instid0(VALU_DEP_1) | instskip(NEXT) | instid1(VALU_DEP_1)
	v_fma_f32 v7, v7, v7, 1.0
	v_mul_f32_e32 v18, 0x4f800000, v7
	v_cmp_gt_f32_e32 vcc_lo, 0xf800000, v7
	s_delay_alu instid0(VALU_DEP_2) | instskip(NEXT) | instid1(VALU_DEP_1)
	v_cndmask_b32_e32 v7, v7, v18, vcc_lo
	v_sqrt_f32_e32 v18, v7
	s_waitcnt_depctr 0xfff
	v_add_nc_u32_e32 v19, -1, v18
	v_add_nc_u32_e32 v39, 1, v18
	s_delay_alu instid0(VALU_DEP_2) | instskip(NEXT) | instid1(VALU_DEP_2)
	v_fma_f32 v40, -v19, v18, v7
	v_fma_f32 v41, -v39, v18, v7
	s_delay_alu instid0(VALU_DEP_2) | instskip(NEXT) | instid1(VALU_DEP_1)
	v_cmp_ge_f32_e64 s11, 0, v40
	v_cndmask_b32_e64 v18, v18, v19, s11
	s_delay_alu instid0(VALU_DEP_3) | instskip(NEXT) | instid1(VALU_DEP_1)
	v_cmp_lt_f32_e64 s11, 0, v41
	v_cndmask_b32_e64 v18, v18, v39, s11
	s_delay_alu instid0(VALU_DEP_1) | instskip(NEXT) | instid1(VALU_DEP_1)
	v_mul_f32_e32 v19, 0x37800000, v18
	v_cndmask_b32_e32 v18, v18, v19, vcc_lo
	v_cmp_class_f32_e64 vcc_lo, v7, 0x260
	s_delay_alu instid0(VALU_DEP_2) | instskip(NEXT) | instid1(VALU_DEP_1)
	v_cndmask_b32_e32 v7, v18, v7, vcc_lo
	v_mul_f32_e32 v18, v14, v7
.LBB41_36:                              ;   in Loop: Header=BB41_12 Depth=3
	s_or_b32 exec_lo, exec_lo, s71
                                        ; implicit-def: $vgpr7
                                        ; implicit-def: $vgpr14
	s_and_not1_saveexec_b32 s70, s70
	s_cbranch_execz .LBB41_32
.LBB41_37:                              ;   in Loop: Header=BB41_12 Depth=3
	v_div_scale_f32 v18, null, v7, v7, v14
	v_div_scale_f32 v40, vcc_lo, v14, v7, v14
	s_delay_alu instid0(VALU_DEP_2) | instskip(SKIP_2) | instid1(VALU_DEP_1)
	v_rcp_f32_e32 v19, v18
	s_waitcnt_depctr 0xfff
	v_fma_f32 v39, -v18, v19, 1.0
	v_fmac_f32_e32 v19, v39, v19
	s_delay_alu instid0(VALU_DEP_1) | instskip(NEXT) | instid1(VALU_DEP_1)
	v_mul_f32_e32 v39, v40, v19
	v_fma_f32 v41, -v18, v39, v40
	s_delay_alu instid0(VALU_DEP_1) | instskip(NEXT) | instid1(VALU_DEP_1)
	v_fmac_f32_e32 v39, v41, v19
	v_fma_f32 v18, -v18, v39, v40
	s_delay_alu instid0(VALU_DEP_1) | instskip(NEXT) | instid1(VALU_DEP_1)
	v_div_fmas_f32 v18, v18, v19, v39
	v_div_fixup_f32 v14, v18, v7, v14
	s_delay_alu instid0(VALU_DEP_1) | instskip(NEXT) | instid1(VALU_DEP_1)
	v_fma_f32 v14, v14, v14, 1.0
	v_mul_f32_e32 v18, 0x4f800000, v14
	v_cmp_gt_f32_e32 vcc_lo, 0xf800000, v14
	s_delay_alu instid0(VALU_DEP_2) | instskip(NEXT) | instid1(VALU_DEP_1)
	v_cndmask_b32_e32 v14, v14, v18, vcc_lo
	v_sqrt_f32_e32 v18, v14
	s_waitcnt_depctr 0xfff
	v_add_nc_u32_e32 v19, -1, v18
	v_add_nc_u32_e32 v39, 1, v18
	s_delay_alu instid0(VALU_DEP_2) | instskip(NEXT) | instid1(VALU_DEP_2)
	v_fma_f32 v40, -v19, v18, v14
	v_fma_f32 v41, -v39, v18, v14
	s_delay_alu instid0(VALU_DEP_2) | instskip(NEXT) | instid1(VALU_DEP_1)
	v_cmp_ge_f32_e64 s11, 0, v40
	v_cndmask_b32_e64 v18, v18, v19, s11
	s_delay_alu instid0(VALU_DEP_3) | instskip(NEXT) | instid1(VALU_DEP_1)
	v_cmp_lt_f32_e64 s11, 0, v41
	v_cndmask_b32_e64 v18, v18, v39, s11
	s_delay_alu instid0(VALU_DEP_1) | instskip(NEXT) | instid1(VALU_DEP_1)
	v_mul_f32_e32 v19, 0x37800000, v18
	v_cndmask_b32_e32 v18, v18, v19, vcc_lo
	v_cmp_class_f32_e64 vcc_lo, v14, 0x260
	s_delay_alu instid0(VALU_DEP_2) | instskip(NEXT) | instid1(VALU_DEP_1)
	v_cndmask_b32_e32 v14, v18, v14, vcc_lo
	v_mul_f32_e32 v18, v7, v14
	s_or_b32 exec_lo, exec_lo, s70
	s_delay_alu instid0(VALU_DEP_1) | instskip(NEXT) | instid1(VALU_DEP_1)
	v_cmp_class_f32_e64 s11, v18, 0x1f8
	s_and_saveexec_b32 s70, s11
	s_cbranch_execz .LBB41_33
.LBB41_38:                              ;   in Loop: Header=BB41_12 Depth=3
	s_and_saveexec_b32 s71, s10
	s_delay_alu instid0(SALU_CYCLE_1)
	s_xor_b32 s71, exec_lo, s71
	s_cbranch_execz .LBB41_63
; %bb.39:                               ;   in Loop: Header=BB41_12 Depth=3
	s_mov_b32 s10, exec_lo
	v_cmpx_ge_i32_e64 v5, v9
	s_xor_b32 s72, exec_lo, s10
	s_cbranch_execz .LBB41_47
; %bb.40:                               ;   in Loop: Header=BB41_12 Depth=3
	v_lshlrev_b64 v[18:19], 3, v[9:10]
	s_delay_alu instid0(VALU_DEP_1) | instskip(NEXT) | instid1(VALU_DEP_2)
	v_add_co_u32 v39, vcc_lo, s46, v18
	v_add_co_ci_u32_e32 v40, vcc_lo, s47, v19, vcc_lo
	s_and_not1_b32 vcc_lo, exec_lo, s56
	global_store_b64 v[39:40], v[16:17], off
	s_cbranch_vccnz .LBB41_46
; %bb.41:                               ;   in Loop: Header=BB41_12 Depth=3
	v_add_co_u32 v18, vcc_lo, s44, v18
	v_add_co_ci_u32_e32 v19, vcc_lo, s45, v19, vcc_lo
	s_mov_b32 s10, exec_lo
	global_load_b64 v[18:19], v[18:19], off
	s_waitcnt vmcnt(0)
	v_sub_f32_e32 v7, v18, v16
	v_sub_f32_e32 v17, v19, v17
                                        ; implicit-def: $vgpr16
	s_delay_alu instid0(VALU_DEP_2) | instskip(SKIP_1) | instid1(VALU_DEP_3)
	v_cmp_gt_f32_e32 vcc_lo, 0, v7
	v_cndmask_b32_e64 v7, v7, -v7, vcc_lo
	v_cmp_gt_f32_e32 vcc_lo, 0, v17
	v_cndmask_b32_e64 v14, v17, -v17, vcc_lo
	s_delay_alu instid0(VALU_DEP_1)
	v_cmpx_ngt_f32_e32 v7, v14
	s_xor_b32 s73, exec_lo, s10
	s_cbranch_execnz .LBB41_107
; %bb.42:                               ;   in Loop: Header=BB41_12 Depth=3
	s_and_not1_saveexec_b32 s73, s73
	s_cbranch_execnz .LBB41_110
.LBB41_43:                              ;   in Loop: Header=BB41_12 Depth=3
	s_or_b32 exec_lo, exec_lo, s73
	v_cmp_class_f32_e64 s73, v16, 0x1f8
	s_delay_alu instid0(VALU_DEP_1)
	s_and_saveexec_b32 s10, s73
.LBB41_44:                              ;   in Loop: Header=BB41_12 Depth=3
	v_cmp_lt_f32_e32 vcc_lo, v2, v16
	v_cndmask_b32_e32 v2, v2, v16, vcc_lo
.LBB41_45:                              ;   in Loop: Header=BB41_12 Depth=3
	s_or_b32 exec_lo, exec_lo, s10
.LBB41_46:                              ;   in Loop: Header=BB41_12 Depth=3
                                        ; implicit-def: $vgpr16
.LBB41_47:                              ;   in Loop: Header=BB41_12 Depth=3
	s_and_not1_saveexec_b32 s72, s72
	s_cbranch_execz .LBB41_62
; %bb.48:                               ;   in Loop: Header=BB41_12 Depth=3
	s_mov_b32 s73, exec_lo
	v_cmpx_lt_i32_e64 v15, v38
	s_cbranch_execz .LBB41_61
; %bb.49:                               ;   in Loop: Header=BB41_12 Depth=3
	v_mov_b32_e32 v7, v15
	s_mov_b32 s10, 0
                                        ; implicit-def: $sgpr74
                                        ; implicit-def: $sgpr76
                                        ; implicit-def: $sgpr75
	s_set_inst_prefetch_distance 0x1
	s_branch .LBB41_51
	.p2align	6
.LBB41_50:                              ;   in Loop: Header=BB41_51 Depth=4
	s_or_b32 exec_lo, exec_lo, s77
	s_delay_alu instid0(SALU_CYCLE_1) | instskip(NEXT) | instid1(SALU_CYCLE_1)
	s_and_b32 s77, exec_lo, s76
	s_or_b32 s10, s77, s10
	s_and_not1_b32 s74, s74, exec_lo
	s_and_b32 s77, s75, exec_lo
	s_delay_alu instid0(SALU_CYCLE_1)
	s_or_b32 s74, s74, s77
	s_and_not1_b32 exec_lo, exec_lo, s10
	s_cbranch_execz .LBB41_53
.LBB41_51:                              ;   Parent Loop BB41_3 Depth=1
                                        ;     Parent Loop BB41_7 Depth=2
                                        ;       Parent Loop BB41_12 Depth=3
                                        ; =>      This Inner Loop Header: Depth=4
	s_delay_alu instid0(VALU_DEP_1) | instskip(SKIP_3) | instid1(VALU_DEP_1)
	v_add_nc_u32_e32 v18, v13, v7
	s_or_b32 s75, s75, exec_lo
	s_or_b32 s76, s76, exec_lo
	s_mov_b32 s77, exec_lo
	v_ashrrev_i32_e32 v19, 31, v18
	s_delay_alu instid0(VALU_DEP_1) | instskip(NEXT) | instid1(VALU_DEP_1)
	v_lshlrev_b64 v[39:40], 2, v[18:19]
	v_add_co_u32 v39, vcc_lo, s16, v39
	s_delay_alu instid0(VALU_DEP_2) | instskip(SKIP_3) | instid1(VALU_DEP_1)
	v_add_co_ci_u32_e32 v40, vcc_lo, s17, v40, vcc_lo
	global_load_b32 v14, v[39:40], off
	s_waitcnt vmcnt(0)
	v_subrev_nc_u32_e32 v14, s61, v14
	v_cmpx_ne_u32_e64 v14, v5
	s_cbranch_execz .LBB41_50
; %bb.52:                               ;   in Loop: Header=BB41_51 Depth=4
	v_add_nc_u32_e32 v7, 1, v7
	s_and_not1_b32 s76, s76, exec_lo
	s_and_not1_b32 s75, s75, exec_lo
	s_delay_alu instid0(VALU_DEP_1) | instskip(SKIP_1) | instid1(SALU_CYCLE_1)
	v_cmp_ge_i32_e32 vcc_lo, v7, v38
	s_and_b32 s78, vcc_lo, exec_lo
	s_or_b32 s76, s76, s78
	s_branch .LBB41_50
.LBB41_53:                              ;   in Loop: Header=BB41_12 Depth=3
	s_set_inst_prefetch_distance 0x2
	s_or_b32 exec_lo, exec_lo, s10
	s_and_saveexec_b32 s10, s74
	s_delay_alu instid0(SALU_CYCLE_1)
	s_xor_b32 s74, exec_lo, s10
	s_cbranch_execz .LBB41_60
; %bb.54:                               ;   in Loop: Header=BB41_12 Depth=3
	v_lshlrev_b64 v[18:19], 3, v[18:19]
	s_delay_alu instid0(VALU_DEP_1) | instskip(NEXT) | instid1(VALU_DEP_2)
	v_add_co_u32 v39, vcc_lo, s50, v18
	v_add_co_ci_u32_e32 v40, vcc_lo, s51, v19, vcc_lo
	s_and_not1_b32 vcc_lo, exec_lo, s56
	global_store_b64 v[39:40], v[16:17], off
	s_cbranch_vccnz .LBB41_60
; %bb.55:                               ;   in Loop: Header=BB41_12 Depth=3
	v_add_co_u32 v18, vcc_lo, s18, v18
	v_add_co_ci_u32_e32 v19, vcc_lo, s19, v19, vcc_lo
	s_mov_b32 s10, exec_lo
	global_load_b64 v[18:19], v[18:19], off
	s_waitcnt vmcnt(0)
	v_sub_f32_e32 v7, v18, v16
	v_sub_f32_e32 v17, v19, v17
                                        ; implicit-def: $vgpr16
	s_delay_alu instid0(VALU_DEP_2) | instskip(SKIP_1) | instid1(VALU_DEP_3)
	v_cmp_gt_f32_e32 vcc_lo, 0, v7
	v_cndmask_b32_e64 v7, v7, -v7, vcc_lo
	v_cmp_gt_f32_e32 vcc_lo, 0, v17
	v_cndmask_b32_e64 v14, v17, -v17, vcc_lo
	s_delay_alu instid0(VALU_DEP_1)
	v_cmpx_ngt_f32_e32 v7, v14
	s_xor_b32 s75, exec_lo, s10
	s_cbranch_execnz .LBB41_115
; %bb.56:                               ;   in Loop: Header=BB41_12 Depth=3
	s_and_not1_saveexec_b32 s75, s75
	s_cbranch_execnz .LBB41_118
.LBB41_57:                              ;   in Loop: Header=BB41_12 Depth=3
	s_or_b32 exec_lo, exec_lo, s75
	v_cmp_class_f32_e64 s75, v16, 0x1f8
	s_delay_alu instid0(VALU_DEP_1)
	s_and_saveexec_b32 s10, s75
.LBB41_58:                              ;   in Loop: Header=BB41_12 Depth=3
	v_cmp_lt_f32_e32 vcc_lo, v2, v16
	v_cndmask_b32_e32 v2, v2, v16, vcc_lo
.LBB41_59:                              ;   in Loop: Header=BB41_12 Depth=3
	s_or_b32 exec_lo, exec_lo, s10
.LBB41_60:                              ;   in Loop: Header=BB41_12 Depth=3
	s_delay_alu instid0(SALU_CYCLE_1)
	s_or_b32 exec_lo, exec_lo, s74
.LBB41_61:                              ;   in Loop: Header=BB41_12 Depth=3
	s_delay_alu instid0(SALU_CYCLE_1)
	s_or_b32 exec_lo, exec_lo, s73
.LBB41_62:                              ;   in Loop: Header=BB41_12 Depth=3
	s_delay_alu instid0(SALU_CYCLE_1)
	s_or_b32 exec_lo, exec_lo, s72
                                        ; implicit-def: $vgpr16
.LBB41_63:                              ;   in Loop: Header=BB41_12 Depth=3
	s_and_not1_saveexec_b32 s71, s71
	s_cbranch_execz .LBB41_78
; %bb.64:                               ;   in Loop: Header=BB41_12 Depth=3
	s_mov_b32 s72, exec_lo
	v_cmpx_lt_i32_e64 v3, v31
	s_cbranch_execz .LBB41_77
; %bb.65:                               ;   in Loop: Header=BB41_12 Depth=3
	v_mov_b32_e32 v7, v3
	s_mov_b32 s10, 0
                                        ; implicit-def: $sgpr73
                                        ; implicit-def: $sgpr75
                                        ; implicit-def: $sgpr74
	s_set_inst_prefetch_distance 0x1
	s_branch .LBB41_67
	.p2align	6
.LBB41_66:                              ;   in Loop: Header=BB41_67 Depth=4
	s_or_b32 exec_lo, exec_lo, s76
	s_delay_alu instid0(SALU_CYCLE_1) | instskip(NEXT) | instid1(SALU_CYCLE_1)
	s_and_b32 s76, exec_lo, s75
	s_or_b32 s10, s76, s10
	s_and_not1_b32 s73, s73, exec_lo
	s_and_b32 s76, s74, exec_lo
	s_delay_alu instid0(SALU_CYCLE_1)
	s_or_b32 s73, s73, s76
	s_and_not1_b32 exec_lo, exec_lo, s10
	s_cbranch_execz .LBB41_69
.LBB41_67:                              ;   Parent Loop BB41_3 Depth=1
                                        ;     Parent Loop BB41_7 Depth=2
                                        ;       Parent Loop BB41_12 Depth=3
                                        ; =>      This Inner Loop Header: Depth=4
	s_delay_alu instid0(VALU_DEP_1) | instskip(SKIP_3) | instid1(VALU_DEP_1)
	v_add_nc_u32_e32 v18, v8, v7
	s_or_b32 s74, s74, exec_lo
	s_or_b32 s75, s75, exec_lo
	s_mov_b32 s76, exec_lo
	v_ashrrev_i32_e32 v19, 31, v18
	s_delay_alu instid0(VALU_DEP_1) | instskip(NEXT) | instid1(VALU_DEP_1)
	v_lshlrev_b64 v[39:40], 2, v[18:19]
	v_add_co_u32 v39, vcc_lo, s24, v39
	s_delay_alu instid0(VALU_DEP_2) | instskip(SKIP_3) | instid1(VALU_DEP_1)
	v_add_co_ci_u32_e32 v40, vcc_lo, s25, v40, vcc_lo
	global_load_b32 v14, v[39:40], off
	s_waitcnt vmcnt(0)
	v_subrev_nc_u32_e32 v14, s60, v14
	v_cmpx_ne_u32_e64 v14, v9
	s_cbranch_execz .LBB41_66
; %bb.68:                               ;   in Loop: Header=BB41_67 Depth=4
	v_add_nc_u32_e32 v7, 1, v7
	s_and_not1_b32 s75, s75, exec_lo
	s_and_not1_b32 s74, s74, exec_lo
	s_delay_alu instid0(VALU_DEP_1) | instskip(SKIP_1) | instid1(SALU_CYCLE_1)
	v_cmp_ge_i32_e32 vcc_lo, v7, v31
	s_and_b32 s77, vcc_lo, exec_lo
	s_or_b32 s75, s75, s77
	s_branch .LBB41_66
.LBB41_69:                              ;   in Loop: Header=BB41_12 Depth=3
	s_set_inst_prefetch_distance 0x2
	s_or_b32 exec_lo, exec_lo, s10
	s_and_saveexec_b32 s10, s73
	s_delay_alu instid0(SALU_CYCLE_1)
	s_xor_b32 s73, exec_lo, s10
	s_cbranch_execz .LBB41_76
; %bb.70:                               ;   in Loop: Header=BB41_12 Depth=3
	v_lshlrev_b64 v[18:19], 3, v[18:19]
	s_delay_alu instid0(VALU_DEP_1) | instskip(NEXT) | instid1(VALU_DEP_2)
	v_add_co_u32 v39, vcc_lo, s52, v18
	v_add_co_ci_u32_e32 v40, vcc_lo, s53, v19, vcc_lo
	s_and_not1_b32 vcc_lo, exec_lo, s56
	global_store_b64 v[39:40], v[16:17], off
	s_cbranch_vccnz .LBB41_76
; %bb.71:                               ;   in Loop: Header=BB41_12 Depth=3
	v_add_co_u32 v18, vcc_lo, s26, v18
	v_add_co_ci_u32_e32 v19, vcc_lo, s27, v19, vcc_lo
	s_mov_b32 s10, exec_lo
	global_load_b64 v[18:19], v[18:19], off
	s_waitcnt vmcnt(0)
	v_sub_f32_e32 v7, v18, v16
	v_sub_f32_e32 v17, v19, v17
                                        ; implicit-def: $vgpr16
	s_delay_alu instid0(VALU_DEP_2) | instskip(SKIP_1) | instid1(VALU_DEP_3)
	v_cmp_gt_f32_e32 vcc_lo, 0, v7
	v_cndmask_b32_e64 v7, v7, -v7, vcc_lo
	v_cmp_gt_f32_e32 vcc_lo, 0, v17
	v_cndmask_b32_e64 v14, v17, -v17, vcc_lo
	s_delay_alu instid0(VALU_DEP_1)
	v_cmpx_ngt_f32_e32 v7, v14
	s_xor_b32 s74, exec_lo, s10
	s_cbranch_execnz .LBB41_111
; %bb.72:                               ;   in Loop: Header=BB41_12 Depth=3
	s_and_not1_saveexec_b32 s74, s74
	s_cbranch_execnz .LBB41_114
.LBB41_73:                              ;   in Loop: Header=BB41_12 Depth=3
	s_or_b32 exec_lo, exec_lo, s74
	v_cmp_class_f32_e64 s74, v16, 0x1f8
	s_delay_alu instid0(VALU_DEP_1)
	s_and_saveexec_b32 s10, s74
.LBB41_74:                              ;   in Loop: Header=BB41_12 Depth=3
	v_cmp_lt_f32_e32 vcc_lo, v2, v16
	v_cndmask_b32_e32 v2, v2, v16, vcc_lo
.LBB41_75:                              ;   in Loop: Header=BB41_12 Depth=3
	s_or_b32 exec_lo, exec_lo, s10
.LBB41_76:                              ;   in Loop: Header=BB41_12 Depth=3
	s_delay_alu instid0(SALU_CYCLE_1)
	s_or_b32 exec_lo, exec_lo, s73
.LBB41_77:                              ;   in Loop: Header=BB41_12 Depth=3
	s_delay_alu instid0(SALU_CYCLE_1)
	s_or_b32 exec_lo, exec_lo, s72
.LBB41_78:                              ;   in Loop: Header=BB41_12 Depth=3
	s_delay_alu instid0(SALU_CYCLE_1) | instskip(NEXT) | instid1(SALU_CYCLE_1)
	s_or_b32 exec_lo, exec_lo, s71
	s_or_b32 exec_lo, exec_lo, s70
	s_and_b32 s10, s11, s33
	s_delay_alu instid0(SALU_CYCLE_1)
	s_and_saveexec_b32 s11, s10
	s_cbranch_execz .LBB41_11
.LBB41_79:                              ;   in Loop: Header=BB41_12 Depth=3
	s_mov_b32 s10, exec_lo
	v_cmpx_ge_i32_e64 v15, v38
	s_xor_b32 s10, exec_lo, s10
	s_cbranch_execnz .LBB41_86
; %bb.80:                               ;   in Loop: Header=BB41_12 Depth=3
	s_and_not1_saveexec_b32 s10, s10
	s_cbranch_execnz .LBB41_100
.LBB41_81:                              ;   in Loop: Header=BB41_12 Depth=3
	s_or_b32 exec_lo, exec_lo, s10
	s_delay_alu instid0(SALU_CYCLE_1)
	s_mov_b32 s10, exec_lo
	v_cmpx_eq_u32_e64 v5, v9
	s_cbranch_execz .LBB41_83
.LBB41_82:                              ;   in Loop: Header=BB41_12 Depth=3
	v_lshlrev_b64 v[9:10], 3, v[9:10]
	s_delay_alu instid0(VALU_DEP_1) | instskip(NEXT) | instid1(VALU_DEP_2)
	v_add_co_u32 v9, vcc_lo, s44, v9
	v_add_co_ci_u32_e32 v10, vcc_lo, s45, v10, vcc_lo
	global_load_b64 v[9:10], v[9:10], off
	s_waitcnt vmcnt(0)
	v_dual_add_f32 v36, v36, v9 :: v_dual_add_f32 v37, v37, v10
.LBB41_83:                              ;   in Loop: Header=BB41_12 Depth=3
	s_or_b32 exec_lo, exec_lo, s10
	s_delay_alu instid0(VALU_DEP_1) | instskip(SKIP_1) | instid1(VALU_DEP_1)
	v_dual_sub_f32 v3, v11, v36 :: v_dual_sub_f32 v10, v12, v37
                                        ; implicit-def: $vgpr9
	s_mov_b32 s10, exec_lo
	v_cmp_gt_f32_e32 vcc_lo, 0, v3
	v_cndmask_b32_e64 v3, v3, -v3, vcc_lo
	s_delay_alu instid0(VALU_DEP_3) | instskip(SKIP_1) | instid1(VALU_DEP_1)
	v_cmp_gt_f32_e32 vcc_lo, 0, v10
	v_cndmask_b32_e64 v7, v10, -v10, vcc_lo
	v_cmpx_ngt_f32_e32 v3, v7
	s_xor_b32 s70, exec_lo, s10
	s_cbranch_execnz .LBB41_91
; %bb.84:                               ;   in Loop: Header=BB41_12 Depth=3
	s_and_not1_saveexec_b32 s70, s70
	s_cbranch_execnz .LBB41_94
.LBB41_85:                              ;   in Loop: Header=BB41_12 Depth=3
	s_or_b32 exec_lo, exec_lo, s70
	v_cmp_class_f32_e64 s70, v9, 0x1f8
	s_delay_alu instid0(VALU_DEP_1)
	s_and_saveexec_b32 s10, s70
	s_cbranch_execz .LBB41_10
	s_branch .LBB41_95
.LBB41_86:                              ;   in Loop: Header=BB41_12 Depth=3
	s_mov_b32 s70, exec_lo
	v_cmpx_lt_i32_e64 v3, v31
	s_cbranch_execz .LBB41_99
; %bb.87:                               ;   in Loop: Header=BB41_12 Depth=3
	s_mov_b32 s72, 0
                                        ; implicit-def: $sgpr71
                                        ; implicit-def: $sgpr74
                                        ; implicit-def: $sgpr73
	s_set_inst_prefetch_distance 0x1
	s_branch .LBB41_89
	.p2align	6
.LBB41_88:                              ;   in Loop: Header=BB41_89 Depth=4
	s_or_b32 exec_lo, exec_lo, s75
	s_delay_alu instid0(SALU_CYCLE_1) | instskip(NEXT) | instid1(SALU_CYCLE_1)
	s_and_b32 s75, exec_lo, s74
	s_or_b32 s72, s75, s72
	s_and_not1_b32 s71, s71, exec_lo
	s_and_b32 s75, s73, exec_lo
	s_delay_alu instid0(SALU_CYCLE_1)
	s_or_b32 s71, s71, s75
	s_and_not1_b32 exec_lo, exec_lo, s72
	s_cbranch_execz .LBB41_96
.LBB41_89:                              ;   Parent Loop BB41_3 Depth=1
                                        ;     Parent Loop BB41_7 Depth=2
                                        ;       Parent Loop BB41_12 Depth=3
                                        ; =>      This Inner Loop Header: Depth=4
	v_add_nc_u32_e32 v13, v8, v3
	s_or_b32 s73, s73, exec_lo
	s_or_b32 s74, s74, exec_lo
	s_mov_b32 s75, exec_lo
	s_delay_alu instid0(VALU_DEP_1) | instskip(NEXT) | instid1(VALU_DEP_1)
	v_ashrrev_i32_e32 v14, 31, v13
	v_lshlrev_b64 v[15:16], 2, v[13:14]
	s_delay_alu instid0(VALU_DEP_1) | instskip(NEXT) | instid1(VALU_DEP_2)
	v_add_co_u32 v15, vcc_lo, s24, v15
	v_add_co_ci_u32_e32 v16, vcc_lo, s25, v16, vcc_lo
	global_load_b32 v7, v[15:16], off
	s_waitcnt vmcnt(0)
	v_subrev_nc_u32_e32 v7, s60, v7
	s_delay_alu instid0(VALU_DEP_1)
	v_cmpx_ne_u32_e64 v7, v9
	s_cbranch_execz .LBB41_88
; %bb.90:                               ;   in Loop: Header=BB41_89 Depth=4
	v_add_nc_u32_e32 v3, 1, v3
	s_and_not1_b32 s74, s74, exec_lo
	s_and_not1_b32 s73, s73, exec_lo
	s_delay_alu instid0(VALU_DEP_1) | instskip(SKIP_1) | instid1(SALU_CYCLE_1)
	v_cmp_ge_i32_e32 vcc_lo, v3, v31
	s_and_b32 s76, vcc_lo, exec_lo
	s_or_b32 s74, s74, s76
	s_branch .LBB41_88
.LBB41_91:                              ;   in Loop: Header=BB41_12 Depth=3
	v_mov_b32_e32 v9, 0
	s_mov_b32 s71, exec_lo
	v_cmpx_neq_f32_e32 0, v10
	s_cbranch_execz .LBB41_93
; %bb.92:                               ;   in Loop: Header=BB41_12 Depth=3
	v_div_scale_f32 v9, null, v7, v7, v3
	v_div_scale_f32 v12, vcc_lo, v3, v7, v3
	s_delay_alu instid0(VALU_DEP_2) | instskip(SKIP_2) | instid1(VALU_DEP_1)
	v_rcp_f32_e32 v10, v9
	s_waitcnt_depctr 0xfff
	v_fma_f32 v11, -v9, v10, 1.0
	v_fmac_f32_e32 v10, v11, v10
	s_delay_alu instid0(VALU_DEP_1) | instskip(NEXT) | instid1(VALU_DEP_1)
	v_mul_f32_e32 v11, v12, v10
	v_fma_f32 v13, -v9, v11, v12
	s_delay_alu instid0(VALU_DEP_1) | instskip(NEXT) | instid1(VALU_DEP_1)
	v_fmac_f32_e32 v11, v13, v10
	v_fma_f32 v9, -v9, v11, v12
	s_delay_alu instid0(VALU_DEP_1) | instskip(NEXT) | instid1(VALU_DEP_1)
	v_div_fmas_f32 v9, v9, v10, v11
	v_div_fixup_f32 v3, v9, v7, v3
	s_delay_alu instid0(VALU_DEP_1) | instskip(NEXT) | instid1(VALU_DEP_1)
	v_fma_f32 v3, v3, v3, 1.0
	v_mul_f32_e32 v9, 0x4f800000, v3
	v_cmp_gt_f32_e32 vcc_lo, 0xf800000, v3
	s_delay_alu instid0(VALU_DEP_2) | instskip(NEXT) | instid1(VALU_DEP_1)
	v_cndmask_b32_e32 v3, v3, v9, vcc_lo
	v_sqrt_f32_e32 v9, v3
	s_waitcnt_depctr 0xfff
	v_add_nc_u32_e32 v10, -1, v9
	v_add_nc_u32_e32 v11, 1, v9
	s_delay_alu instid0(VALU_DEP_2) | instskip(NEXT) | instid1(VALU_DEP_2)
	v_fma_f32 v12, -v10, v9, v3
	v_fma_f32 v13, -v11, v9, v3
	s_delay_alu instid0(VALU_DEP_2) | instskip(NEXT) | instid1(VALU_DEP_1)
	v_cmp_ge_f32_e64 s10, 0, v12
	v_cndmask_b32_e64 v9, v9, v10, s10
	s_delay_alu instid0(VALU_DEP_3) | instskip(NEXT) | instid1(VALU_DEP_1)
	v_cmp_lt_f32_e64 s10, 0, v13
	v_cndmask_b32_e64 v9, v9, v11, s10
	s_delay_alu instid0(VALU_DEP_1) | instskip(NEXT) | instid1(VALU_DEP_1)
	v_mul_f32_e32 v10, 0x37800000, v9
	v_cndmask_b32_e32 v9, v9, v10, vcc_lo
	v_cmp_class_f32_e64 vcc_lo, v3, 0x260
	s_delay_alu instid0(VALU_DEP_2) | instskip(NEXT) | instid1(VALU_DEP_1)
	v_cndmask_b32_e32 v3, v9, v3, vcc_lo
	v_mul_f32_e32 v9, v7, v3
.LBB41_93:                              ;   in Loop: Header=BB41_12 Depth=3
	s_or_b32 exec_lo, exec_lo, s71
                                        ; implicit-def: $vgpr3
                                        ; implicit-def: $vgpr7
	s_and_not1_saveexec_b32 s70, s70
	s_cbranch_execz .LBB41_85
.LBB41_94:                              ;   in Loop: Header=BB41_12 Depth=3
	v_div_scale_f32 v9, null, v3, v3, v7
	v_div_scale_f32 v12, vcc_lo, v7, v3, v7
	s_delay_alu instid0(VALU_DEP_2) | instskip(SKIP_2) | instid1(VALU_DEP_1)
	v_rcp_f32_e32 v10, v9
	s_waitcnt_depctr 0xfff
	v_fma_f32 v11, -v9, v10, 1.0
	v_fmac_f32_e32 v10, v11, v10
	s_delay_alu instid0(VALU_DEP_1) | instskip(NEXT) | instid1(VALU_DEP_1)
	v_mul_f32_e32 v11, v12, v10
	v_fma_f32 v13, -v9, v11, v12
	s_delay_alu instid0(VALU_DEP_1) | instskip(NEXT) | instid1(VALU_DEP_1)
	v_fmac_f32_e32 v11, v13, v10
	v_fma_f32 v9, -v9, v11, v12
	s_delay_alu instid0(VALU_DEP_1) | instskip(NEXT) | instid1(VALU_DEP_1)
	v_div_fmas_f32 v9, v9, v10, v11
	v_div_fixup_f32 v7, v9, v3, v7
	s_delay_alu instid0(VALU_DEP_1) | instskip(NEXT) | instid1(VALU_DEP_1)
	v_fma_f32 v7, v7, v7, 1.0
	v_mul_f32_e32 v9, 0x4f800000, v7
	v_cmp_gt_f32_e32 vcc_lo, 0xf800000, v7
	s_delay_alu instid0(VALU_DEP_2) | instskip(NEXT) | instid1(VALU_DEP_1)
	v_cndmask_b32_e32 v7, v7, v9, vcc_lo
	v_sqrt_f32_e32 v9, v7
	s_waitcnt_depctr 0xfff
	v_add_nc_u32_e32 v10, -1, v9
	v_add_nc_u32_e32 v11, 1, v9
	s_delay_alu instid0(VALU_DEP_2) | instskip(NEXT) | instid1(VALU_DEP_2)
	v_fma_f32 v12, -v10, v9, v7
	v_fma_f32 v13, -v11, v9, v7
	s_delay_alu instid0(VALU_DEP_2) | instskip(NEXT) | instid1(VALU_DEP_1)
	v_cmp_ge_f32_e64 s10, 0, v12
	v_cndmask_b32_e64 v9, v9, v10, s10
	s_delay_alu instid0(VALU_DEP_3) | instskip(NEXT) | instid1(VALU_DEP_1)
	v_cmp_lt_f32_e64 s10, 0, v13
	v_cndmask_b32_e64 v9, v9, v11, s10
	s_delay_alu instid0(VALU_DEP_1) | instskip(NEXT) | instid1(VALU_DEP_1)
	v_mul_f32_e32 v10, 0x37800000, v9
	v_cndmask_b32_e32 v9, v9, v10, vcc_lo
	v_cmp_class_f32_e64 vcc_lo, v7, 0x260
	s_delay_alu instid0(VALU_DEP_2) | instskip(NEXT) | instid1(VALU_DEP_1)
	v_cndmask_b32_e32 v7, v9, v7, vcc_lo
	v_mul_f32_e32 v9, v3, v7
	s_or_b32 exec_lo, exec_lo, s70
	s_delay_alu instid0(VALU_DEP_1) | instskip(NEXT) | instid1(VALU_DEP_1)
	v_cmp_class_f32_e64 s70, v9, 0x1f8
	s_and_saveexec_b32 s10, s70
	s_cbranch_execz .LBB41_10
.LBB41_95:                              ;   in Loop: Header=BB41_12 Depth=3
	v_cmp_lt_f32_e32 vcc_lo, v1, v9
	v_cndmask_b32_e32 v1, v1, v9, vcc_lo
	s_branch .LBB41_10
.LBB41_96:                              ;   in Loop: Header=BB41_12 Depth=3
	s_set_inst_prefetch_distance 0x2
	s_or_b32 exec_lo, exec_lo, s72
	s_and_saveexec_b32 s72, s71
	s_delay_alu instid0(SALU_CYCLE_1)
	s_xor_b32 s71, exec_lo, s72
	s_cbranch_execz .LBB41_98
; %bb.97:                               ;   in Loop: Header=BB41_12 Depth=3
	v_lshlrev_b64 v[13:14], 3, v[13:14]
	v_lshlrev_b64 v[15:16], 3, v[9:10]
	s_delay_alu instid0(VALU_DEP_2) | instskip(NEXT) | instid1(VALU_DEP_3)
	v_add_co_u32 v13, vcc_lo, s26, v13
	v_add_co_ci_u32_e32 v14, vcc_lo, s27, v14, vcc_lo
	s_delay_alu instid0(VALU_DEP_3) | instskip(NEXT) | instid1(VALU_DEP_4)
	v_add_co_u32 v15, vcc_lo, s44, v15
	v_add_co_ci_u32_e32 v16, vcc_lo, s45, v16, vcc_lo
	global_load_b64 v[13:14], v[13:14], off
	global_load_b64 v[15:16], v[15:16], off
	s_waitcnt vmcnt(0)
	v_mul_f32_e64 v3, v16, -v14
	v_mul_f32_e32 v7, v16, v13
	s_delay_alu instid0(VALU_DEP_2) | instskip(NEXT) | instid1(VALU_DEP_2)
	v_fmac_f32_e32 v3, v13, v15
	v_fmac_f32_e32 v7, v14, v15
	s_delay_alu instid0(VALU_DEP_2) | instskip(NEXT) | instid1(VALU_DEP_2)
	v_add_f32_e32 v36, v36, v3
	v_add_f32_e32 v37, v37, v7
.LBB41_98:                              ;   in Loop: Header=BB41_12 Depth=3
	s_or_b32 exec_lo, exec_lo, s71
.LBB41_99:                              ;   in Loop: Header=BB41_12 Depth=3
	s_delay_alu instid0(SALU_CYCLE_1)
	s_or_b32 exec_lo, exec_lo, s70
                                        ; implicit-def: $vgpr15
                                        ; implicit-def: $vgpr13
                                        ; implicit-def: $vgpr38
	s_and_not1_saveexec_b32 s10, s10
	s_cbranch_execz .LBB41_81
.LBB41_100:                             ;   in Loop: Header=BB41_12 Depth=3
	s_mov_b32 s71, 0
                                        ; implicit-def: $sgpr70
                                        ; implicit-def: $sgpr73
                                        ; implicit-def: $sgpr72
	s_set_inst_prefetch_distance 0x1
	s_branch .LBB41_102
	.p2align	6
.LBB41_101:                             ;   in Loop: Header=BB41_102 Depth=4
	s_or_b32 exec_lo, exec_lo, s74
	s_delay_alu instid0(SALU_CYCLE_1) | instskip(NEXT) | instid1(SALU_CYCLE_1)
	s_and_b32 s74, exec_lo, s73
	s_or_b32 s71, s74, s71
	s_and_not1_b32 s70, s70, exec_lo
	s_and_b32 s74, s72, exec_lo
	s_delay_alu instid0(SALU_CYCLE_1)
	s_or_b32 s70, s70, s74
	s_and_not1_b32 exec_lo, exec_lo, s71
	s_cbranch_execz .LBB41_104
.LBB41_102:                             ;   Parent Loop BB41_3 Depth=1
                                        ;     Parent Loop BB41_7 Depth=2
                                        ;       Parent Loop BB41_12 Depth=3
                                        ; =>      This Inner Loop Header: Depth=4
	v_add_nc_u32_e32 v16, v13, v15
	s_or_b32 s72, s72, exec_lo
	s_or_b32 s73, s73, exec_lo
	s_mov_b32 s74, exec_lo
	s_delay_alu instid0(VALU_DEP_1) | instskip(NEXT) | instid1(VALU_DEP_1)
	v_ashrrev_i32_e32 v17, 31, v16
	v_lshlrev_b64 v[18:19], 2, v[16:17]
	s_delay_alu instid0(VALU_DEP_1) | instskip(NEXT) | instid1(VALU_DEP_2)
	v_add_co_u32 v18, vcc_lo, s16, v18
	v_add_co_ci_u32_e32 v19, vcc_lo, s17, v19, vcc_lo
	global_load_b32 v3, v[18:19], off
	s_waitcnt vmcnt(0)
	v_subrev_nc_u32_e32 v3, s61, v3
	s_delay_alu instid0(VALU_DEP_1)
	v_cmpx_ne_u32_e64 v3, v5
	s_cbranch_execz .LBB41_101
; %bb.103:                              ;   in Loop: Header=BB41_102 Depth=4
	v_add_nc_u32_e32 v15, 1, v15
	s_and_not1_b32 s73, s73, exec_lo
	s_and_not1_b32 s72, s72, exec_lo
	s_delay_alu instid0(VALU_DEP_1) | instskip(SKIP_1) | instid1(SALU_CYCLE_1)
	v_cmp_ge_i32_e32 vcc_lo, v15, v38
	s_and_b32 s75, vcc_lo, exec_lo
	s_or_b32 s73, s73, s75
	s_branch .LBB41_101
.LBB41_104:                             ;   in Loop: Header=BB41_12 Depth=3
	s_set_inst_prefetch_distance 0x2
	s_or_b32 exec_lo, exec_lo, s71
	s_and_saveexec_b32 s71, s70
	s_delay_alu instid0(SALU_CYCLE_1)
	s_xor_b32 s70, exec_lo, s71
	s_cbranch_execz .LBB41_106
; %bb.105:                              ;   in Loop: Header=BB41_12 Depth=3
	v_lshlrev_b64 v[13:14], 3, v[16:17]
	s_delay_alu instid0(VALU_DEP_1) | instskip(NEXT) | instid1(VALU_DEP_2)
	v_add_co_u32 v13, vcc_lo, s18, v13
	v_add_co_ci_u32_e32 v14, vcc_lo, s19, v14, vcc_lo
	global_load_b64 v[13:14], v[13:14], off
	s_waitcnt vmcnt(0)
	v_dual_add_f32 v36, v36, v13 :: v_dual_add_f32 v37, v37, v14
.LBB41_106:                             ;   in Loop: Header=BB41_12 Depth=3
	s_or_b32 exec_lo, exec_lo, s70
	s_delay_alu instid0(SALU_CYCLE_1) | instskip(NEXT) | instid1(SALU_CYCLE_1)
	s_or_b32 exec_lo, exec_lo, s10
	s_mov_b32 s10, exec_lo
	v_cmpx_eq_u32_e64 v5, v9
	s_cbranch_execnz .LBB41_82
	s_branch .LBB41_83
.LBB41_107:                             ;   in Loop: Header=BB41_12 Depth=3
	v_mov_b32_e32 v16, 0
	s_mov_b32 s74, exec_lo
	v_cmpx_neq_f32_e32 0, v17
	s_cbranch_execz .LBB41_109
; %bb.108:                              ;   in Loop: Header=BB41_12 Depth=3
	v_div_scale_f32 v16, null, v14, v14, v7
	v_div_scale_f32 v19, vcc_lo, v7, v14, v7
	s_delay_alu instid0(VALU_DEP_2) | instskip(SKIP_2) | instid1(VALU_DEP_1)
	v_rcp_f32_e32 v17, v16
	s_waitcnt_depctr 0xfff
	v_fma_f32 v18, -v16, v17, 1.0
	v_fmac_f32_e32 v17, v18, v17
	s_delay_alu instid0(VALU_DEP_1) | instskip(NEXT) | instid1(VALU_DEP_1)
	v_mul_f32_e32 v18, v19, v17
	v_fma_f32 v39, -v16, v18, v19
	s_delay_alu instid0(VALU_DEP_1) | instskip(NEXT) | instid1(VALU_DEP_1)
	v_fmac_f32_e32 v18, v39, v17
	v_fma_f32 v16, -v16, v18, v19
	s_delay_alu instid0(VALU_DEP_1) | instskip(NEXT) | instid1(VALU_DEP_1)
	v_div_fmas_f32 v16, v16, v17, v18
	v_div_fixup_f32 v7, v16, v14, v7
	s_delay_alu instid0(VALU_DEP_1) | instskip(NEXT) | instid1(VALU_DEP_1)
	v_fma_f32 v7, v7, v7, 1.0
	v_mul_f32_e32 v16, 0x4f800000, v7
	v_cmp_gt_f32_e32 vcc_lo, 0xf800000, v7
	s_delay_alu instid0(VALU_DEP_2) | instskip(NEXT) | instid1(VALU_DEP_1)
	v_cndmask_b32_e32 v7, v7, v16, vcc_lo
	v_sqrt_f32_e32 v16, v7
	s_waitcnt_depctr 0xfff
	v_add_nc_u32_e32 v17, -1, v16
	v_add_nc_u32_e32 v18, 1, v16
	s_delay_alu instid0(VALU_DEP_2) | instskip(NEXT) | instid1(VALU_DEP_2)
	v_fma_f32 v19, -v17, v16, v7
	v_fma_f32 v39, -v18, v16, v7
	s_delay_alu instid0(VALU_DEP_2) | instskip(NEXT) | instid1(VALU_DEP_1)
	v_cmp_ge_f32_e64 s10, 0, v19
	v_cndmask_b32_e64 v16, v16, v17, s10
	s_delay_alu instid0(VALU_DEP_3) | instskip(NEXT) | instid1(VALU_DEP_1)
	v_cmp_lt_f32_e64 s10, 0, v39
	v_cndmask_b32_e64 v16, v16, v18, s10
	s_delay_alu instid0(VALU_DEP_1) | instskip(NEXT) | instid1(VALU_DEP_1)
	v_mul_f32_e32 v17, 0x37800000, v16
	v_cndmask_b32_e32 v16, v16, v17, vcc_lo
	v_cmp_class_f32_e64 vcc_lo, v7, 0x260
	s_delay_alu instid0(VALU_DEP_2) | instskip(NEXT) | instid1(VALU_DEP_1)
	v_cndmask_b32_e32 v7, v16, v7, vcc_lo
	v_mul_f32_e32 v16, v14, v7
.LBB41_109:                             ;   in Loop: Header=BB41_12 Depth=3
	s_or_b32 exec_lo, exec_lo, s74
                                        ; implicit-def: $vgpr7
                                        ; implicit-def: $vgpr14
	s_and_not1_saveexec_b32 s73, s73
	s_cbranch_execz .LBB41_43
.LBB41_110:                             ;   in Loop: Header=BB41_12 Depth=3
	v_div_scale_f32 v16, null, v7, v7, v14
	v_div_scale_f32 v19, vcc_lo, v14, v7, v14
	s_delay_alu instid0(VALU_DEP_2) | instskip(SKIP_2) | instid1(VALU_DEP_1)
	v_rcp_f32_e32 v17, v16
	s_waitcnt_depctr 0xfff
	v_fma_f32 v18, -v16, v17, 1.0
	v_fmac_f32_e32 v17, v18, v17
	s_delay_alu instid0(VALU_DEP_1) | instskip(NEXT) | instid1(VALU_DEP_1)
	v_mul_f32_e32 v18, v19, v17
	v_fma_f32 v39, -v16, v18, v19
	s_delay_alu instid0(VALU_DEP_1) | instskip(NEXT) | instid1(VALU_DEP_1)
	v_fmac_f32_e32 v18, v39, v17
	v_fma_f32 v16, -v16, v18, v19
	s_delay_alu instid0(VALU_DEP_1) | instskip(NEXT) | instid1(VALU_DEP_1)
	v_div_fmas_f32 v16, v16, v17, v18
	v_div_fixup_f32 v14, v16, v7, v14
	s_delay_alu instid0(VALU_DEP_1) | instskip(NEXT) | instid1(VALU_DEP_1)
	v_fma_f32 v14, v14, v14, 1.0
	v_mul_f32_e32 v16, 0x4f800000, v14
	v_cmp_gt_f32_e32 vcc_lo, 0xf800000, v14
	s_delay_alu instid0(VALU_DEP_2) | instskip(NEXT) | instid1(VALU_DEP_1)
	v_cndmask_b32_e32 v14, v14, v16, vcc_lo
	v_sqrt_f32_e32 v16, v14
	s_waitcnt_depctr 0xfff
	v_add_nc_u32_e32 v17, -1, v16
	v_add_nc_u32_e32 v18, 1, v16
	s_delay_alu instid0(VALU_DEP_2) | instskip(NEXT) | instid1(VALU_DEP_2)
	v_fma_f32 v19, -v17, v16, v14
	v_fma_f32 v39, -v18, v16, v14
	s_delay_alu instid0(VALU_DEP_2) | instskip(NEXT) | instid1(VALU_DEP_1)
	v_cmp_ge_f32_e64 s10, 0, v19
	v_cndmask_b32_e64 v16, v16, v17, s10
	s_delay_alu instid0(VALU_DEP_3) | instskip(NEXT) | instid1(VALU_DEP_1)
	v_cmp_lt_f32_e64 s10, 0, v39
	v_cndmask_b32_e64 v16, v16, v18, s10
	s_delay_alu instid0(VALU_DEP_1) | instskip(NEXT) | instid1(VALU_DEP_1)
	v_mul_f32_e32 v17, 0x37800000, v16
	v_cndmask_b32_e32 v16, v16, v17, vcc_lo
	v_cmp_class_f32_e64 vcc_lo, v14, 0x260
	s_delay_alu instid0(VALU_DEP_2) | instskip(NEXT) | instid1(VALU_DEP_1)
	v_cndmask_b32_e32 v14, v16, v14, vcc_lo
	v_mul_f32_e32 v16, v7, v14
	s_or_b32 exec_lo, exec_lo, s73
	s_delay_alu instid0(VALU_DEP_1) | instskip(NEXT) | instid1(VALU_DEP_1)
	v_cmp_class_f32_e64 s73, v16, 0x1f8
	s_and_saveexec_b32 s10, s73
	s_cbranch_execnz .LBB41_44
	s_branch .LBB41_45
.LBB41_111:                             ;   in Loop: Header=BB41_12 Depth=3
	v_mov_b32_e32 v16, 0
	s_mov_b32 s75, exec_lo
	v_cmpx_neq_f32_e32 0, v17
	s_cbranch_execz .LBB41_113
; %bb.112:                              ;   in Loop: Header=BB41_12 Depth=3
	v_div_scale_f32 v16, null, v14, v14, v7
	v_div_scale_f32 v19, vcc_lo, v7, v14, v7
	s_delay_alu instid0(VALU_DEP_2) | instskip(SKIP_2) | instid1(VALU_DEP_1)
	v_rcp_f32_e32 v17, v16
	s_waitcnt_depctr 0xfff
	v_fma_f32 v18, -v16, v17, 1.0
	v_fmac_f32_e32 v17, v18, v17
	s_delay_alu instid0(VALU_DEP_1) | instskip(NEXT) | instid1(VALU_DEP_1)
	v_mul_f32_e32 v18, v19, v17
	v_fma_f32 v39, -v16, v18, v19
	s_delay_alu instid0(VALU_DEP_1) | instskip(NEXT) | instid1(VALU_DEP_1)
	v_fmac_f32_e32 v18, v39, v17
	v_fma_f32 v16, -v16, v18, v19
	s_delay_alu instid0(VALU_DEP_1) | instskip(NEXT) | instid1(VALU_DEP_1)
	v_div_fmas_f32 v16, v16, v17, v18
	v_div_fixup_f32 v7, v16, v14, v7
	s_delay_alu instid0(VALU_DEP_1) | instskip(NEXT) | instid1(VALU_DEP_1)
	v_fma_f32 v7, v7, v7, 1.0
	v_mul_f32_e32 v16, 0x4f800000, v7
	v_cmp_gt_f32_e32 vcc_lo, 0xf800000, v7
	s_delay_alu instid0(VALU_DEP_2) | instskip(NEXT) | instid1(VALU_DEP_1)
	v_cndmask_b32_e32 v7, v7, v16, vcc_lo
	v_sqrt_f32_e32 v16, v7
	s_waitcnt_depctr 0xfff
	v_add_nc_u32_e32 v17, -1, v16
	v_add_nc_u32_e32 v18, 1, v16
	s_delay_alu instid0(VALU_DEP_2) | instskip(NEXT) | instid1(VALU_DEP_2)
	v_fma_f32 v19, -v17, v16, v7
	v_fma_f32 v39, -v18, v16, v7
	s_delay_alu instid0(VALU_DEP_2) | instskip(NEXT) | instid1(VALU_DEP_1)
	v_cmp_ge_f32_e64 s10, 0, v19
	v_cndmask_b32_e64 v16, v16, v17, s10
	s_delay_alu instid0(VALU_DEP_3) | instskip(NEXT) | instid1(VALU_DEP_1)
	v_cmp_lt_f32_e64 s10, 0, v39
	v_cndmask_b32_e64 v16, v16, v18, s10
	s_delay_alu instid0(VALU_DEP_1) | instskip(NEXT) | instid1(VALU_DEP_1)
	v_mul_f32_e32 v17, 0x37800000, v16
	v_cndmask_b32_e32 v16, v16, v17, vcc_lo
	v_cmp_class_f32_e64 vcc_lo, v7, 0x260
	s_delay_alu instid0(VALU_DEP_2) | instskip(NEXT) | instid1(VALU_DEP_1)
	v_cndmask_b32_e32 v7, v16, v7, vcc_lo
	v_mul_f32_e32 v16, v14, v7
.LBB41_113:                             ;   in Loop: Header=BB41_12 Depth=3
	s_or_b32 exec_lo, exec_lo, s75
                                        ; implicit-def: $vgpr7
                                        ; implicit-def: $vgpr14
	s_and_not1_saveexec_b32 s74, s74
	s_cbranch_execz .LBB41_73
.LBB41_114:                             ;   in Loop: Header=BB41_12 Depth=3
	v_div_scale_f32 v16, null, v7, v7, v14
	v_div_scale_f32 v19, vcc_lo, v14, v7, v14
	s_delay_alu instid0(VALU_DEP_2) | instskip(SKIP_2) | instid1(VALU_DEP_1)
	v_rcp_f32_e32 v17, v16
	s_waitcnt_depctr 0xfff
	v_fma_f32 v18, -v16, v17, 1.0
	v_fmac_f32_e32 v17, v18, v17
	s_delay_alu instid0(VALU_DEP_1) | instskip(NEXT) | instid1(VALU_DEP_1)
	v_mul_f32_e32 v18, v19, v17
	v_fma_f32 v39, -v16, v18, v19
	s_delay_alu instid0(VALU_DEP_1) | instskip(NEXT) | instid1(VALU_DEP_1)
	v_fmac_f32_e32 v18, v39, v17
	v_fma_f32 v16, -v16, v18, v19
	s_delay_alu instid0(VALU_DEP_1) | instskip(NEXT) | instid1(VALU_DEP_1)
	v_div_fmas_f32 v16, v16, v17, v18
	v_div_fixup_f32 v14, v16, v7, v14
	s_delay_alu instid0(VALU_DEP_1) | instskip(NEXT) | instid1(VALU_DEP_1)
	v_fma_f32 v14, v14, v14, 1.0
	v_mul_f32_e32 v16, 0x4f800000, v14
	v_cmp_gt_f32_e32 vcc_lo, 0xf800000, v14
	s_delay_alu instid0(VALU_DEP_2) | instskip(NEXT) | instid1(VALU_DEP_1)
	v_cndmask_b32_e32 v14, v14, v16, vcc_lo
	v_sqrt_f32_e32 v16, v14
	s_waitcnt_depctr 0xfff
	v_add_nc_u32_e32 v17, -1, v16
	v_add_nc_u32_e32 v18, 1, v16
	s_delay_alu instid0(VALU_DEP_2) | instskip(NEXT) | instid1(VALU_DEP_2)
	v_fma_f32 v19, -v17, v16, v14
	v_fma_f32 v39, -v18, v16, v14
	s_delay_alu instid0(VALU_DEP_2) | instskip(NEXT) | instid1(VALU_DEP_1)
	v_cmp_ge_f32_e64 s10, 0, v19
	v_cndmask_b32_e64 v16, v16, v17, s10
	s_delay_alu instid0(VALU_DEP_3) | instskip(NEXT) | instid1(VALU_DEP_1)
	v_cmp_lt_f32_e64 s10, 0, v39
	v_cndmask_b32_e64 v16, v16, v18, s10
	s_delay_alu instid0(VALU_DEP_1) | instskip(NEXT) | instid1(VALU_DEP_1)
	v_mul_f32_e32 v17, 0x37800000, v16
	v_cndmask_b32_e32 v16, v16, v17, vcc_lo
	v_cmp_class_f32_e64 vcc_lo, v14, 0x260
	s_delay_alu instid0(VALU_DEP_2) | instskip(NEXT) | instid1(VALU_DEP_1)
	v_cndmask_b32_e32 v14, v16, v14, vcc_lo
	v_mul_f32_e32 v16, v7, v14
	s_or_b32 exec_lo, exec_lo, s74
	s_delay_alu instid0(VALU_DEP_1) | instskip(NEXT) | instid1(VALU_DEP_1)
	v_cmp_class_f32_e64 s74, v16, 0x1f8
	s_and_saveexec_b32 s10, s74
	s_cbranch_execnz .LBB41_74
	s_branch .LBB41_75
.LBB41_115:                             ;   in Loop: Header=BB41_12 Depth=3
	v_mov_b32_e32 v16, 0
	s_mov_b32 s76, exec_lo
	v_cmpx_neq_f32_e32 0, v17
	s_cbranch_execz .LBB41_117
; %bb.116:                              ;   in Loop: Header=BB41_12 Depth=3
	v_div_scale_f32 v16, null, v14, v14, v7
	v_div_scale_f32 v19, vcc_lo, v7, v14, v7
	s_delay_alu instid0(VALU_DEP_2) | instskip(SKIP_2) | instid1(VALU_DEP_1)
	v_rcp_f32_e32 v17, v16
	s_waitcnt_depctr 0xfff
	v_fma_f32 v18, -v16, v17, 1.0
	v_fmac_f32_e32 v17, v18, v17
	s_delay_alu instid0(VALU_DEP_1) | instskip(NEXT) | instid1(VALU_DEP_1)
	v_mul_f32_e32 v18, v19, v17
	v_fma_f32 v39, -v16, v18, v19
	s_delay_alu instid0(VALU_DEP_1) | instskip(NEXT) | instid1(VALU_DEP_1)
	v_fmac_f32_e32 v18, v39, v17
	v_fma_f32 v16, -v16, v18, v19
	s_delay_alu instid0(VALU_DEP_1) | instskip(NEXT) | instid1(VALU_DEP_1)
	v_div_fmas_f32 v16, v16, v17, v18
	v_div_fixup_f32 v7, v16, v14, v7
	s_delay_alu instid0(VALU_DEP_1) | instskip(NEXT) | instid1(VALU_DEP_1)
	v_fma_f32 v7, v7, v7, 1.0
	v_mul_f32_e32 v16, 0x4f800000, v7
	v_cmp_gt_f32_e32 vcc_lo, 0xf800000, v7
	s_delay_alu instid0(VALU_DEP_2) | instskip(NEXT) | instid1(VALU_DEP_1)
	v_cndmask_b32_e32 v7, v7, v16, vcc_lo
	v_sqrt_f32_e32 v16, v7
	s_waitcnt_depctr 0xfff
	v_add_nc_u32_e32 v17, -1, v16
	v_add_nc_u32_e32 v18, 1, v16
	s_delay_alu instid0(VALU_DEP_2) | instskip(NEXT) | instid1(VALU_DEP_2)
	v_fma_f32 v19, -v17, v16, v7
	v_fma_f32 v39, -v18, v16, v7
	s_delay_alu instid0(VALU_DEP_2) | instskip(NEXT) | instid1(VALU_DEP_1)
	v_cmp_ge_f32_e64 s10, 0, v19
	v_cndmask_b32_e64 v16, v16, v17, s10
	s_delay_alu instid0(VALU_DEP_3) | instskip(NEXT) | instid1(VALU_DEP_1)
	v_cmp_lt_f32_e64 s10, 0, v39
	v_cndmask_b32_e64 v16, v16, v18, s10
	s_delay_alu instid0(VALU_DEP_1) | instskip(NEXT) | instid1(VALU_DEP_1)
	v_mul_f32_e32 v17, 0x37800000, v16
	v_cndmask_b32_e32 v16, v16, v17, vcc_lo
	v_cmp_class_f32_e64 vcc_lo, v7, 0x260
	s_delay_alu instid0(VALU_DEP_2) | instskip(NEXT) | instid1(VALU_DEP_1)
	v_cndmask_b32_e32 v7, v16, v7, vcc_lo
	v_mul_f32_e32 v16, v14, v7
.LBB41_117:                             ;   in Loop: Header=BB41_12 Depth=3
	s_or_b32 exec_lo, exec_lo, s76
                                        ; implicit-def: $vgpr7
                                        ; implicit-def: $vgpr14
	s_and_not1_saveexec_b32 s75, s75
	s_cbranch_execz .LBB41_57
.LBB41_118:                             ;   in Loop: Header=BB41_12 Depth=3
	v_div_scale_f32 v16, null, v7, v7, v14
	v_div_scale_f32 v19, vcc_lo, v14, v7, v14
	s_delay_alu instid0(VALU_DEP_2) | instskip(SKIP_2) | instid1(VALU_DEP_1)
	v_rcp_f32_e32 v17, v16
	s_waitcnt_depctr 0xfff
	v_fma_f32 v18, -v16, v17, 1.0
	v_fmac_f32_e32 v17, v18, v17
	s_delay_alu instid0(VALU_DEP_1) | instskip(NEXT) | instid1(VALU_DEP_1)
	v_mul_f32_e32 v18, v19, v17
	v_fma_f32 v39, -v16, v18, v19
	s_delay_alu instid0(VALU_DEP_1) | instskip(NEXT) | instid1(VALU_DEP_1)
	v_fmac_f32_e32 v18, v39, v17
	v_fma_f32 v16, -v16, v18, v19
	s_delay_alu instid0(VALU_DEP_1) | instskip(NEXT) | instid1(VALU_DEP_1)
	v_div_fmas_f32 v16, v16, v17, v18
	v_div_fixup_f32 v14, v16, v7, v14
	s_delay_alu instid0(VALU_DEP_1) | instskip(NEXT) | instid1(VALU_DEP_1)
	v_fma_f32 v14, v14, v14, 1.0
	v_mul_f32_e32 v16, 0x4f800000, v14
	v_cmp_gt_f32_e32 vcc_lo, 0xf800000, v14
	s_delay_alu instid0(VALU_DEP_2) | instskip(NEXT) | instid1(VALU_DEP_1)
	v_cndmask_b32_e32 v14, v14, v16, vcc_lo
	v_sqrt_f32_e32 v16, v14
	s_waitcnt_depctr 0xfff
	v_add_nc_u32_e32 v17, -1, v16
	v_add_nc_u32_e32 v18, 1, v16
	s_delay_alu instid0(VALU_DEP_2) | instskip(NEXT) | instid1(VALU_DEP_2)
	v_fma_f32 v19, -v17, v16, v14
	v_fma_f32 v39, -v18, v16, v14
	s_delay_alu instid0(VALU_DEP_2) | instskip(NEXT) | instid1(VALU_DEP_1)
	v_cmp_ge_f32_e64 s10, 0, v19
	v_cndmask_b32_e64 v16, v16, v17, s10
	s_delay_alu instid0(VALU_DEP_3) | instskip(NEXT) | instid1(VALU_DEP_1)
	v_cmp_lt_f32_e64 s10, 0, v39
	v_cndmask_b32_e64 v16, v16, v18, s10
	s_delay_alu instid0(VALU_DEP_1) | instskip(NEXT) | instid1(VALU_DEP_1)
	v_mul_f32_e32 v17, 0x37800000, v16
	v_cndmask_b32_e32 v16, v16, v17, vcc_lo
	v_cmp_class_f32_e64 vcc_lo, v14, 0x260
	s_delay_alu instid0(VALU_DEP_2) | instskip(NEXT) | instid1(VALU_DEP_1)
	v_cndmask_b32_e32 v14, v16, v14, vcc_lo
	v_mul_f32_e32 v16, v7, v14
	s_or_b32 exec_lo, exec_lo, s75
	s_delay_alu instid0(VALU_DEP_1) | instskip(NEXT) | instid1(VALU_DEP_1)
	v_cmp_class_f32_e64 s75, v16, 0x1f8
	s_and_saveexec_b32 s10, s75
	s_cbranch_execnz .LBB41_58
	s_branch .LBB41_59
.LBB41_119:                             ;   in Loop: Header=BB41_3 Depth=1
	v_or_b32_e32 v9, 32, v22
	v_xor_b32_e32 v8, 16, v22
	v_xor_b32_e32 v7, 8, v22
	;; [unrolled: 1-line block ×5, first 2 shown]
	s_and_b32 vcc_lo, exec_lo, s56
	s_cbranch_vccnz .LBB41_122
; %bb.120:                              ;   in Loop: Header=BB41_3 Depth=1
	s_and_not1_b32 vcc_lo, exec_lo, s33
	s_cbranch_vccz .LBB41_133
.LBB41_121:                             ;   in Loop: Header=BB41_3 Depth=1
	s_and_saveexec_b32 s10, s7
	s_cbranch_execnz .LBB41_144
	s_branch .LBB41_155
.LBB41_122:                             ;   in Loop: Header=BB41_3 Depth=1
	v_cmp_gt_i32_e32 vcc_lo, 32, v9
	v_cndmask_b32_e32 v10, v22, v9, vcc_lo
	v_cmp_gt_i32_e32 vcc_lo, 32, v8
	v_cndmask_b32_e32 v11, v22, v8, vcc_lo
	s_delay_alu instid0(VALU_DEP_1) | instskip(NEXT) | instid1(VALU_DEP_4)
	v_lshlrev_b32_e32 v11, 2, v11
	v_lshlrev_b32_e32 v10, 2, v10
	ds_bpermute_b32 v10, v10, v2
	s_waitcnt lgkmcnt(0)
	v_cmp_lt_f32_e32 vcc_lo, v2, v10
	v_cndmask_b32_e32 v2, v2, v10, vcc_lo
	v_cmp_gt_i32_e32 vcc_lo, 32, v7
	ds_bpermute_b32 v10, v11, v2
	v_cndmask_b32_e32 v11, v22, v7, vcc_lo
	s_delay_alu instid0(VALU_DEP_1)
	v_lshlrev_b32_e32 v11, 2, v11
	s_waitcnt lgkmcnt(0)
	v_cmp_lt_f32_e32 vcc_lo, v2, v10
	v_cndmask_b32_e32 v2, v2, v10, vcc_lo
	v_cmp_gt_i32_e32 vcc_lo, 32, v6
	ds_bpermute_b32 v10, v11, v2
	v_cndmask_b32_e32 v11, v22, v6, vcc_lo
	s_delay_alu instid0(VALU_DEP_1)
	v_lshlrev_b32_e32 v11, 2, v11
	;; [unrolled: 8-line block ×3, first 2 shown]
	s_waitcnt lgkmcnt(0)
	v_cmp_lt_f32_e32 vcc_lo, v2, v10
	v_cndmask_b32_e32 v2, v2, v10, vcc_lo
	v_cmp_gt_i32_e32 vcc_lo, 32, v3
	ds_bpermute_b32 v10, v11, v2
	v_cndmask_b32_e32 v11, v22, v3, vcc_lo
	s_waitcnt lgkmcnt(0)
	v_cmp_lt_f32_e32 vcc_lo, v2, v10
	v_cndmask_b32_e32 v2, v2, v10, vcc_lo
	s_delay_alu instid0(VALU_DEP_3)
	v_lshlrev_b32_e32 v10, 2, v11
	ds_bpermute_b32 v10, v10, v2
	s_and_saveexec_b32 s9, s2
	s_cbranch_execz .LBB41_124
; %bb.123:                              ;   in Loop: Header=BB41_3 Depth=1
	s_waitcnt lgkmcnt(0)
	v_cmp_lt_f32_e32 vcc_lo, v2, v10
	v_cndmask_b32_e32 v2, v2, v10, vcc_lo
	ds_store_b32 v25, v2
.LBB41_124:                             ;   in Loop: Header=BB41_3 Depth=1
	s_or_b32 exec_lo, exec_lo, s9
	s_waitcnt lgkmcnt(0)
	s_waitcnt_vscnt null, 0x0
	s_barrier
	buffer_gl0_inv
	s_and_saveexec_b32 s9, s3
	s_cbranch_execz .LBB41_126
; %bb.125:                              ;   in Loop: Header=BB41_3 Depth=1
	ds_load_2addr_b32 v[10:11], v20 offset1:8
	s_waitcnt lgkmcnt(0)
	v_cmp_lt_f32_e32 vcc_lo, v10, v11
	v_cndmask_b32_e32 v2, v10, v11, vcc_lo
	ds_store_b32 v20, v2
.LBB41_126:                             ;   in Loop: Header=BB41_3 Depth=1
	s_or_b32 exec_lo, exec_lo, s9
	s_waitcnt lgkmcnt(0)
	s_barrier
	buffer_gl0_inv
	s_and_saveexec_b32 s9, s4
	s_cbranch_execz .LBB41_128
; %bb.127:                              ;   in Loop: Header=BB41_3 Depth=1
	ds_load_2addr_b32 v[10:11], v20 offset1:4
	s_waitcnt lgkmcnt(0)
	v_cmp_lt_f32_e32 vcc_lo, v10, v11
	v_cndmask_b32_e32 v2, v10, v11, vcc_lo
	ds_store_b32 v20, v2
.LBB41_128:                             ;   in Loop: Header=BB41_3 Depth=1
	s_or_b32 exec_lo, exec_lo, s9
	s_waitcnt lgkmcnt(0)
	;; [unrolled: 13-line block ×3, first 2 shown]
	s_barrier
	buffer_gl0_inv
	s_and_saveexec_b32 s9, s6
	s_cbranch_execz .LBB41_132
; %bb.131:                              ;   in Loop: Header=BB41_3 Depth=1
	ds_load_b64 v[10:11], v29
	s_waitcnt lgkmcnt(0)
	v_cmp_lt_f32_e32 vcc_lo, v10, v11
	v_cndmask_b32_e32 v2, v10, v11, vcc_lo
	ds_store_b32 v29, v2
.LBB41_132:                             ;   in Loop: Header=BB41_3 Depth=1
	s_or_b32 exec_lo, exec_lo, s9
	s_waitcnt lgkmcnt(0)
	s_barrier
	buffer_gl0_inv
	ds_load_b32 v2, v29
	s_load_b32 s9, s[54:55], 0x0
	s_waitcnt lgkmcnt(0)
	v_div_scale_f32 v10, null, s9, s9, v2
	s_delay_alu instid0(VALU_DEP_1) | instskip(SKIP_2) | instid1(VALU_DEP_1)
	v_rcp_f32_e32 v11, v10
	s_waitcnt_depctr 0xfff
	v_fma_f32 v12, -v10, v11, 1.0
	v_fmac_f32_e32 v11, v12, v11
	v_div_scale_f32 v12, vcc_lo, v2, s9, v2
	s_delay_alu instid0(VALU_DEP_1) | instskip(NEXT) | instid1(VALU_DEP_1)
	v_mul_f32_e32 v13, v12, v11
	v_fma_f32 v14, -v10, v13, v12
	s_delay_alu instid0(VALU_DEP_1) | instskip(NEXT) | instid1(VALU_DEP_1)
	v_fmac_f32_e32 v13, v14, v11
	v_fma_f32 v10, -v10, v13, v12
	s_delay_alu instid0(VALU_DEP_1) | instskip(NEXT) | instid1(VALU_DEP_1)
	v_div_fmas_f32 v10, v10, v11, v13
	v_div_fixup_f32 v2, v10, s9, v2
	s_and_not1_b32 vcc_lo, exec_lo, s33
	s_cbranch_vccnz .LBB41_121
.LBB41_133:                             ;   in Loop: Header=BB41_3 Depth=1
	v_cmp_gt_i32_e32 vcc_lo, 32, v9
	v_cndmask_b32_e32 v9, v22, v9, vcc_lo
	v_cmp_gt_i32_e32 vcc_lo, 32, v8
	v_cndmask_b32_e32 v8, v22, v8, vcc_lo
	s_delay_alu instid0(VALU_DEP_1) | instskip(NEXT) | instid1(VALU_DEP_4)
	v_lshlrev_b32_e32 v8, 2, v8
	v_lshlrev_b32_e32 v9, 2, v9
	ds_bpermute_b32 v9, v9, v1
	s_waitcnt lgkmcnt(0)
	v_cmp_lt_f32_e32 vcc_lo, v1, v9
	v_cndmask_b32_e32 v1, v1, v9, vcc_lo
	v_cmp_gt_i32_e32 vcc_lo, 32, v7
	ds_bpermute_b32 v8, v8, v1
	v_cndmask_b32_e32 v7, v22, v7, vcc_lo
	s_waitcnt lgkmcnt(0)
	v_cmp_lt_f32_e32 vcc_lo, v1, v8
	v_cndmask_b32_e32 v1, v1, v8, vcc_lo
	v_cmp_gt_i32_e32 vcc_lo, 32, v6
	v_cndmask_b32_e32 v6, v22, v6, vcc_lo
	s_delay_alu instid0(VALU_DEP_1)
	v_lshlrev_b32_e32 v6, 2, v6
	v_lshlrev_b32_e32 v7, 2, v7
	ds_bpermute_b32 v7, v7, v1
	s_waitcnt lgkmcnt(0)
	v_cmp_lt_f32_e32 vcc_lo, v1, v7
	v_cndmask_b32_e32 v1, v1, v7, vcc_lo
	v_cmp_gt_i32_e32 vcc_lo, 32, v5
	ds_bpermute_b32 v6, v6, v1
	v_cndmask_b32_e32 v5, v22, v5, vcc_lo
	s_delay_alu instid0(VALU_DEP_1)
	v_lshlrev_b32_e32 v5, 2, v5
	s_waitcnt lgkmcnt(0)
	v_cmp_lt_f32_e32 vcc_lo, v1, v6
	v_cndmask_b32_e32 v1, v1, v6, vcc_lo
	v_cmp_gt_i32_e32 vcc_lo, 32, v3
	ds_bpermute_b32 v5, v5, v1
	v_cndmask_b32_e32 v3, v22, v3, vcc_lo
	s_delay_alu instid0(VALU_DEP_1)
	v_lshlrev_b32_e32 v3, 2, v3
	s_waitcnt lgkmcnt(0)
	v_cmp_lt_f32_e32 vcc_lo, v1, v5
	v_cndmask_b32_e32 v1, v1, v5, vcc_lo
	ds_bpermute_b32 v3, v3, v1
	s_and_saveexec_b32 s9, s2
	s_cbranch_execz .LBB41_135
; %bb.134:                              ;   in Loop: Header=BB41_3 Depth=1
	s_waitcnt lgkmcnt(0)
	v_cmp_lt_f32_e32 vcc_lo, v1, v3
	v_cndmask_b32_e32 v1, v1, v3, vcc_lo
	ds_store_b32 v25, v1
.LBB41_135:                             ;   in Loop: Header=BB41_3 Depth=1
	s_or_b32 exec_lo, exec_lo, s9
	s_waitcnt lgkmcnt(0)
	s_waitcnt_vscnt null, 0x0
	s_barrier
	buffer_gl0_inv
	s_and_saveexec_b32 s9, s3
	s_cbranch_execz .LBB41_137
; %bb.136:                              ;   in Loop: Header=BB41_3 Depth=1
	ds_load_2addr_b32 v[5:6], v20 offset1:8
	s_waitcnt lgkmcnt(0)
	v_cmp_lt_f32_e32 vcc_lo, v5, v6
	v_cndmask_b32_e32 v1, v5, v6, vcc_lo
	ds_store_b32 v20, v1
.LBB41_137:                             ;   in Loop: Header=BB41_3 Depth=1
	s_or_b32 exec_lo, exec_lo, s9
	s_waitcnt lgkmcnt(0)
	s_barrier
	buffer_gl0_inv
	s_and_saveexec_b32 s9, s4
	s_cbranch_execz .LBB41_139
; %bb.138:                              ;   in Loop: Header=BB41_3 Depth=1
	ds_load_2addr_b32 v[5:6], v20 offset1:4
	s_waitcnt lgkmcnt(0)
	v_cmp_lt_f32_e32 vcc_lo, v5, v6
	v_cndmask_b32_e32 v1, v5, v6, vcc_lo
	ds_store_b32 v20, v1
.LBB41_139:                             ;   in Loop: Header=BB41_3 Depth=1
	s_or_b32 exec_lo, exec_lo, s9
	s_waitcnt lgkmcnt(0)
	;; [unrolled: 13-line block ×3, first 2 shown]
	s_barrier
	buffer_gl0_inv
	s_and_saveexec_b32 s9, s6
	s_cbranch_execz .LBB41_143
; %bb.142:                              ;   in Loop: Header=BB41_3 Depth=1
	ds_load_b64 v[5:6], v29
	s_waitcnt lgkmcnt(0)
	v_cmp_lt_f32_e32 vcc_lo, v5, v6
	v_cndmask_b32_e32 v1, v5, v6, vcc_lo
	ds_store_b32 v29, v1
.LBB41_143:                             ;   in Loop: Header=BB41_3 Depth=1
	s_or_b32 exec_lo, exec_lo, s9
	s_waitcnt lgkmcnt(0)
	s_barrier
	buffer_gl0_inv
	ds_load_b32 v1, v29
	s_load_b32 s9, s[54:55], 0x0
	s_waitcnt lgkmcnt(0)
	v_div_scale_f32 v3, null, s9, s9, v1
	s_delay_alu instid0(VALU_DEP_1) | instskip(SKIP_2) | instid1(VALU_DEP_1)
	v_rcp_f32_e32 v5, v3
	s_waitcnt_depctr 0xfff
	v_fma_f32 v6, -v3, v5, 1.0
	v_fmac_f32_e32 v5, v6, v5
	v_div_scale_f32 v6, vcc_lo, v1, s9, v1
	s_delay_alu instid0(VALU_DEP_1) | instskip(NEXT) | instid1(VALU_DEP_1)
	v_mul_f32_e32 v7, v6, v5
	v_fma_f32 v8, -v3, v7, v6
	s_delay_alu instid0(VALU_DEP_1) | instskip(NEXT) | instid1(VALU_DEP_1)
	v_fmac_f32_e32 v7, v8, v5
	v_fma_f32 v3, -v3, v7, v6
	s_delay_alu instid0(VALU_DEP_1) | instskip(NEXT) | instid1(VALU_DEP_1)
	v_div_fmas_f32 v3, v3, v5, v7
	v_div_fixup_f32 v1, v3, s9, v1
	s_and_saveexec_b32 s10, s7
	s_cbranch_execz .LBB41_155
.LBB41_144:                             ;   in Loop: Header=BB41_3 Depth=1
	v_mov_b32_e32 v5, v24
	s_mov_b32 s11, 0
	s_branch .LBB41_146
.LBB41_145:                             ;   in Loop: Header=BB41_146 Depth=2
	s_or_b32 exec_lo, exec_lo, s66
	v_add_nc_u32_e32 v5, 16, v5
	s_delay_alu instid0(VALU_DEP_1) | instskip(SKIP_1) | instid1(SALU_CYCLE_1)
	v_cmp_le_u32_e32 vcc_lo, s62, v5
	s_or_b32 s11, vcc_lo, s11
	s_and_not1_b32 exec_lo, exec_lo, s11
	s_cbranch_execz .LBB41_155
.LBB41_146:                             ;   Parent Loop BB41_3 Depth=1
                                        ; =>  This Loop Header: Depth=2
                                        ;       Child Loop BB41_149 Depth 3
                                        ;       Child Loop BB41_152 Depth 3
	s_mov_b32 s66, exec_lo
	s_delay_alu instid0(VALU_DEP_1)
	v_cmpx_gt_i32_e64 s49, v5
	s_cbranch_execz .LBB41_145
; %bb.147:                              ;   in Loop: Header=BB41_146 Depth=2
	v_ashrrev_i32_e32 v6, 31, v5
	s_mov_b32 s67, exec_lo
	s_delay_alu instid0(VALU_DEP_1) | instskip(NEXT) | instid1(VALU_DEP_1)
	v_lshlrev_b64 v[7:8], 2, v[5:6]
	v_add_co_u32 v9, vcc_lo, s20, v7
	s_delay_alu instid0(VALU_DEP_2)
	v_add_co_ci_u32_e32 v10, vcc_lo, s21, v8, vcc_lo
	v_add_co_u32 v11, vcc_lo, s22, v7
	v_add_co_ci_u32_e32 v12, vcc_lo, s23, v8, vcc_lo
	global_load_b32 v3, v[9:10], off
	global_load_b32 v10, v[11:12], off
	s_waitcnt vmcnt(1)
	v_add_nc_u32_e32 v9, v27, v3
	s_waitcnt vmcnt(0)
	v_subrev_nc_u32_e32 v3, s60, v10
	s_delay_alu instid0(VALU_DEP_1)
	v_cmpx_lt_i32_e64 v9, v3
	s_cbranch_execz .LBB41_150
; %bb.148:                              ;   in Loop: Header=BB41_146 Depth=2
	v_ashrrev_i32_e32 v10, 31, v9
	s_mov_b32 s68, 0
	s_delay_alu instid0(VALU_DEP_1) | instskip(NEXT) | instid1(VALU_DEP_1)
	v_lshlrev_b64 v[12:13], 3, v[9:10]
	v_add_co_u32 v10, vcc_lo, s52, v12
	s_delay_alu instid0(VALU_DEP_2)
	v_add_co_ci_u32_e32 v11, vcc_lo, s53, v13, vcc_lo
	v_add_co_u32 v12, vcc_lo, s26, v12
	v_add_co_ci_u32_e32 v13, vcc_lo, s27, v13, vcc_lo
	.p2align	6
.LBB41_149:                             ;   Parent Loop BB41_3 Depth=1
                                        ;     Parent Loop BB41_146 Depth=2
                                        ; =>    This Inner Loop Header: Depth=3
	global_load_b64 v[14:15], v[10:11], off
	v_add_nc_u32_e32 v9, 64, v9
	v_add_co_u32 v10, vcc_lo, 0x200, v10
	v_add_co_ci_u32_e32 v11, vcc_lo, 0, v11, vcc_lo
	s_delay_alu instid0(VALU_DEP_3) | instskip(SKIP_4) | instid1(VALU_DEP_1)
	v_cmp_ge_i32_e32 vcc_lo, v9, v3
	s_or_b32 s68, vcc_lo, s68
	s_waitcnt vmcnt(0)
	global_store_b64 v[12:13], v[14:15], off
	v_add_co_u32 v12, s9, 0x200, v12
	v_add_co_ci_u32_e64 v13, s9, 0, v13, s9
	s_and_not1_b32 exec_lo, exec_lo, s68
	s_cbranch_execnz .LBB41_149
.LBB41_150:                             ;   in Loop: Header=BB41_146 Depth=2
	s_or_b32 exec_lo, exec_lo, s67
	v_add_co_u32 v9, vcc_lo, s12, v7
	v_add_co_ci_u32_e32 v10, vcc_lo, s13, v8, vcc_lo
	v_add_co_u32 v7, vcc_lo, s14, v7
	v_add_co_ci_u32_e32 v8, vcc_lo, s15, v8, vcc_lo
	s_mov_b32 s67, exec_lo
	global_load_b32 v3, v[9:10], off
	global_load_b32 v8, v[7:8], off
	s_waitcnt vmcnt(1)
	v_add_nc_u32_e32 v7, v28, v3
	s_waitcnt vmcnt(0)
	v_subrev_nc_u32_e32 v3, s61, v8
	s_delay_alu instid0(VALU_DEP_1)
	v_cmpx_lt_i32_e64 v7, v3
	s_cbranch_execz .LBB41_153
; %bb.151:                              ;   in Loop: Header=BB41_146 Depth=2
	v_ashrrev_i32_e32 v8, 31, v7
	s_mov_b32 s68, 0
	s_delay_alu instid0(VALU_DEP_1) | instskip(NEXT) | instid1(VALU_DEP_1)
	v_lshlrev_b64 v[10:11], 3, v[7:8]
	v_add_co_u32 v8, vcc_lo, s50, v10
	s_delay_alu instid0(VALU_DEP_2)
	v_add_co_ci_u32_e32 v9, vcc_lo, s51, v11, vcc_lo
	v_add_co_u32 v10, vcc_lo, s18, v10
	v_add_co_ci_u32_e32 v11, vcc_lo, s19, v11, vcc_lo
	.p2align	6
.LBB41_152:                             ;   Parent Loop BB41_3 Depth=1
                                        ;     Parent Loop BB41_146 Depth=2
                                        ; =>    This Inner Loop Header: Depth=3
	global_load_b64 v[12:13], v[8:9], off
	v_add_nc_u32_e32 v7, 64, v7
	v_add_co_u32 v8, vcc_lo, 0x200, v8
	v_add_co_ci_u32_e32 v9, vcc_lo, 0, v9, vcc_lo
	s_delay_alu instid0(VALU_DEP_3) | instskip(SKIP_4) | instid1(VALU_DEP_1)
	v_cmp_ge_i32_e32 vcc_lo, v7, v3
	s_or_b32 s68, vcc_lo, s68
	s_waitcnt vmcnt(0)
	global_store_b64 v[10:11], v[12:13], off
	v_add_co_u32 v10, s9, 0x200, v10
	v_add_co_ci_u32_e64 v11, s9, 0, v11, s9
	s_and_not1_b32 exec_lo, exec_lo, s68
	s_cbranch_execnz .LBB41_152
.LBB41_153:                             ;   in Loop: Header=BB41_146 Depth=2
	s_or_b32 exec_lo, exec_lo, s67
	s_delay_alu instid0(SALU_CYCLE_1)
	s_and_b32 exec_lo, exec_lo, s8
	s_cbranch_execz .LBB41_145
; %bb.154:                              ;   in Loop: Header=BB41_146 Depth=2
	v_lshlrev_b64 v[6:7], 3, v[5:6]
	s_delay_alu instid0(VALU_DEP_1) | instskip(NEXT) | instid1(VALU_DEP_2)
	v_add_co_u32 v8, vcc_lo, s46, v6
	v_add_co_ci_u32_e32 v9, vcc_lo, s47, v7, vcc_lo
	v_add_co_u32 v6, vcc_lo, s44, v6
	v_add_co_ci_u32_e32 v7, vcc_lo, s45, v7, vcc_lo
	global_load_b64 v[8:9], v[8:9], off
	s_waitcnt vmcnt(0)
	global_store_b64 v[6:7], v[8:9], off
	s_branch .LBB41_145
.LBB41_155:                             ;   in Loop: Header=BB41_3 Depth=1
	s_or_b32 exec_lo, exec_lo, s10
	s_mov_b32 s10, -1
	s_and_b32 vcc_lo, exec_lo, s57
	s_mov_b32 s9, -1
	s_cbranch_vccz .LBB41_165
; %bb.156:                              ;   in Loop: Header=BB41_3 Depth=1
	s_and_b32 vcc_lo, exec_lo, s64
                                        ; implicit-def: $sgpr11
	s_cbranch_vccz .LBB41_162
; %bb.157:                              ;   in Loop: Header=BB41_3 Depth=1
	s_and_b32 vcc_lo, exec_lo, s63
                                        ; implicit-def: $sgpr11
	s_cbranch_vccz .LBB41_159
; %bb.158:                              ;   in Loop: Header=BB41_3 Depth=1
	v_cmp_ge_f32_e32 vcc_lo, s48, v1
	s_mov_b32 s9, 0
	s_and_b32 s11, vcc_lo, exec_lo
.LBB41_159:                             ;   in Loop: Header=BB41_3 Depth=1
	s_and_not1_b32 vcc_lo, exec_lo, s9
	s_cbranch_vccnz .LBB41_161
; %bb.160:                              ;   in Loop: Header=BB41_3 Depth=1
	v_cmp_ge_f32_e32 vcc_lo, s48, v2
	s_and_not1_b32 s9, s11, exec_lo
	s_and_b32 s11, vcc_lo, exec_lo
	s_delay_alu instid0(SALU_CYCLE_1)
	s_or_b32 s11, s9, s11
.LBB41_161:                             ;   in Loop: Header=BB41_3 Depth=1
	s_mov_b32 s9, 0
.LBB41_162:                             ;   in Loop: Header=BB41_3 Depth=1
	s_delay_alu instid0(SALU_CYCLE_1)
	s_and_not1_b32 vcc_lo, exec_lo, s9
	s_cbranch_vccnz .LBB41_164
; %bb.163:                              ;   in Loop: Header=BB41_3 Depth=1
	v_cmp_ge_f32_e32 vcc_lo, s48, v2
	v_cmp_ge_f32_e64 s9, s48, v1
	s_and_not1_b32 s11, s11, exec_lo
	s_delay_alu instid0(VALU_DEP_1) | instskip(NEXT) | instid1(SALU_CYCLE_1)
	s_and_b32 s9, vcc_lo, s9
	s_and_b32 s9, s9, exec_lo
	s_delay_alu instid0(SALU_CYCLE_1)
	s_or_b32 s11, s11, s9
.LBB41_164:                             ;   in Loop: Header=BB41_3 Depth=1
	s_delay_alu instid0(SALU_CYCLE_1)
	s_xor_b32 s9, s11, -1
.LBB41_165:                             ;   in Loop: Header=BB41_3 Depth=1
	v_mov_b32_e32 v3, s65
	s_and_saveexec_b32 s11, s9
	s_cbranch_execz .LBB41_2
; %bb.166:                              ;   in Loop: Header=BB41_3 Depth=1
	s_add_i32 s65, s65, 1
	v_mov_b32_e32 v3, s35
	s_cmp_eq_u32 s65, s35
	s_cselect_b32 s9, -1, 0
	s_delay_alu instid0(SALU_CYCLE_1)
	s_or_not1_b32 s10, s9, exec_lo
	s_branch .LBB41_2
.LBB41_167:
	s_or_b32 exec_lo, exec_lo, s58
.LBB41_168:
	s_delay_alu instid0(SALU_CYCLE_1) | instskip(NEXT) | instid1(SALU_CYCLE_1)
	s_or_b32 exec_lo, exec_lo, s34
	s_and_not1_b32 vcc_lo, exec_lo, s57
	s_cbranch_vccnz .LBB41_183
; %bb.169:
	v_or_b32_e32 v4, 32, v22
	v_xor_b32_e32 v5, 16, v22
	s_mov_b32 s2, exec_lo
	s_delay_alu instid0(VALU_DEP_2) | instskip(SKIP_1) | instid1(VALU_DEP_3)
	v_cmp_gt_i32_e32 vcc_lo, 32, v4
	v_cndmask_b32_e32 v4, v22, v4, vcc_lo
	v_cmp_gt_i32_e32 vcc_lo, 32, v5
	v_cndmask_b32_e32 v5, v22, v5, vcc_lo
	s_delay_alu instid0(VALU_DEP_1) | instskip(NEXT) | instid1(VALU_DEP_4)
	v_lshlrev_b32_e32 v5, 2, v5
	v_lshlrev_b32_e32 v4, 2, v4
	ds_bpermute_b32 v4, v4, v3
	s_waitcnt lgkmcnt(0)
	v_max_i32_e32 v3, v3, v4
	ds_bpermute_b32 v4, v5, v3
	v_xor_b32_e32 v5, 8, v22
	s_delay_alu instid0(VALU_DEP_1) | instskip(SKIP_1) | instid1(VALU_DEP_1)
	v_cmp_gt_i32_e32 vcc_lo, 32, v5
	v_cndmask_b32_e32 v5, v22, v5, vcc_lo
	v_lshlrev_b32_e32 v5, 2, v5
	s_waitcnt lgkmcnt(0)
	v_max_i32_e32 v3, v3, v4
	ds_bpermute_b32 v4, v5, v3
	v_xor_b32_e32 v5, 4, v22
	s_delay_alu instid0(VALU_DEP_1) | instskip(SKIP_1) | instid1(VALU_DEP_1)
	v_cmp_gt_i32_e32 vcc_lo, 32, v5
	v_cndmask_b32_e32 v5, v22, v5, vcc_lo
	v_lshlrev_b32_e32 v5, 2, v5
	;; [unrolled: 8-line block ×3, first 2 shown]
	s_waitcnt lgkmcnt(0)
	v_max_i32_e32 v3, v3, v4
	ds_bpermute_b32 v4, v5, v3
	v_xor_b32_e32 v5, 1, v22
	s_delay_alu instid0(VALU_DEP_1) | instskip(SKIP_3) | instid1(VALU_DEP_2)
	v_cmp_gt_i32_e32 vcc_lo, 32, v5
	v_cndmask_b32_e32 v5, v22, v5, vcc_lo
	s_waitcnt lgkmcnt(0)
	v_max_i32_e32 v3, v3, v4
	v_lshlrev_b32_e32 v4, 2, v5
	ds_bpermute_b32 v4, v4, v3
	v_cmpx_eq_u32_e32 63, v23
	s_cbranch_execz .LBB41_171
; %bb.170:
	v_lshlrev_b32_e32 v5, 2, v21
	s_waitcnt lgkmcnt(0)
	v_max_i32_e32 v3, v3, v4
	ds_store_b32 v5, v3 offset:64
.LBB41_171:
	s_or_b32 exec_lo, exec_lo, s2
	s_delay_alu instid0(SALU_CYCLE_1)
	s_mov_b32 s2, exec_lo
	s_waitcnt lgkmcnt(0)
	s_waitcnt_vscnt null, 0x0
	s_barrier
	buffer_gl0_inv
	v_cmpx_gt_u32_e32 8, v0
	s_cbranch_execz .LBB41_173
; %bb.172:
	ds_load_2addr_b32 v[3:4], v20 offset0:16 offset1:24
	s_waitcnt lgkmcnt(0)
	v_max_i32_e32 v3, v3, v4
	ds_store_b32 v20, v3 offset:64
.LBB41_173:
	s_or_b32 exec_lo, exec_lo, s2
	s_delay_alu instid0(SALU_CYCLE_1)
	s_mov_b32 s2, exec_lo
	s_waitcnt lgkmcnt(0)
	s_barrier
	buffer_gl0_inv
	v_cmpx_gt_u32_e32 4, v0
	s_cbranch_execz .LBB41_175
; %bb.174:
	ds_load_2addr_b32 v[3:4], v20 offset0:16 offset1:20
	s_waitcnt lgkmcnt(0)
	v_max_i32_e32 v3, v3, v4
	ds_store_b32 v20, v3 offset:64
.LBB41_175:
	s_or_b32 exec_lo, exec_lo, s2
	s_delay_alu instid0(SALU_CYCLE_1)
	s_mov_b32 s2, exec_lo
	s_waitcnt lgkmcnt(0)
	s_barrier
	buffer_gl0_inv
	v_cmpx_gt_u32_e32 2, v0
	s_cbranch_execz .LBB41_177
; %bb.176:
	ds_load_2addr_b32 v[3:4], v20 offset0:16 offset1:18
	s_waitcnt lgkmcnt(0)
	v_max_i32_e32 v3, v3, v4
	ds_store_b32 v20, v3 offset:64
.LBB41_177:
	s_or_b32 exec_lo, exec_lo, s2
	v_cmp_eq_u32_e32 vcc_lo, 0, v0
	s_waitcnt lgkmcnt(0)
	s_barrier
	buffer_gl0_inv
	s_and_saveexec_b32 s2, vcc_lo
	s_cbranch_execz .LBB41_179
; %bb.178:
	v_mov_b32_e32 v5, 0
	ds_load_b64 v[3:4], v5 offset:64
	s_waitcnt lgkmcnt(0)
	v_max_i32_e32 v3, v3, v4
	ds_store_b32 v5, v3 offset:64
.LBB41_179:
	s_or_b32 exec_lo, exec_lo, s2
	s_waitcnt lgkmcnt(0)
	s_barrier
	buffer_gl0_inv
	s_and_saveexec_b32 s2, vcc_lo
	s_cbranch_execz .LBB41_182
; %bb.180:
	v_mbcnt_lo_u32_b32 v3, exec_lo, 0
	s_delay_alu instid0(VALU_DEP_1)
	v_cmp_eq_u32_e32 vcc_lo, 0, v3
	s_and_b32 exec_lo, exec_lo, vcc_lo
	s_cbranch_execz .LBB41_182
; %bb.181:
	v_mov_b32_e32 v3, 0
	s_load_b64 s[0:1], s[0:1], 0x8
	ds_load_b32 v4, v3 offset:64
	s_waitcnt lgkmcnt(0)
	v_add_nc_u32_e32 v4, 1, v4
	global_atomic_max_i32 v3, v4, s[0:1]
.LBB41_182:
	s_or_b32 exec_lo, exec_lo, s2
.LBB41_183:
	v_cmp_eq_u32_e32 vcc_lo, 0, v0
	s_mov_b32 s2, 0
	s_and_b32 s0, vcc_lo, s56
	s_delay_alu instid0(SALU_CYCLE_1)
	s_and_saveexec_b32 s3, s0
	s_cbranch_execz .LBB41_188
; %bb.184:
	v_mov_b32_e32 v0, 0
	v_cmp_eq_f32_e64 s0, 0, v2
                                        ; implicit-def: $sgpr4
                                        ; implicit-def: $sgpr5
	global_load_b32 v3, v0, s[28:29] glc
	s_waitcnt vmcnt(0)
	v_cmp_eq_u32_e64 s6, 0x80000000, v3
	s_set_inst_prefetch_distance 0x1
	s_branch .LBB41_186
	.p2align	6
.LBB41_185:                             ;   in Loop: Header=BB41_186 Depth=1
	s_or_b32 exec_lo, exec_lo, s7
	s_delay_alu instid0(SALU_CYCLE_1) | instskip(NEXT) | instid1(SALU_CYCLE_1)
	s_and_b32 s1, exec_lo, s4
	s_or_b32 s2, s1, s2
	s_and_not1_b32 s1, s6, exec_lo
	s_and_b32 s6, s5, exec_lo
	s_delay_alu instid0(SALU_CYCLE_1)
	s_or_b32 s6, s1, s6
	s_and_not1_b32 exec_lo, exec_lo, s2
	s_cbranch_execz .LBB41_188
.LBB41_186:                             ; =>This Inner Loop Header: Depth=1
	v_cmp_lt_f32_e64 s1, v3, v2
	s_delay_alu instid0(VALU_DEP_2) | instskip(SKIP_2) | instid1(VALU_DEP_1)
	s_and_b32 s7, s0, s6
	s_and_not1_b32 s5, s5, exec_lo
	s_or_b32 s4, s4, exec_lo
	s_or_b32 s1, s1, s7
	s_delay_alu instid0(SALU_CYCLE_1)
	s_and_saveexec_b32 s7, s1
	s_cbranch_execz .LBB41_185
; %bb.187:                              ;   in Loop: Header=BB41_186 Depth=1
	global_atomic_cmpswap_b32 v4, v0, v[2:3], s[28:29] glc
	s_and_not1_b32 s5, s5, exec_lo
	s_and_not1_b32 s4, s4, exec_lo
	s_waitcnt vmcnt(0)
	v_cmp_eq_u32_e64 s1, v4, v3
	s_delay_alu instid0(VALU_DEP_1) | instskip(SKIP_1) | instid1(SALU_CYCLE_1)
	v_cndmask_b32_e64 v3, v4, v3, s1
	s_and_b32 s1, s1, exec_lo
	s_or_b32 s4, s4, s1
	s_delay_alu instid0(VALU_DEP_1) | instskip(SKIP_1) | instid1(VALU_DEP_2)
	v_cmp_class_f32_e64 s6, v3, 32
	v_mov_b32_e32 v3, v4
	s_and_b32 s6, s6, exec_lo
	s_delay_alu instid0(SALU_CYCLE_1)
	s_or_b32 s5, s5, s6
                                        ; implicit-def: $sgpr6
	s_branch .LBB41_185
.LBB41_188:
	s_set_inst_prefetch_distance 0x2
	s_or_b32 exec_lo, exec_lo, s3
	s_and_b32 s0, vcc_lo, s33
	s_delay_alu instid0(SALU_CYCLE_1)
	s_and_saveexec_b32 s1, s0
	s_cbranch_execz .LBB41_193
; %bb.189:
	v_mov_b32_e32 v0, 0
	v_cmp_eq_f32_e32 vcc_lo, 0, v1
	s_mov_b32 s1, 0
                                        ; implicit-def: $sgpr2
                                        ; implicit-def: $sgpr3
	global_load_b32 v2, v0, s[30:31] glc
	s_waitcnt vmcnt(0)
	v_cmp_eq_u32_e64 s4, 0x80000000, v2
	s_set_inst_prefetch_distance 0x1
	s_branch .LBB41_191
	.p2align	6
.LBB41_190:                             ;   in Loop: Header=BB41_191 Depth=1
	s_or_b32 exec_lo, exec_lo, s5
	s_delay_alu instid0(SALU_CYCLE_1) | instskip(NEXT) | instid1(SALU_CYCLE_1)
	s_and_b32 s0, exec_lo, s2
	s_or_b32 s1, s0, s1
	s_and_not1_b32 s0, s4, exec_lo
	s_and_b32 s4, s3, exec_lo
	s_delay_alu instid0(SALU_CYCLE_1)
	s_or_b32 s4, s0, s4
	s_and_not1_b32 exec_lo, exec_lo, s1
	s_cbranch_execz .LBB41_193
.LBB41_191:                             ; =>This Inner Loop Header: Depth=1
	v_cmp_lt_f32_e64 s0, v2, v1
	s_delay_alu instid0(VALU_DEP_2) | instskip(SKIP_2) | instid1(VALU_DEP_1)
	s_and_b32 s5, vcc_lo, s4
	s_and_not1_b32 s3, s3, exec_lo
	s_or_b32 s2, s2, exec_lo
	s_or_b32 s0, s0, s5
	s_delay_alu instid0(SALU_CYCLE_1)
	s_and_saveexec_b32 s5, s0
	s_cbranch_execz .LBB41_190
; %bb.192:                              ;   in Loop: Header=BB41_191 Depth=1
	global_atomic_cmpswap_b32 v3, v0, v[1:2], s[30:31] glc
	s_and_not1_b32 s3, s3, exec_lo
	s_and_not1_b32 s2, s2, exec_lo
	s_waitcnt vmcnt(0)
	v_cmp_eq_u32_e64 s0, v3, v2
	s_delay_alu instid0(VALU_DEP_1) | instskip(SKIP_1) | instid1(SALU_CYCLE_1)
	v_cndmask_b32_e64 v2, v3, v2, s0
	s_and_b32 s0, s0, exec_lo
	s_or_b32 s2, s2, s0
	s_delay_alu instid0(VALU_DEP_1) | instskip(SKIP_1) | instid1(VALU_DEP_2)
	v_cmp_class_f32_e64 s4, v2, 32
	v_mov_b32_e32 v2, v3
	s_and_b32 s4, s4, exec_lo
	s_delay_alu instid0(SALU_CYCLE_1)
	s_or_b32 s3, s3, s4
                                        ; implicit-def: $sgpr4
	s_branch .LBB41_190
.LBB41_193:
	s_set_inst_prefetch_distance 0x2
	s_nop 0
	s_sendmsg sendmsg(MSG_DEALLOC_VGPRS)
	s_endpgm
	.section	.rodata,"a",@progbits
	.p2align	6, 0x0
	.amdhsa_kernel _ZN9rocsparseL6kernelILi1024ELi64E21rocsparse_complex_numIfEiiEEvbbbT3_PS3_NS_15floating_traitsIT1_E6data_tES3_T2_PKS9_SB_PKS3_PKS6_21rocsparse_index_base_SB_SB_SD_PS6_SH_SG_SB_SB_SD_SH_SH_SG_SH_SH_PS8_SI_PKS8_
		.amdhsa_group_segment_fixed_size 128
		.amdhsa_private_segment_fixed_size 0
		.amdhsa_kernarg_size 208
		.amdhsa_user_sgpr_count 15
		.amdhsa_user_sgpr_dispatch_ptr 0
		.amdhsa_user_sgpr_queue_ptr 0
		.amdhsa_user_sgpr_kernarg_segment_ptr 1
		.amdhsa_user_sgpr_dispatch_id 0
		.amdhsa_user_sgpr_private_segment_size 0
		.amdhsa_wavefront_size32 1
		.amdhsa_uses_dynamic_stack 0
		.amdhsa_enable_private_segment 0
		.amdhsa_system_sgpr_workgroup_id_x 1
		.amdhsa_system_sgpr_workgroup_id_y 0
		.amdhsa_system_sgpr_workgroup_id_z 0
		.amdhsa_system_sgpr_workgroup_info 0
		.amdhsa_system_vgpr_workitem_id 0
		.amdhsa_next_free_vgpr 44
		.amdhsa_next_free_sgpr 79
		.amdhsa_reserve_vcc 1
		.amdhsa_float_round_mode_32 0
		.amdhsa_float_round_mode_16_64 0
		.amdhsa_float_denorm_mode_32 3
		.amdhsa_float_denorm_mode_16_64 3
		.amdhsa_dx10_clamp 1
		.amdhsa_ieee_mode 1
		.amdhsa_fp16_overflow 0
		.amdhsa_workgroup_processor_mode 1
		.amdhsa_memory_ordered 1
		.amdhsa_forward_progress 0
		.amdhsa_shared_vgpr_count 0
		.amdhsa_exception_fp_ieee_invalid_op 0
		.amdhsa_exception_fp_denorm_src 0
		.amdhsa_exception_fp_ieee_div_zero 0
		.amdhsa_exception_fp_ieee_overflow 0
		.amdhsa_exception_fp_ieee_underflow 0
		.amdhsa_exception_fp_ieee_inexact 0
		.amdhsa_exception_int_div_zero 0
	.end_amdhsa_kernel
	.section	.text._ZN9rocsparseL6kernelILi1024ELi64E21rocsparse_complex_numIfEiiEEvbbbT3_PS3_NS_15floating_traitsIT1_E6data_tES3_T2_PKS9_SB_PKS3_PKS6_21rocsparse_index_base_SB_SB_SD_PS6_SH_SG_SB_SB_SD_SH_SH_SG_SH_SH_PS8_SI_PKS8_,"axG",@progbits,_ZN9rocsparseL6kernelILi1024ELi64E21rocsparse_complex_numIfEiiEEvbbbT3_PS3_NS_15floating_traitsIT1_E6data_tES3_T2_PKS9_SB_PKS3_PKS6_21rocsparse_index_base_SB_SB_SD_PS6_SH_SG_SB_SB_SD_SH_SH_SG_SH_SH_PS8_SI_PKS8_,comdat
.Lfunc_end41:
	.size	_ZN9rocsparseL6kernelILi1024ELi64E21rocsparse_complex_numIfEiiEEvbbbT3_PS3_NS_15floating_traitsIT1_E6data_tES3_T2_PKS9_SB_PKS3_PKS6_21rocsparse_index_base_SB_SB_SD_PS6_SH_SG_SB_SB_SD_SH_SH_SG_SH_SH_PS8_SI_PKS8_, .Lfunc_end41-_ZN9rocsparseL6kernelILi1024ELi64E21rocsparse_complex_numIfEiiEEvbbbT3_PS3_NS_15floating_traitsIT1_E6data_tES3_T2_PKS9_SB_PKS3_PKS6_21rocsparse_index_base_SB_SB_SD_PS6_SH_SG_SB_SB_SD_SH_SH_SG_SH_SH_PS8_SI_PKS8_
                                        ; -- End function
	.section	.AMDGPU.csdata,"",@progbits
; Kernel info:
; codeLenInByte = 9840
; NumSgprs: 81
; NumVgprs: 44
; ScratchSize: 0
; MemoryBound: 0
; FloatMode: 240
; IeeeMode: 1
; LDSByteSize: 128 bytes/workgroup (compile time only)
; SGPRBlocks: 10
; VGPRBlocks: 5
; NumSGPRsForWavesPerEU: 81
; NumVGPRsForWavesPerEU: 44
; Occupancy: 16
; WaveLimiterHint : 1
; COMPUTE_PGM_RSRC2:SCRATCH_EN: 0
; COMPUTE_PGM_RSRC2:USER_SGPR: 15
; COMPUTE_PGM_RSRC2:TRAP_HANDLER: 0
; COMPUTE_PGM_RSRC2:TGID_X_EN: 1
; COMPUTE_PGM_RSRC2:TGID_Y_EN: 0
; COMPUTE_PGM_RSRC2:TGID_Z_EN: 0
; COMPUTE_PGM_RSRC2:TIDIG_COMP_CNT: 0
	.section	.text._ZN9rocsparseL14kernel_freerunILi1024ELi1E21rocsparse_complex_numIdEiiEEvT3_S3_T2_PKS4_S6_PKS3_PKT1_21rocsparse_index_base_S6_S6_S8_PS9_SD_SC_S6_S6_S8_SD_SD_SC_SD_SD_,"axG",@progbits,_ZN9rocsparseL14kernel_freerunILi1024ELi1E21rocsparse_complex_numIdEiiEEvT3_S3_T2_PKS4_S6_PKS3_PKT1_21rocsparse_index_base_S6_S6_S8_PS9_SD_SC_S6_S6_S8_SD_SD_SC_SD_SD_,comdat
	.globl	_ZN9rocsparseL14kernel_freerunILi1024ELi1E21rocsparse_complex_numIdEiiEEvT3_S3_T2_PKS4_S6_PKS3_PKT1_21rocsparse_index_base_S6_S6_S8_PS9_SD_SC_S6_S6_S8_SD_SD_SC_SD_SD_ ; -- Begin function _ZN9rocsparseL14kernel_freerunILi1024ELi1E21rocsparse_complex_numIdEiiEEvT3_S3_T2_PKS4_S6_PKS3_PKT1_21rocsparse_index_base_S6_S6_S8_PS9_SD_SC_S6_S6_S8_SD_SD_SC_SD_SD_
	.p2align	8
	.type	_ZN9rocsparseL14kernel_freerunILi1024ELi1E21rocsparse_complex_numIdEiiEEvT3_S3_T2_PKS4_S6_PKS3_PKT1_21rocsparse_index_base_S6_S6_S8_PS9_SD_SC_S6_S6_S8_SD_SD_SC_SD_SD_,@function
_ZN9rocsparseL14kernel_freerunILi1024ELi1E21rocsparse_complex_numIdEiiEEvT3_S3_T2_PKS4_S6_PKS3_PKT1_21rocsparse_index_base_S6_S6_S8_PS9_SD_SC_S6_S6_S8_SD_SD_SC_SD_SD_: ; @_ZN9rocsparseL14kernel_freerunILi1024ELi1E21rocsparse_complex_numIdEiiEEvT3_S3_T2_PKS4_S6_PKS3_PKT1_21rocsparse_index_base_S6_S6_S8_PS9_SD_SC_S6_S6_S8_SD_SD_SC_SD_SD_
; %bb.0:
	s_load_b64 s[6:7], s[0:1], 0x0
	s_lshl_b32 s39, s15, 10
	s_mov_b32 s5, 0
	v_or_b32_e32 v8, s39, v0
	s_waitcnt lgkmcnt(0)
	s_delay_alu instid0(VALU_DEP_1) | instskip(SKIP_2) | instid1(SALU_CYCLE_1)
	v_cmp_gt_i32_e32 vcc_lo, s7, v8
	s_cmp_gt_i32 s6, 0
	s_cselect_b32 s2, -1, 0
	s_and_b32 s2, vcc_lo, s2
	s_delay_alu instid0(SALU_CYCLE_1)
	s_and_saveexec_b32 s3, s2
	s_cbranch_execz .LBB42_68
; %bb.1:
	s_clause 0x1
	s_load_b256 s[8:15], s[0:1], 0x38
	s_load_b256 s[16:23], s[0:1], 0x10
	v_ashrrev_i32_e32 v9, 31, v8
	s_addk_i32 s39, 0x400
	v_mov_b32_e32 v11, 0
	s_delay_alu instid0(VALU_DEP_2) | instskip(SKIP_1) | instid1(VALU_DEP_1)
	v_lshlrev_b64 v[0:1], 2, v[8:9]
	s_waitcnt lgkmcnt(0)
	v_add_co_u32 v2, vcc_lo, s8, v0
	s_delay_alu instid0(VALU_DEP_2)
	v_add_co_ci_u32_e32 v3, vcc_lo, s9, v1, vcc_lo
	v_add_co_u32 v4, vcc_lo, s10, v0
	v_add_co_ci_u32_e32 v5, vcc_lo, s11, v1, vcc_lo
	global_load_b32 v6, v[2:3], off
	v_add_co_u32 v2, vcc_lo, s16, v0
	v_add_co_ci_u32_e32 v3, vcc_lo, s17, v1, vcc_lo
	v_add_co_u32 v0, vcc_lo, s18, v0
	v_add_co_ci_u32_e32 v1, vcc_lo, s19, v1, vcc_lo
	global_load_b32 v4, v[4:5], off
	global_load_b32 v2, v[2:3], off
	;; [unrolled: 1-line block ×3, first 2 shown]
	s_clause 0x6
	s_load_b32 s33, s[0:1], 0x60
	s_load_b32 s38, s[0:1], 0x30
	s_load_b64 s[34:35], s[0:1], 0x58
	s_load_b128 s[16:19], s[0:1], 0x98
	s_load_b256 s[24:31], s[0:1], 0x68
	s_load_b64 s[36:37], s[0:1], 0x88
	s_load_b32 s40, s[0:1], 0x90
	v_cmp_gt_u32_e64 s0, s39, v8
	s_waitcnt vmcnt(3) lgkmcnt(0)
	v_subrev_nc_u32_e32 v9, s33, v6
	s_delay_alu instid0(VALU_DEP_1)
	v_ashrrev_i32_e32 v10, 31, v9
	s_waitcnt vmcnt(2)
	v_sub_nc_u32_e32 v25, v4, v6
	s_waitcnt vmcnt(1)
	v_subrev_nc_u32_e32 v26, s38, v2
	v_lshlrev_b64 v[0:1], 2, v[9:10]
	s_waitcnt vmcnt(0)
	v_subrev_nc_u32_e32 v27, s38, v3
	v_cmp_lt_i32_e64 s1, v2, v3
	v_lshlrev_b64 v[2:3], 4, v[9:10]
	v_cmp_lt_i32_e64 s2, 0, v25
	v_add_co_u32 v28, vcc_lo, s12, v0
	v_add_co_ci_u32_e32 v29, vcc_lo, s13, v1, vcc_lo
	s_delay_alu instid0(VALU_DEP_4)
	v_add_co_u32 v30, vcc_lo, s14, v2
	v_add_co_ci_u32_e32 v31, vcc_lo, s15, v3, vcc_lo
	s_branch .LBB42_3
.LBB42_2:                               ;   in Loop: Header=BB42_3 Depth=1
	s_or_b32 exec_lo, exec_lo, s4
	s_add_i32 s5, s5, 1
	s_delay_alu instid0(SALU_CYCLE_1)
	s_cmp_eq_u32 s5, s6
	s_cbranch_scc1 .LBB42_68
.LBB42_3:                               ; =>This Loop Header: Depth=1
                                        ;     Child Loop BB42_6 Depth 2
                                        ;       Child Loop BB42_10 Depth 3
                                        ;       Child Loop BB42_40 Depth 3
	;; [unrolled: 1-line block ×3, first 2 shown]
                                        ;     Child Loop BB42_61 Depth 2
                                        ;       Child Loop BB42_64 Depth 3
                                        ;       Child Loop BB42_67 Depth 3
	s_and_saveexec_b32 s41, s1
	s_cbranch_execz .LBB42_57
; %bb.4:                                ;   in Loop: Header=BB42_3 Depth=1
	v_mov_b32_e32 v12, v26
	s_mov_b32 s42, 0
	s_branch .LBB42_6
.LBB42_5:                               ;   in Loop: Header=BB42_6 Depth=2
	s_or_b32 exec_lo, exec_lo, s4
	v_add_nc_u32_e32 v12, 1, v12
	s_delay_alu instid0(VALU_DEP_1) | instskip(SKIP_1) | instid1(SALU_CYCLE_1)
	v_cmp_ge_i32_e32 vcc_lo, v12, v27
	s_or_b32 s42, vcc_lo, s42
	s_and_not1_b32 exec_lo, exec_lo, s42
	s_cbranch_execz .LBB42_57
.LBB42_6:                               ;   Parent Loop BB42_3 Depth=1
                                        ; =>  This Loop Header: Depth=2
                                        ;       Child Loop BB42_10 Depth 3
                                        ;       Child Loop BB42_40 Depth 3
	;; [unrolled: 1-line block ×3, first 2 shown]
	s_delay_alu instid0(VALU_DEP_1) | instskip(SKIP_2) | instid1(VALU_DEP_3)
	v_ashrrev_i32_e32 v13, 31, v12
	v_mov_b32_e32 v18, 0
	v_mov_b32_e32 v10, 0
	v_lshlrev_b64 v[0:1], 2, v[12:13]
	s_delay_alu instid0(VALU_DEP_1) | instskip(NEXT) | instid1(VALU_DEP_2)
	v_add_co_u32 v0, vcc_lo, s20, v0
	v_add_co_ci_u32_e32 v1, vcc_lo, s21, v1, vcc_lo
	global_load_b32 v0, v[0:1], off
	s_waitcnt vmcnt(0)
	v_subrev_nc_u32_e32 v14, s38, v0
	s_delay_alu instid0(VALU_DEP_1) | instskip(NEXT) | instid1(VALU_DEP_1)
	v_ashrrev_i32_e32 v15, 31, v14
	v_lshlrev_b64 v[0:1], 2, v[14:15]
	s_delay_alu instid0(VALU_DEP_1) | instskip(NEXT) | instid1(VALU_DEP_2)
	v_add_co_u32 v2, vcc_lo, s24, v0
	v_add_co_ci_u32_e32 v3, vcc_lo, s25, v1, vcc_lo
	v_add_co_u32 v0, vcc_lo, s26, v0
	v_add_co_ci_u32_e32 v1, vcc_lo, s27, v1, vcc_lo
	global_load_b32 v4, v[2:3], off
	global_load_b32 v5, v[0:1], off
	v_mov_b32_e32 v0, 0
	v_mov_b32_e32 v1, 0
	s_delay_alu instid0(VALU_DEP_1)
	v_dual_mov_b32 v3, v1 :: v_dual_mov_b32 v2, v0
	s_waitcnt vmcnt(1)
	v_subrev_nc_u32_e32 v16, s40, v4
	s_waitcnt vmcnt(0)
	v_sub_nc_u32_e32 v32, v5, v4
	s_and_saveexec_b32 s4, s2
	s_cbranch_execz .LBB42_14
; %bb.7:                                ;   in Loop: Header=BB42_6 Depth=2
	v_ashrrev_i32_e32 v17, 31, v16
	v_mov_b32_e32 v0, 0
	v_dual_mov_b32 v18, 0 :: v_dual_mov_b32 v1, 0
	s_mov_b32 s43, 0
	s_delay_alu instid0(VALU_DEP_3) | instskip(SKIP_1) | instid1(VALU_DEP_3)
	v_lshlrev_b64 v[2:3], 2, v[16:17]
	v_lshlrev_b64 v[6:7], 4, v[16:17]
	v_mov_b32_e32 v10, v18
                                        ; implicit-def: $sgpr44
	s_delay_alu instid0(VALU_DEP_3) | instskip(NEXT) | instid1(VALU_DEP_4)
	v_add_co_u32 v4, vcc_lo, s28, v2
	v_add_co_ci_u32_e32 v5, vcc_lo, s29, v3, vcc_lo
	v_mov_b32_e32 v3, v1
	v_add_co_u32 v6, vcc_lo, s30, v6
	v_add_co_ci_u32_e32 v7, vcc_lo, s31, v7, vcc_lo
	v_mov_b32_e32 v2, v0
	s_branch .LBB42_10
.LBB42_8:                               ;   in Loop: Header=BB42_10 Depth=3
	s_or_b32 exec_lo, exec_lo, s3
	v_cmp_le_i32_e32 vcc_lo, v17, v20
	v_cmp_ge_i32_e64 s3, v17, v20
	v_add_co_ci_u32_e32 v10, vcc_lo, 0, v10, vcc_lo
	s_delay_alu instid0(VALU_DEP_2) | instskip(SKIP_1) | instid1(VALU_DEP_2)
	v_add_co_ci_u32_e64 v18, s3, 0, v18, s3
	s_and_not1_b32 s3, s44, exec_lo
	v_cmp_ge_i32_e32 vcc_lo, v10, v25
	s_and_b32 s44, vcc_lo, exec_lo
	s_delay_alu instid0(SALU_CYCLE_1)
	s_or_b32 s44, s3, s44
.LBB42_9:                               ;   in Loop: Header=BB42_10 Depth=3
	s_or_b32 exec_lo, exec_lo, s45
	s_delay_alu instid0(SALU_CYCLE_1) | instskip(NEXT) | instid1(SALU_CYCLE_1)
	s_and_b32 s3, exec_lo, s44
	s_or_b32 s43, s3, s43
	s_delay_alu instid0(SALU_CYCLE_1)
	s_and_not1_b32 exec_lo, exec_lo, s43
	s_cbranch_execz .LBB42_13
.LBB42_10:                              ;   Parent Loop BB42_3 Depth=1
                                        ;     Parent Loop BB42_6 Depth=2
                                        ; =>    This Inner Loop Header: Depth=3
	s_or_b32 s44, s44, exec_lo
	s_mov_b32 s45, exec_lo
	v_cmpx_lt_i32_e64 v18, v32
	s_cbranch_execz .LBB42_9
; %bb.11:                               ;   in Loop: Header=BB42_10 Depth=3
	v_mov_b32_e32 v19, v11
	v_lshlrev_b64 v[20:21], 2, v[10:11]
	s_mov_b32 s3, exec_lo
	s_delay_alu instid0(VALU_DEP_2) | instskip(NEXT) | instid1(VALU_DEP_2)
	v_lshlrev_b64 v[22:23], 2, v[18:19]
	v_add_co_u32 v20, vcc_lo, v28, v20
	s_delay_alu instid0(VALU_DEP_3) | instskip(NEXT) | instid1(VALU_DEP_3)
	v_add_co_ci_u32_e32 v21, vcc_lo, v29, v21, vcc_lo
	v_add_co_u32 v22, vcc_lo, v4, v22
	s_delay_alu instid0(VALU_DEP_4)
	v_add_co_ci_u32_e32 v23, vcc_lo, v5, v23, vcc_lo
	global_load_b32 v17, v[20:21], off
	global_load_b32 v20, v[22:23], off
	s_waitcnt vmcnt(1)
	v_subrev_nc_u32_e32 v17, s33, v17
	s_waitcnt vmcnt(0)
	v_subrev_nc_u32_e32 v20, s40, v20
	s_delay_alu instid0(VALU_DEP_1)
	v_cmpx_eq_u32_e64 v17, v20
	s_cbranch_execz .LBB42_8
; %bb.12:                               ;   in Loop: Header=BB42_10 Depth=3
	v_lshlrev_b64 v[21:22], 4, v[10:11]
	v_lshlrev_b64 v[23:24], 4, v[18:19]
	s_delay_alu instid0(VALU_DEP_2) | instskip(NEXT) | instid1(VALU_DEP_3)
	v_add_co_u32 v21, vcc_lo, v30, v21
	v_add_co_ci_u32_e32 v22, vcc_lo, v31, v22, vcc_lo
	s_delay_alu instid0(VALU_DEP_3) | instskip(NEXT) | instid1(VALU_DEP_4)
	v_add_co_u32 v33, vcc_lo, v6, v23
	v_add_co_ci_u32_e32 v34, vcc_lo, v7, v24, vcc_lo
	global_load_b128 v[21:24], v[21:22], off
	global_load_b128 v[33:36], v[33:34], off
	s_waitcnt vmcnt(0)
	v_fma_f64 v[0:1], v[21:22], v[33:34], v[0:1]
	v_fma_f64 v[2:3], v[23:24], v[33:34], v[2:3]
	s_delay_alu instid0(VALU_DEP_2) | instskip(NEXT) | instid1(VALU_DEP_2)
	v_fma_f64 v[0:1], -v[23:24], v[35:36], v[0:1]
	v_fma_f64 v[2:3], v[21:22], v[35:36], v[2:3]
	s_branch .LBB42_8
.LBB42_13:                              ;   in Loop: Header=BB42_6 Depth=2
	s_or_b32 exec_lo, exec_lo, s43
.LBB42_14:                              ;   in Loop: Header=BB42_6 Depth=2
	s_delay_alu instid0(SALU_CYCLE_1) | instskip(SKIP_3) | instid1(VALU_DEP_2)
	s_or_b32 exec_lo, exec_lo, s4
	v_lshlrev_b64 v[4:5], 4, v[12:13]
	v_cmp_le_i32_e64 s3, v8, v14
	s_mov_b32 s4, exec_lo
	v_add_co_u32 v4, vcc_lo, s22, v4
	s_delay_alu instid0(VALU_DEP_3)
	v_add_co_ci_u32_e32 v5, vcc_lo, s23, v5, vcc_lo
	global_load_b128 v[4:7], v[4:5], off
	s_waitcnt vmcnt(0)
	v_add_f64 v[0:1], v[4:5], -v[0:1]
	v_add_f64 v[2:3], v[6:7], -v[2:3]
	v_cmpx_gt_i32_e64 v8, v14
	s_cbranch_execz .LBB42_24
; %bb.15:                               ;   in Loop: Header=BB42_6 Depth=2
	v_lshlrev_b64 v[4:5], 4, v[14:15]
	s_mov_b32 s43, exec_lo
                                        ; implicit-def: $vgpr23_vgpr24
	s_delay_alu instid0(VALU_DEP_1) | instskip(NEXT) | instid1(VALU_DEP_2)
	v_add_co_u32 v4, vcc_lo, s16, v4
	v_add_co_ci_u32_e32 v5, vcc_lo, s17, v5, vcc_lo
	global_load_b128 v[4:7], v[4:5], off
	s_waitcnt vmcnt(0)
	v_cmp_gt_f64_e32 vcc_lo, 0, v[4:5]
	v_xor_b32_e32 v13, 0x80000000, v5
	v_mov_b32_e32 v19, v4
	v_xor_b32_e32 v17, 0x80000000, v7
	s_delay_alu instid0(VALU_DEP_3) | instskip(SKIP_1) | instid1(VALU_DEP_3)
	v_dual_mov_b32 v21, v6 :: v_dual_cndmask_b32 v20, v5, v13
	v_cmp_gt_f64_e32 vcc_lo, 0, v[6:7]
	v_cndmask_b32_e32 v22, v7, v17, vcc_lo
	s_delay_alu instid0(VALU_DEP_1)
	v_cmpx_ngt_f64_e32 v[19:20], v[21:22]
	s_xor_b32 s43, exec_lo, s43
	s_cbranch_execz .LBB42_19
; %bb.16:                               ;   in Loop: Header=BB42_6 Depth=2
	v_mov_b32_e32 v23, 0
	v_mov_b32_e32 v24, 0
	s_mov_b32 s44, exec_lo
	v_cmpx_neq_f64_e32 0, v[6:7]
	s_cbranch_execz .LBB42_18
; %bb.17:                               ;   in Loop: Header=BB42_6 Depth=2
	v_div_scale_f64 v[23:24], null, v[21:22], v[21:22], v[19:20]
	v_div_scale_f64 v[37:38], vcc_lo, v[19:20], v[21:22], v[19:20]
	s_delay_alu instid0(VALU_DEP_2) | instskip(SKIP_2) | instid1(VALU_DEP_1)
	v_rcp_f64_e32 v[33:34], v[23:24]
	s_waitcnt_depctr 0xfff
	v_fma_f64 v[35:36], -v[23:24], v[33:34], 1.0
	v_fma_f64 v[33:34], v[33:34], v[35:36], v[33:34]
	s_delay_alu instid0(VALU_DEP_1) | instskip(NEXT) | instid1(VALU_DEP_1)
	v_fma_f64 v[35:36], -v[23:24], v[33:34], 1.0
	v_fma_f64 v[33:34], v[33:34], v[35:36], v[33:34]
	s_delay_alu instid0(VALU_DEP_1) | instskip(NEXT) | instid1(VALU_DEP_1)
	v_mul_f64 v[35:36], v[37:38], v[33:34]
	v_fma_f64 v[23:24], -v[23:24], v[35:36], v[37:38]
	s_delay_alu instid0(VALU_DEP_1) | instskip(NEXT) | instid1(VALU_DEP_1)
	v_div_fmas_f64 v[23:24], v[23:24], v[33:34], v[35:36]
	v_div_fixup_f64 v[19:20], v[23:24], v[21:22], v[19:20]
	s_delay_alu instid0(VALU_DEP_1) | instskip(NEXT) | instid1(VALU_DEP_1)
	v_fma_f64 v[19:20], v[19:20], v[19:20], 1.0
	v_cmp_gt_f64_e32 vcc_lo, 0x10000000, v[19:20]
	v_cndmask_b32_e64 v13, 0, 1, vcc_lo
	s_delay_alu instid0(VALU_DEP_1) | instskip(NEXT) | instid1(VALU_DEP_1)
	v_lshlrev_b32_e32 v13, 8, v13
	v_ldexp_f64 v[19:20], v[19:20], v13
	v_cndmask_b32_e64 v13, 0, 0xffffff80, vcc_lo
	s_delay_alu instid0(VALU_DEP_2) | instskip(SKIP_4) | instid1(VALU_DEP_1)
	v_rsq_f64_e32 v[23:24], v[19:20]
	v_cmp_class_f64_e64 vcc_lo, v[19:20], 0x260
	s_waitcnt_depctr 0xfff
	v_mul_f64 v[33:34], v[19:20], v[23:24]
	v_mul_f64 v[23:24], v[23:24], 0.5
	v_fma_f64 v[35:36], -v[23:24], v[33:34], 0.5
	s_delay_alu instid0(VALU_DEP_1) | instskip(SKIP_1) | instid1(VALU_DEP_2)
	v_fma_f64 v[33:34], v[33:34], v[35:36], v[33:34]
	v_fma_f64 v[23:24], v[23:24], v[35:36], v[23:24]
	v_fma_f64 v[35:36], -v[33:34], v[33:34], v[19:20]
	s_delay_alu instid0(VALU_DEP_1) | instskip(NEXT) | instid1(VALU_DEP_1)
	v_fma_f64 v[33:34], v[35:36], v[23:24], v[33:34]
	v_fma_f64 v[35:36], -v[33:34], v[33:34], v[19:20]
	s_delay_alu instid0(VALU_DEP_1) | instskip(NEXT) | instid1(VALU_DEP_1)
	v_fma_f64 v[23:24], v[35:36], v[23:24], v[33:34]
	v_ldexp_f64 v[23:24], v[23:24], v13
	s_delay_alu instid0(VALU_DEP_1) | instskip(NEXT) | instid1(VALU_DEP_1)
	v_dual_cndmask_b32 v20, v24, v20 :: v_dual_cndmask_b32 v19, v23, v19
	v_mul_f64 v[23:24], v[21:22], v[19:20]
.LBB42_18:                              ;   in Loop: Header=BB42_6 Depth=2
	s_or_b32 exec_lo, exec_lo, s44
                                        ; implicit-def: $vgpr19_vgpr20
                                        ; implicit-def: $vgpr21_vgpr22
.LBB42_19:                              ;   in Loop: Header=BB42_6 Depth=2
	s_and_not1_saveexec_b32 s43, s43
	s_cbranch_execz .LBB42_21
; %bb.20:                               ;   in Loop: Header=BB42_6 Depth=2
	v_div_scale_f64 v[23:24], null, v[19:20], v[19:20], v[21:22]
	v_div_scale_f64 v[37:38], vcc_lo, v[21:22], v[19:20], v[21:22]
	s_delay_alu instid0(VALU_DEP_2) | instskip(SKIP_2) | instid1(VALU_DEP_1)
	v_rcp_f64_e32 v[33:34], v[23:24]
	s_waitcnt_depctr 0xfff
	v_fma_f64 v[35:36], -v[23:24], v[33:34], 1.0
	v_fma_f64 v[33:34], v[33:34], v[35:36], v[33:34]
	s_delay_alu instid0(VALU_DEP_1) | instskip(NEXT) | instid1(VALU_DEP_1)
	v_fma_f64 v[35:36], -v[23:24], v[33:34], 1.0
	v_fma_f64 v[33:34], v[33:34], v[35:36], v[33:34]
	s_delay_alu instid0(VALU_DEP_1) | instskip(NEXT) | instid1(VALU_DEP_1)
	v_mul_f64 v[35:36], v[37:38], v[33:34]
	v_fma_f64 v[23:24], -v[23:24], v[35:36], v[37:38]
	s_delay_alu instid0(VALU_DEP_1) | instskip(NEXT) | instid1(VALU_DEP_1)
	v_div_fmas_f64 v[23:24], v[23:24], v[33:34], v[35:36]
	v_div_fixup_f64 v[21:22], v[23:24], v[19:20], v[21:22]
	s_delay_alu instid0(VALU_DEP_1) | instskip(NEXT) | instid1(VALU_DEP_1)
	v_fma_f64 v[21:22], v[21:22], v[21:22], 1.0
	v_cmp_gt_f64_e32 vcc_lo, 0x10000000, v[21:22]
	v_cndmask_b32_e64 v13, 0, 1, vcc_lo
	s_delay_alu instid0(VALU_DEP_1) | instskip(NEXT) | instid1(VALU_DEP_1)
	v_lshlrev_b32_e32 v13, 8, v13
	v_ldexp_f64 v[21:22], v[21:22], v13
	v_cndmask_b32_e64 v13, 0, 0xffffff80, vcc_lo
	s_delay_alu instid0(VALU_DEP_2) | instskip(SKIP_4) | instid1(VALU_DEP_1)
	v_rsq_f64_e32 v[23:24], v[21:22]
	v_cmp_class_f64_e64 vcc_lo, v[21:22], 0x260
	s_waitcnt_depctr 0xfff
	v_mul_f64 v[33:34], v[21:22], v[23:24]
	v_mul_f64 v[23:24], v[23:24], 0.5
	v_fma_f64 v[35:36], -v[23:24], v[33:34], 0.5
	s_delay_alu instid0(VALU_DEP_1) | instskip(SKIP_1) | instid1(VALU_DEP_2)
	v_fma_f64 v[33:34], v[33:34], v[35:36], v[33:34]
	v_fma_f64 v[23:24], v[23:24], v[35:36], v[23:24]
	v_fma_f64 v[35:36], -v[33:34], v[33:34], v[21:22]
	s_delay_alu instid0(VALU_DEP_1) | instskip(NEXT) | instid1(VALU_DEP_1)
	v_fma_f64 v[33:34], v[35:36], v[23:24], v[33:34]
	v_fma_f64 v[35:36], -v[33:34], v[33:34], v[21:22]
	s_delay_alu instid0(VALU_DEP_1) | instskip(NEXT) | instid1(VALU_DEP_1)
	v_fma_f64 v[23:24], v[35:36], v[23:24], v[33:34]
	v_ldexp_f64 v[23:24], v[23:24], v13
	s_delay_alu instid0(VALU_DEP_1) | instskip(NEXT) | instid1(VALU_DEP_1)
	v_dual_cndmask_b32 v22, v24, v22 :: v_dual_cndmask_b32 v21, v23, v21
	v_mul_f64 v[23:24], v[19:20], v[21:22]
.LBB42_21:                              ;   in Loop: Header=BB42_6 Depth=2
	s_or_b32 exec_lo, exec_lo, s43
	v_mov_b32_e32 v19, 0
	v_mov_b32_e32 v20, 0
	s_mov_b32 s43, exec_lo
	s_delay_alu instid0(VALU_DEP_1) | instskip(NEXT) | instid1(VALU_DEP_4)
	v_dual_mov_b32 v22, v20 :: v_dual_mov_b32 v21, v19
	v_cmpx_lt_f64_e32 0, v[23:24]
	s_cbranch_execz .LBB42_23
; %bb.22:                               ;   in Loop: Header=BB42_6 Depth=2
	v_mul_f64 v[19:20], v[6:7], v[6:7]
	s_delay_alu instid0(VALU_DEP_1) | instskip(NEXT) | instid1(VALU_DEP_1)
	v_fma_f64 v[19:20], v[4:5], v[4:5], v[19:20]
	v_div_scale_f64 v[21:22], null, v[19:20], v[19:20], 1.0
	v_div_scale_f64 v[35:36], vcc_lo, 1.0, v[19:20], 1.0
	s_delay_alu instid0(VALU_DEP_2) | instskip(SKIP_2) | instid1(VALU_DEP_1)
	v_rcp_f64_e32 v[23:24], v[21:22]
	s_waitcnt_depctr 0xfff
	v_fma_f64 v[33:34], -v[21:22], v[23:24], 1.0
	v_fma_f64 v[23:24], v[23:24], v[33:34], v[23:24]
	s_delay_alu instid0(VALU_DEP_1) | instskip(NEXT) | instid1(VALU_DEP_1)
	v_fma_f64 v[33:34], -v[21:22], v[23:24], 1.0
	v_fma_f64 v[23:24], v[23:24], v[33:34], v[23:24]
	s_delay_alu instid0(VALU_DEP_1) | instskip(NEXT) | instid1(VALU_DEP_1)
	v_mul_f64 v[33:34], v[35:36], v[23:24]
	v_fma_f64 v[21:22], -v[21:22], v[33:34], v[35:36]
	v_mul_f64 v[35:36], v[2:3], v[6:7]
	v_mul_f64 v[6:7], v[6:7], -v[0:1]
	s_delay_alu instid0(VALU_DEP_3) | instskip(NEXT) | instid1(VALU_DEP_3)
	v_div_fmas_f64 v[21:22], v[21:22], v[23:24], v[33:34]
	v_fma_f64 v[0:1], v[0:1], v[4:5], v[35:36]
	s_delay_alu instid0(VALU_DEP_3) | instskip(NEXT) | instid1(VALU_DEP_3)
	v_fma_f64 v[2:3], v[2:3], v[4:5], v[6:7]
	v_div_fixup_f64 v[21:22], v[21:22], v[19:20], 1.0
	s_delay_alu instid0(VALU_DEP_1) | instskip(NEXT) | instid1(VALU_DEP_3)
	v_mul_f64 v[19:20], v[0:1], v[21:22]
	v_mul_f64 v[21:22], v[2:3], v[21:22]
.LBB42_23:                              ;   in Loop: Header=BB42_6 Depth=2
	s_or_b32 exec_lo, exec_lo, s43
	s_delay_alu instid0(VALU_DEP_2) | instskip(NEXT) | instid1(VALU_DEP_2)
	v_dual_mov_b32 v0, v19 :: v_dual_mov_b32 v1, v20
	v_dual_mov_b32 v2, v21 :: v_dual_mov_b32 v3, v22
.LBB42_24:                              ;   in Loop: Header=BB42_6 Depth=2
	s_or_b32 exec_lo, exec_lo, s4
	s_delay_alu instid0(VALU_DEP_2) | instskip(NEXT) | instid1(VALU_DEP_2)
	v_cmp_gt_f64_e32 vcc_lo, 0, v[0:1]
	v_cmp_gt_f64_e64 s4, 0, v[2:3]
	v_xor_b32_e32 v4, 0x80000000, v1
	v_xor_b32_e32 v6, 0x80000000, v3
                                        ; implicit-def: $vgpr19_vgpr20
	s_delay_alu instid0(VALU_DEP_2) | instskip(NEXT) | instid1(VALU_DEP_2)
	v_cndmask_b32_e32 v5, v1, v4, vcc_lo
	v_cndmask_b32_e64 v7, v3, v6, s4
	v_cndmask_b32_e32 v4, v0, v0, vcc_lo
	v_cndmask_b32_e64 v6, v2, v2, s4
	s_mov_b32 s4, exec_lo
	s_delay_alu instid0(VALU_DEP_1)
	v_cmpx_ngt_f64_e32 v[4:5], v[6:7]
	s_xor_b32 s4, exec_lo, s4
	s_cbranch_execnz .LBB42_27
; %bb.25:                               ;   in Loop: Header=BB42_6 Depth=2
	s_and_not1_saveexec_b32 s4, s4
	s_cbranch_execnz .LBB42_30
.LBB42_26:                              ;   in Loop: Header=BB42_6 Depth=2
	s_or_b32 exec_lo, exec_lo, s4
	s_delay_alu instid0(VALU_DEP_1) | instskip(NEXT) | instid1(VALU_DEP_1)
	v_cmp_class_f64_e64 s43, v[19:20], 0x1f8
	s_and_saveexec_b32 s4, s43
	s_cbranch_execz .LBB42_5
	s_branch .LBB42_31
.LBB42_27:                              ;   in Loop: Header=BB42_6 Depth=2
	v_mov_b32_e32 v19, 0
	v_mov_b32_e32 v20, 0
	s_mov_b32 s43, exec_lo
	v_cmpx_neq_f64_e32 0, v[2:3]
	s_cbranch_execz .LBB42_29
; %bb.28:                               ;   in Loop: Header=BB42_6 Depth=2
	v_div_scale_f64 v[19:20], null, v[6:7], v[6:7], v[4:5]
	v_div_scale_f64 v[33:34], vcc_lo, v[4:5], v[6:7], v[4:5]
	s_delay_alu instid0(VALU_DEP_2) | instskip(SKIP_2) | instid1(VALU_DEP_1)
	v_rcp_f64_e32 v[21:22], v[19:20]
	s_waitcnt_depctr 0xfff
	v_fma_f64 v[23:24], -v[19:20], v[21:22], 1.0
	v_fma_f64 v[21:22], v[21:22], v[23:24], v[21:22]
	s_delay_alu instid0(VALU_DEP_1) | instskip(NEXT) | instid1(VALU_DEP_1)
	v_fma_f64 v[23:24], -v[19:20], v[21:22], 1.0
	v_fma_f64 v[21:22], v[21:22], v[23:24], v[21:22]
	s_delay_alu instid0(VALU_DEP_1) | instskip(NEXT) | instid1(VALU_DEP_1)
	v_mul_f64 v[23:24], v[33:34], v[21:22]
	v_fma_f64 v[19:20], -v[19:20], v[23:24], v[33:34]
	s_delay_alu instid0(VALU_DEP_1) | instskip(NEXT) | instid1(VALU_DEP_1)
	v_div_fmas_f64 v[19:20], v[19:20], v[21:22], v[23:24]
	v_div_fixup_f64 v[4:5], v[19:20], v[6:7], v[4:5]
	s_delay_alu instid0(VALU_DEP_1) | instskip(NEXT) | instid1(VALU_DEP_1)
	v_fma_f64 v[4:5], v[4:5], v[4:5], 1.0
	v_cmp_gt_f64_e32 vcc_lo, 0x10000000, v[4:5]
	v_cndmask_b32_e64 v13, 0, 1, vcc_lo
	s_delay_alu instid0(VALU_DEP_1) | instskip(NEXT) | instid1(VALU_DEP_1)
	v_lshlrev_b32_e32 v13, 8, v13
	v_ldexp_f64 v[4:5], v[4:5], v13
	v_cndmask_b32_e64 v13, 0, 0xffffff80, vcc_lo
	s_delay_alu instid0(VALU_DEP_2) | instskip(SKIP_4) | instid1(VALU_DEP_1)
	v_rsq_f64_e32 v[19:20], v[4:5]
	v_cmp_class_f64_e64 vcc_lo, v[4:5], 0x260
	s_waitcnt_depctr 0xfff
	v_mul_f64 v[21:22], v[4:5], v[19:20]
	v_mul_f64 v[19:20], v[19:20], 0.5
	v_fma_f64 v[23:24], -v[19:20], v[21:22], 0.5
	s_delay_alu instid0(VALU_DEP_1) | instskip(SKIP_1) | instid1(VALU_DEP_2)
	v_fma_f64 v[21:22], v[21:22], v[23:24], v[21:22]
	v_fma_f64 v[19:20], v[19:20], v[23:24], v[19:20]
	v_fma_f64 v[23:24], -v[21:22], v[21:22], v[4:5]
	s_delay_alu instid0(VALU_DEP_1) | instskip(NEXT) | instid1(VALU_DEP_1)
	v_fma_f64 v[21:22], v[23:24], v[19:20], v[21:22]
	v_fma_f64 v[23:24], -v[21:22], v[21:22], v[4:5]
	s_delay_alu instid0(VALU_DEP_1) | instskip(NEXT) | instid1(VALU_DEP_1)
	v_fma_f64 v[19:20], v[23:24], v[19:20], v[21:22]
	v_ldexp_f64 v[19:20], v[19:20], v13
	s_delay_alu instid0(VALU_DEP_1) | instskip(NEXT) | instid1(VALU_DEP_1)
	v_dual_cndmask_b32 v4, v19, v4 :: v_dual_cndmask_b32 v5, v20, v5
	v_mul_f64 v[19:20], v[6:7], v[4:5]
.LBB42_29:                              ;   in Loop: Header=BB42_6 Depth=2
	s_or_b32 exec_lo, exec_lo, s43
                                        ; implicit-def: $vgpr4_vgpr5
                                        ; implicit-def: $vgpr6_vgpr7
	s_and_not1_saveexec_b32 s4, s4
	s_cbranch_execz .LBB42_26
.LBB42_30:                              ;   in Loop: Header=BB42_6 Depth=2
	v_div_scale_f64 v[19:20], null, v[4:5], v[4:5], v[6:7]
	v_div_scale_f64 v[33:34], vcc_lo, v[6:7], v[4:5], v[6:7]
	s_delay_alu instid0(VALU_DEP_2) | instskip(SKIP_2) | instid1(VALU_DEP_1)
	v_rcp_f64_e32 v[21:22], v[19:20]
	s_waitcnt_depctr 0xfff
	v_fma_f64 v[23:24], -v[19:20], v[21:22], 1.0
	v_fma_f64 v[21:22], v[21:22], v[23:24], v[21:22]
	s_delay_alu instid0(VALU_DEP_1) | instskip(NEXT) | instid1(VALU_DEP_1)
	v_fma_f64 v[23:24], -v[19:20], v[21:22], 1.0
	v_fma_f64 v[21:22], v[21:22], v[23:24], v[21:22]
	s_delay_alu instid0(VALU_DEP_1) | instskip(NEXT) | instid1(VALU_DEP_1)
	v_mul_f64 v[23:24], v[33:34], v[21:22]
	v_fma_f64 v[19:20], -v[19:20], v[23:24], v[33:34]
	s_delay_alu instid0(VALU_DEP_1) | instskip(NEXT) | instid1(VALU_DEP_1)
	v_div_fmas_f64 v[19:20], v[19:20], v[21:22], v[23:24]
	v_div_fixup_f64 v[6:7], v[19:20], v[4:5], v[6:7]
	s_delay_alu instid0(VALU_DEP_1) | instskip(NEXT) | instid1(VALU_DEP_1)
	v_fma_f64 v[6:7], v[6:7], v[6:7], 1.0
	v_cmp_gt_f64_e32 vcc_lo, 0x10000000, v[6:7]
	v_cndmask_b32_e64 v13, 0, 1, vcc_lo
	s_delay_alu instid0(VALU_DEP_1) | instskip(NEXT) | instid1(VALU_DEP_1)
	v_lshlrev_b32_e32 v13, 8, v13
	v_ldexp_f64 v[6:7], v[6:7], v13
	v_cndmask_b32_e64 v13, 0, 0xffffff80, vcc_lo
	s_delay_alu instid0(VALU_DEP_2) | instskip(SKIP_4) | instid1(VALU_DEP_1)
	v_rsq_f64_e32 v[19:20], v[6:7]
	v_cmp_class_f64_e64 vcc_lo, v[6:7], 0x260
	s_waitcnt_depctr 0xfff
	v_mul_f64 v[21:22], v[6:7], v[19:20]
	v_mul_f64 v[19:20], v[19:20], 0.5
	v_fma_f64 v[23:24], -v[19:20], v[21:22], 0.5
	s_delay_alu instid0(VALU_DEP_1) | instskip(SKIP_1) | instid1(VALU_DEP_2)
	v_fma_f64 v[21:22], v[21:22], v[23:24], v[21:22]
	v_fma_f64 v[19:20], v[19:20], v[23:24], v[19:20]
	v_fma_f64 v[23:24], -v[21:22], v[21:22], v[6:7]
	s_delay_alu instid0(VALU_DEP_1) | instskip(NEXT) | instid1(VALU_DEP_1)
	v_fma_f64 v[21:22], v[23:24], v[19:20], v[21:22]
	v_fma_f64 v[23:24], -v[21:22], v[21:22], v[6:7]
	s_delay_alu instid0(VALU_DEP_1) | instskip(NEXT) | instid1(VALU_DEP_1)
	v_fma_f64 v[19:20], v[23:24], v[19:20], v[21:22]
	v_ldexp_f64 v[19:20], v[19:20], v13
	s_delay_alu instid0(VALU_DEP_1) | instskip(NEXT) | instid1(VALU_DEP_1)
	v_dual_cndmask_b32 v6, v19, v6 :: v_dual_cndmask_b32 v7, v20, v7
	v_mul_f64 v[19:20], v[4:5], v[6:7]
	s_or_b32 exec_lo, exec_lo, s4
	s_delay_alu instid0(VALU_DEP_1) | instskip(NEXT) | instid1(VALU_DEP_1)
	v_cmp_class_f64_e64 s43, v[19:20], 0x1f8
	s_and_saveexec_b32 s4, s43
	s_cbranch_execz .LBB42_5
.LBB42_31:                              ;   in Loop: Header=BB42_6 Depth=2
	s_mov_b32 s43, 0
                                        ; implicit-def: $vgpr4_vgpr5
	s_and_saveexec_b32 s44, s3
	s_delay_alu instid0(SALU_CYCLE_1)
	s_xor_b32 s3, exec_lo, s44
	s_cbranch_execnz .LBB42_34
; %bb.32:                               ;   in Loop: Header=BB42_6 Depth=2
	s_and_not1_saveexec_b32 s3, s3
	s_cbranch_execnz .LBB42_47
.LBB42_33:                              ;   in Loop: Header=BB42_6 Depth=2
	s_or_b32 exec_lo, exec_lo, s3
	s_delay_alu instid0(SALU_CYCLE_1)
	s_and_b32 exec_lo, exec_lo, s43
	s_cbranch_execz .LBB42_5
	s_branch .LBB42_56
.LBB42_34:                              ;   in Loop: Header=BB42_6 Depth=2
	s_mov_b32 s44, exec_lo
                                        ; implicit-def: $vgpr4_vgpr5
	v_cmpx_ge_i32_e64 v8, v14
	s_xor_b32 s44, exec_lo, s44
; %bb.35:                               ;   in Loop: Header=BB42_6 Depth=2
	v_lshlrev_b64 v[4:5], 4, v[14:15]
	s_mov_b32 s43, exec_lo
                                        ; implicit-def: $vgpr18
                                        ; implicit-def: $vgpr32
                                        ; implicit-def: $vgpr16
	s_delay_alu instid0(VALU_DEP_1) | instskip(NEXT) | instid1(VALU_DEP_2)
	v_add_co_u32 v4, vcc_lo, s18, v4
	v_add_co_ci_u32_e32 v5, vcc_lo, s19, v5, vcc_lo
; %bb.36:                               ;   in Loop: Header=BB42_6 Depth=2
	s_and_not1_saveexec_b32 s44, s44
	s_cbranch_execz .LBB42_46
; %bb.37:                               ;   in Loop: Header=BB42_6 Depth=2
	s_mov_b32 s46, s43
	s_mov_b32 s45, exec_lo
                                        ; implicit-def: $vgpr4_vgpr5
	v_cmpx_lt_i32_e64 v18, v32
	s_cbranch_execz .LBB42_45
; %bb.38:                               ;   in Loop: Header=BB42_6 Depth=2
	s_mov_b32 s47, 0
                                        ; implicit-def: $sgpr46
                                        ; implicit-def: $sgpr49
                                        ; implicit-def: $sgpr48
	s_set_inst_prefetch_distance 0x1
	s_branch .LBB42_40
	.p2align	6
.LBB42_39:                              ;   in Loop: Header=BB42_40 Depth=3
	s_or_b32 exec_lo, exec_lo, s50
	s_delay_alu instid0(SALU_CYCLE_1) | instskip(NEXT) | instid1(SALU_CYCLE_1)
	s_and_b32 s50, exec_lo, s49
	s_or_b32 s47, s50, s47
	s_and_not1_b32 s46, s46, exec_lo
	s_and_b32 s50, s48, exec_lo
	s_delay_alu instid0(SALU_CYCLE_1)
	s_or_b32 s46, s46, s50
	s_and_not1_b32 exec_lo, exec_lo, s47
	s_cbranch_execz .LBB42_42
.LBB42_40:                              ;   Parent Loop BB42_3 Depth=1
                                        ;     Parent Loop BB42_6 Depth=2
                                        ; =>    This Inner Loop Header: Depth=3
	v_add_nc_u32_e32 v6, v16, v18
	s_or_b32 s48, s48, exec_lo
	s_or_b32 s49, s49, exec_lo
	s_mov_b32 s50, exec_lo
	s_delay_alu instid0(VALU_DEP_1) | instskip(NEXT) | instid1(VALU_DEP_1)
	v_ashrrev_i32_e32 v7, 31, v6
	v_lshlrev_b64 v[4:5], 2, v[6:7]
	s_delay_alu instid0(VALU_DEP_1) | instskip(NEXT) | instid1(VALU_DEP_2)
	v_add_co_u32 v4, vcc_lo, s28, v4
	v_add_co_ci_u32_e32 v5, vcc_lo, s29, v5, vcc_lo
	global_load_b32 v4, v[4:5], off
	s_waitcnt vmcnt(0)
	v_subrev_nc_u32_e32 v4, s40, v4
	s_delay_alu instid0(VALU_DEP_1)
	v_cmpx_ne_u32_e64 v4, v8
	s_cbranch_execz .LBB42_39
; %bb.41:                               ;   in Loop: Header=BB42_40 Depth=3
	v_add_nc_u32_e32 v18, 1, v18
	s_and_not1_b32 s49, s49, exec_lo
	s_and_not1_b32 s48, s48, exec_lo
	s_delay_alu instid0(VALU_DEP_1) | instskip(SKIP_1) | instid1(SALU_CYCLE_1)
	v_cmp_ge_i32_e32 vcc_lo, v18, v32
	s_and_b32 s51, vcc_lo, exec_lo
	s_or_b32 s49, s49, s51
	s_branch .LBB42_39
.LBB42_42:                              ;   in Loop: Header=BB42_6 Depth=2
	s_set_inst_prefetch_distance 0x2
	s_or_b32 exec_lo, exec_lo, s47
	s_mov_b32 s47, s43
                                        ; implicit-def: $vgpr4_vgpr5
	s_and_saveexec_b32 s48, s46
	s_delay_alu instid0(SALU_CYCLE_1)
	s_xor_b32 s46, exec_lo, s48
; %bb.43:                               ;   in Loop: Header=BB42_6 Depth=2
	v_lshlrev_b64 v[4:5], 4, v[6:7]
	s_or_b32 s47, s43, exec_lo
	s_delay_alu instid0(VALU_DEP_1) | instskip(NEXT) | instid1(VALU_DEP_2)
	v_add_co_u32 v4, vcc_lo, s36, v4
	v_add_co_ci_u32_e32 v5, vcc_lo, s37, v5, vcc_lo
; %bb.44:                               ;   in Loop: Header=BB42_6 Depth=2
	s_or_b32 exec_lo, exec_lo, s46
	s_delay_alu instid0(SALU_CYCLE_1) | instskip(SKIP_1) | instid1(SALU_CYCLE_1)
	s_and_not1_b32 s46, s43, exec_lo
	s_and_b32 s47, s47, exec_lo
	s_or_b32 s46, s46, s47
.LBB42_45:                              ;   in Loop: Header=BB42_6 Depth=2
	s_or_b32 exec_lo, exec_lo, s45
	s_delay_alu instid0(SALU_CYCLE_1) | instskip(SKIP_1) | instid1(SALU_CYCLE_1)
	s_and_not1_b32 s43, s43, exec_lo
	s_and_b32 s45, s46, exec_lo
	s_or_b32 s43, s43, s45
.LBB42_46:                              ;   in Loop: Header=BB42_6 Depth=2
	s_or_b32 exec_lo, exec_lo, s44
	s_delay_alu instid0(SALU_CYCLE_1)
	s_and_b32 s43, s43, exec_lo
                                        ; implicit-def: $vgpr14_vgpr15
	s_and_not1_saveexec_b32 s3, s3
	s_cbranch_execz .LBB42_33
.LBB42_47:                              ;   in Loop: Header=BB42_6 Depth=2
	s_mov_b32 s45, s43
	s_mov_b32 s44, exec_lo
                                        ; implicit-def: $vgpr4_vgpr5
	v_cmpx_lt_i32_e64 v10, v25
	s_cbranch_execz .LBB42_55
; %bb.48:                               ;   in Loop: Header=BB42_6 Depth=2
	s_mov_b32 s46, 0
                                        ; implicit-def: $sgpr45
                                        ; implicit-def: $sgpr48
                                        ; implicit-def: $sgpr47
	s_set_inst_prefetch_distance 0x1
	s_branch .LBB42_50
	.p2align	6
.LBB42_49:                              ;   in Loop: Header=BB42_50 Depth=3
	s_or_b32 exec_lo, exec_lo, s49
	s_delay_alu instid0(SALU_CYCLE_1) | instskip(NEXT) | instid1(SALU_CYCLE_1)
	s_and_b32 s49, exec_lo, s48
	s_or_b32 s46, s49, s46
	s_and_not1_b32 s45, s45, exec_lo
	s_and_b32 s49, s47, exec_lo
	s_delay_alu instid0(SALU_CYCLE_1)
	s_or_b32 s45, s45, s49
	s_and_not1_b32 exec_lo, exec_lo, s46
	s_cbranch_execz .LBB42_52
.LBB42_50:                              ;   Parent Loop BB42_3 Depth=1
                                        ;     Parent Loop BB42_6 Depth=2
                                        ; =>    This Inner Loop Header: Depth=3
	v_add_nc_u32_e32 v6, v9, v10
	s_or_b32 s47, s47, exec_lo
	s_or_b32 s48, s48, exec_lo
	s_mov_b32 s49, exec_lo
	s_delay_alu instid0(VALU_DEP_1) | instskip(NEXT) | instid1(VALU_DEP_1)
	v_ashrrev_i32_e32 v7, 31, v6
	v_lshlrev_b64 v[4:5], 2, v[6:7]
	s_delay_alu instid0(VALU_DEP_1) | instskip(NEXT) | instid1(VALU_DEP_2)
	v_add_co_u32 v4, vcc_lo, s12, v4
	v_add_co_ci_u32_e32 v5, vcc_lo, s13, v5, vcc_lo
	global_load_b32 v4, v[4:5], off
	s_waitcnt vmcnt(0)
	v_subrev_nc_u32_e32 v4, s33, v4
	s_delay_alu instid0(VALU_DEP_1)
	v_cmpx_ne_u32_e64 v4, v14
	s_cbranch_execz .LBB42_49
; %bb.51:                               ;   in Loop: Header=BB42_50 Depth=3
	v_add_nc_u32_e32 v10, 1, v10
	s_and_not1_b32 s48, s48, exec_lo
	s_and_not1_b32 s47, s47, exec_lo
	s_delay_alu instid0(VALU_DEP_1) | instskip(SKIP_1) | instid1(SALU_CYCLE_1)
	v_cmp_ge_i32_e32 vcc_lo, v10, v25
	s_and_b32 s50, vcc_lo, exec_lo
	s_or_b32 s48, s48, s50
	s_branch .LBB42_49
.LBB42_52:                              ;   in Loop: Header=BB42_6 Depth=2
	s_set_inst_prefetch_distance 0x2
	s_or_b32 exec_lo, exec_lo, s46
	s_mov_b32 s46, s43
                                        ; implicit-def: $vgpr4_vgpr5
	s_and_saveexec_b32 s47, s45
	s_delay_alu instid0(SALU_CYCLE_1)
	s_xor_b32 s45, exec_lo, s47
; %bb.53:                               ;   in Loop: Header=BB42_6 Depth=2
	v_lshlrev_b64 v[4:5], 4, v[6:7]
	s_or_b32 s46, s43, exec_lo
	s_delay_alu instid0(VALU_DEP_1) | instskip(NEXT) | instid1(VALU_DEP_2)
	v_add_co_u32 v4, vcc_lo, s34, v4
	v_add_co_ci_u32_e32 v5, vcc_lo, s35, v5, vcc_lo
; %bb.54:                               ;   in Loop: Header=BB42_6 Depth=2
	s_or_b32 exec_lo, exec_lo, s45
	s_delay_alu instid0(SALU_CYCLE_1) | instskip(SKIP_1) | instid1(SALU_CYCLE_1)
	s_and_not1_b32 s45, s43, exec_lo
	s_and_b32 s46, s46, exec_lo
	s_or_b32 s45, s45, s46
.LBB42_55:                              ;   in Loop: Header=BB42_6 Depth=2
	s_or_b32 exec_lo, exec_lo, s44
	s_delay_alu instid0(SALU_CYCLE_1) | instskip(SKIP_1) | instid1(SALU_CYCLE_1)
	s_and_not1_b32 s43, s43, exec_lo
	s_and_b32 s44, s45, exec_lo
	s_or_b32 s43, s43, s44
	s_or_b32 exec_lo, exec_lo, s3
	s_delay_alu instid0(SALU_CYCLE_1)
	s_and_b32 exec_lo, exec_lo, s43
	s_cbranch_execz .LBB42_5
.LBB42_56:                              ;   in Loop: Header=BB42_6 Depth=2
	global_store_b128 v[4:5], v[0:3], off
	s_branch .LBB42_5
.LBB42_57:                              ;   in Loop: Header=BB42_3 Depth=1
	s_or_b32 exec_lo, exec_lo, s41
	s_and_saveexec_b32 s4, s0
	s_cbranch_execz .LBB42_2
; %bb.58:                               ;   in Loop: Header=BB42_3 Depth=1
	v_mov_b32_e32 v0, v8
	s_mov_b32 s41, 0
	s_branch .LBB42_61
.LBB42_59:                              ;   in Loop: Header=BB42_61 Depth=2
	s_or_b32 exec_lo, exec_lo, s43
	v_lshlrev_b64 v[5:6], 4, v[0:1]
	s_delay_alu instid0(VALU_DEP_1) | instskip(NEXT) | instid1(VALU_DEP_2)
	v_add_co_u32 v1, vcc_lo, s18, v5
	v_add_co_ci_u32_e32 v2, vcc_lo, s19, v6, vcc_lo
	v_add_co_u32 v5, vcc_lo, s16, v5
	v_add_co_ci_u32_e32 v6, vcc_lo, s17, v6, vcc_lo
	global_load_b128 v[1:4], v[1:2], off
	s_waitcnt vmcnt(0)
	global_store_b128 v[5:6], v[1:4], off
.LBB42_60:                              ;   in Loop: Header=BB42_61 Depth=2
	s_or_b32 exec_lo, exec_lo, s42
	v_add_nc_u32_e32 v0, 0x400, v0
	s_delay_alu instid0(VALU_DEP_1) | instskip(SKIP_1) | instid1(SALU_CYCLE_1)
	v_cmp_le_u32_e32 vcc_lo, s39, v0
	s_or_b32 s41, vcc_lo, s41
	s_and_not1_b32 exec_lo, exec_lo, s41
	s_cbranch_execz .LBB42_2
.LBB42_61:                              ;   Parent Loop BB42_3 Depth=1
                                        ; =>  This Loop Header: Depth=2
                                        ;       Child Loop BB42_64 Depth 3
                                        ;       Child Loop BB42_67 Depth 3
	s_mov_b32 s42, exec_lo
	s_delay_alu instid0(VALU_DEP_1)
	v_cmpx_gt_i32_e64 s7, v0
	s_cbranch_execz .LBB42_60
; %bb.62:                               ;   in Loop: Header=BB42_61 Depth=2
	v_ashrrev_i32_e32 v1, 31, v0
	s_mov_b32 s43, exec_lo
	s_delay_alu instid0(VALU_DEP_1) | instskip(NEXT) | instid1(VALU_DEP_1)
	v_lshlrev_b64 v[2:3], 2, v[0:1]
	v_add_co_u32 v4, vcc_lo, s8, v2
	s_delay_alu instid0(VALU_DEP_2)
	v_add_co_ci_u32_e32 v5, vcc_lo, s9, v3, vcc_lo
	v_add_co_u32 v6, vcc_lo, s10, v2
	v_add_co_ci_u32_e32 v7, vcc_lo, s11, v3, vcc_lo
	global_load_b32 v4, v[4:5], off
	global_load_b32 v6, v[6:7], off
	s_waitcnt vmcnt(0)
	v_cmpx_lt_i32_e64 v4, v6
	s_cbranch_execz .LBB42_65
; %bb.63:                               ;   in Loop: Header=BB42_61 Depth=2
	v_subrev_nc_u32_e32 v4, s33, v4
	v_subrev_nc_u32_e32 v7, s33, v6
	s_mov_b32 s44, 0
	s_delay_alu instid0(VALU_DEP_2) | instskip(NEXT) | instid1(VALU_DEP_1)
	v_ashrrev_i32_e32 v5, 31, v4
	v_lshlrev_b64 v[12:13], 4, v[4:5]
	s_delay_alu instid0(VALU_DEP_1) | instskip(NEXT) | instid1(VALU_DEP_2)
	v_add_co_u32 v5, vcc_lo, s14, v12
	v_add_co_ci_u32_e32 v6, vcc_lo, s15, v13, vcc_lo
	v_add_co_u32 v12, vcc_lo, s34, v12
	v_add_co_ci_u32_e32 v13, vcc_lo, s35, v13, vcc_lo
.LBB42_64:                              ;   Parent Loop BB42_3 Depth=1
                                        ;     Parent Loop BB42_61 Depth=2
                                        ; =>    This Inner Loop Header: Depth=3
	global_load_b128 v[14:17], v[12:13], off
	v_add_nc_u32_e32 v4, 1, v4
	v_add_co_u32 v12, vcc_lo, v12, 16
	v_add_co_ci_u32_e32 v13, vcc_lo, 0, v13, vcc_lo
	s_delay_alu instid0(VALU_DEP_3) | instskip(SKIP_4) | instid1(VALU_DEP_1)
	v_cmp_ge_i32_e32 vcc_lo, v4, v7
	s_or_b32 s44, vcc_lo, s44
	s_waitcnt vmcnt(0)
	global_store_b128 v[5:6], v[14:17], off
	v_add_co_u32 v5, s3, v5, 16
	v_add_co_ci_u32_e64 v6, s3, 0, v6, s3
	s_and_not1_b32 exec_lo, exec_lo, s44
	s_cbranch_execnz .LBB42_64
.LBB42_65:                              ;   in Loop: Header=BB42_61 Depth=2
	s_or_b32 exec_lo, exec_lo, s43
	v_add_co_u32 v4, vcc_lo, s24, v2
	v_add_co_ci_u32_e32 v5, vcc_lo, s25, v3, vcc_lo
	v_add_co_u32 v6, vcc_lo, s26, v2
	v_add_co_ci_u32_e32 v7, vcc_lo, s27, v3, vcc_lo
	s_mov_b32 s43, exec_lo
	global_load_b32 v2, v[4:5], off
	global_load_b32 v4, v[6:7], off
	s_waitcnt vmcnt(0)
	v_cmpx_lt_i32_e64 v2, v4
	s_cbranch_execz .LBB42_59
; %bb.66:                               ;   in Loop: Header=BB42_61 Depth=2
	v_subrev_nc_u32_e32 v2, s40, v2
	v_subrev_nc_u32_e32 v7, s40, v4
	s_mov_b32 s44, 0
	s_delay_alu instid0(VALU_DEP_2) | instskip(NEXT) | instid1(VALU_DEP_1)
	v_ashrrev_i32_e32 v3, 31, v2
	v_lshlrev_b64 v[5:6], 4, v[2:3]
	s_delay_alu instid0(VALU_DEP_1) | instskip(NEXT) | instid1(VALU_DEP_2)
	v_add_co_u32 v3, vcc_lo, s30, v5
	v_add_co_ci_u32_e32 v4, vcc_lo, s31, v6, vcc_lo
	v_add_co_u32 v5, vcc_lo, s36, v5
	v_add_co_ci_u32_e32 v6, vcc_lo, s37, v6, vcc_lo
	.p2align	6
.LBB42_67:                              ;   Parent Loop BB42_3 Depth=1
                                        ;     Parent Loop BB42_61 Depth=2
                                        ; =>    This Inner Loop Header: Depth=3
	global_load_b128 v[12:15], v[5:6], off
	v_add_nc_u32_e32 v2, 1, v2
	v_add_co_u32 v5, vcc_lo, v5, 16
	v_add_co_ci_u32_e32 v6, vcc_lo, 0, v6, vcc_lo
	s_delay_alu instid0(VALU_DEP_3) | instskip(SKIP_4) | instid1(VALU_DEP_1)
	v_cmp_ge_i32_e32 vcc_lo, v2, v7
	s_or_b32 s44, vcc_lo, s44
	s_waitcnt vmcnt(0)
	global_store_b128 v[3:4], v[12:15], off
	v_add_co_u32 v3, s3, v3, 16
	v_add_co_ci_u32_e64 v4, s3, 0, v4, s3
	s_and_not1_b32 exec_lo, exec_lo, s44
	s_cbranch_execnz .LBB42_67
	s_branch .LBB42_59
.LBB42_68:
	s_nop 0
	s_sendmsg sendmsg(MSG_DEALLOC_VGPRS)
	s_endpgm
	.section	.rodata,"a",@progbits
	.p2align	6, 0x0
	.amdhsa_kernel _ZN9rocsparseL14kernel_freerunILi1024ELi1E21rocsparse_complex_numIdEiiEEvT3_S3_T2_PKS4_S6_PKS3_PKT1_21rocsparse_index_base_S6_S6_S8_PS9_SD_SC_S6_S6_S8_SD_SD_SC_SD_SD_
		.amdhsa_group_segment_fixed_size 0
		.amdhsa_private_segment_fixed_size 0
		.amdhsa_kernarg_size 168
		.amdhsa_user_sgpr_count 15
		.amdhsa_user_sgpr_dispatch_ptr 0
		.amdhsa_user_sgpr_queue_ptr 0
		.amdhsa_user_sgpr_kernarg_segment_ptr 1
		.amdhsa_user_sgpr_dispatch_id 0
		.amdhsa_user_sgpr_private_segment_size 0
		.amdhsa_wavefront_size32 1
		.amdhsa_uses_dynamic_stack 0
		.amdhsa_enable_private_segment 0
		.amdhsa_system_sgpr_workgroup_id_x 1
		.amdhsa_system_sgpr_workgroup_id_y 0
		.amdhsa_system_sgpr_workgroup_id_z 0
		.amdhsa_system_sgpr_workgroup_info 0
		.amdhsa_system_vgpr_workitem_id 0
		.amdhsa_next_free_vgpr 39
		.amdhsa_next_free_sgpr 52
		.amdhsa_reserve_vcc 1
		.amdhsa_float_round_mode_32 0
		.amdhsa_float_round_mode_16_64 0
		.amdhsa_float_denorm_mode_32 3
		.amdhsa_float_denorm_mode_16_64 3
		.amdhsa_dx10_clamp 1
		.amdhsa_ieee_mode 1
		.amdhsa_fp16_overflow 0
		.amdhsa_workgroup_processor_mode 1
		.amdhsa_memory_ordered 1
		.amdhsa_forward_progress 0
		.amdhsa_shared_vgpr_count 0
		.amdhsa_exception_fp_ieee_invalid_op 0
		.amdhsa_exception_fp_denorm_src 0
		.amdhsa_exception_fp_ieee_div_zero 0
		.amdhsa_exception_fp_ieee_overflow 0
		.amdhsa_exception_fp_ieee_underflow 0
		.amdhsa_exception_fp_ieee_inexact 0
		.amdhsa_exception_int_div_zero 0
	.end_amdhsa_kernel
	.section	.text._ZN9rocsparseL14kernel_freerunILi1024ELi1E21rocsparse_complex_numIdEiiEEvT3_S3_T2_PKS4_S6_PKS3_PKT1_21rocsparse_index_base_S6_S6_S8_PS9_SD_SC_S6_S6_S8_SD_SD_SC_SD_SD_,"axG",@progbits,_ZN9rocsparseL14kernel_freerunILi1024ELi1E21rocsparse_complex_numIdEiiEEvT3_S3_T2_PKS4_S6_PKS3_PKT1_21rocsparse_index_base_S6_S6_S8_PS9_SD_SC_S6_S6_S8_SD_SD_SC_SD_SD_,comdat
.Lfunc_end42:
	.size	_ZN9rocsparseL14kernel_freerunILi1024ELi1E21rocsparse_complex_numIdEiiEEvT3_S3_T2_PKS4_S6_PKS3_PKT1_21rocsparse_index_base_S6_S6_S8_PS9_SD_SC_S6_S6_S8_SD_SD_SC_SD_SD_, .Lfunc_end42-_ZN9rocsparseL14kernel_freerunILi1024ELi1E21rocsparse_complex_numIdEiiEEvT3_S3_T2_PKS4_S6_PKS3_PKT1_21rocsparse_index_base_S6_S6_S8_PS9_SD_SC_S6_S6_S8_SD_SD_SC_SD_SD_
                                        ; -- End function
	.section	.AMDGPU.csdata,"",@progbits
; Kernel info:
; codeLenInByte = 4068
; NumSgprs: 54
; NumVgprs: 39
; ScratchSize: 0
; MemoryBound: 1
; FloatMode: 240
; IeeeMode: 1
; LDSByteSize: 0 bytes/workgroup (compile time only)
; SGPRBlocks: 6
; VGPRBlocks: 4
; NumSGPRsForWavesPerEU: 54
; NumVGPRsForWavesPerEU: 39
; Occupancy: 16
; WaveLimiterHint : 1
; COMPUTE_PGM_RSRC2:SCRATCH_EN: 0
; COMPUTE_PGM_RSRC2:USER_SGPR: 15
; COMPUTE_PGM_RSRC2:TRAP_HANDLER: 0
; COMPUTE_PGM_RSRC2:TGID_X_EN: 1
; COMPUTE_PGM_RSRC2:TGID_Y_EN: 0
; COMPUTE_PGM_RSRC2:TGID_Z_EN: 0
; COMPUTE_PGM_RSRC2:TIDIG_COMP_CNT: 0
	.section	.text._ZN9rocsparseL14kernel_freerunILi1024ELi2E21rocsparse_complex_numIdEiiEEvT3_S3_T2_PKS4_S6_PKS3_PKT1_21rocsparse_index_base_S6_S6_S8_PS9_SD_SC_S6_S6_S8_SD_SD_SC_SD_SD_,"axG",@progbits,_ZN9rocsparseL14kernel_freerunILi1024ELi2E21rocsparse_complex_numIdEiiEEvT3_S3_T2_PKS4_S6_PKS3_PKT1_21rocsparse_index_base_S6_S6_S8_PS9_SD_SC_S6_S6_S8_SD_SD_SC_SD_SD_,comdat
	.globl	_ZN9rocsparseL14kernel_freerunILi1024ELi2E21rocsparse_complex_numIdEiiEEvT3_S3_T2_PKS4_S6_PKS3_PKT1_21rocsparse_index_base_S6_S6_S8_PS9_SD_SC_S6_S6_S8_SD_SD_SC_SD_SD_ ; -- Begin function _ZN9rocsparseL14kernel_freerunILi1024ELi2E21rocsparse_complex_numIdEiiEEvT3_S3_T2_PKS4_S6_PKS3_PKT1_21rocsparse_index_base_S6_S6_S8_PS9_SD_SC_S6_S6_S8_SD_SD_SC_SD_SD_
	.p2align	8
	.type	_ZN9rocsparseL14kernel_freerunILi1024ELi2E21rocsparse_complex_numIdEiiEEvT3_S3_T2_PKS4_S6_PKS3_PKT1_21rocsparse_index_base_S6_S6_S8_PS9_SD_SC_S6_S6_S8_SD_SD_SC_SD_SD_,@function
_ZN9rocsparseL14kernel_freerunILi1024ELi2E21rocsparse_complex_numIdEiiEEvT3_S3_T2_PKS4_S6_PKS3_PKT1_21rocsparse_index_base_S6_S6_S8_PS9_SD_SC_S6_S6_S8_SD_SD_SC_SD_SD_: ; @_ZN9rocsparseL14kernel_freerunILi1024ELi2E21rocsparse_complex_numIdEiiEEvT3_S3_T2_PKS4_S6_PKS3_PKT1_21rocsparse_index_base_S6_S6_S8_PS9_SD_SC_S6_S6_S8_SD_SD_SC_SD_SD_
; %bb.0:
	s_load_b64 s[6:7], s[0:1], 0x0
	v_lshrrev_b32_e32 v1, 1, v0
	s_lshl_b32 s44, s15, 10
	s_mov_b32 s5, 0
	s_delay_alu instid0(VALU_DEP_1) | instskip(SKIP_1) | instid1(VALU_DEP_1)
	v_or_b32_e32 v25, s44, v1
	s_waitcnt lgkmcnt(0)
	v_cmp_gt_i32_e32 vcc_lo, s7, v25
	s_cmp_gt_i32 s6, 0
	s_cselect_b32 s2, -1, 0
	s_delay_alu instid0(SALU_CYCLE_1) | instskip(NEXT) | instid1(SALU_CYCLE_1)
	s_and_b32 s2, vcc_lo, s2
	s_and_saveexec_b32 s3, s2
	s_cbranch_execz .LBB43_72
; %bb.1:
	s_clause 0x8
	s_load_b32 s33, s[0:1], 0x30
	s_load_b32 s42, s[0:1], 0x60
	s_load_b32 s43, s[0:1], 0x90
	s_load_b64 s[34:35], s[0:1], 0x88
	s_load_b64 s[40:41], s[0:1], 0x58
	s_load_b128 s[36:39], s[0:1], 0x98
	s_load_b256 s[8:15], s[0:1], 0x68
	s_load_b256 s[16:23], s[0:1], 0x38
	;; [unrolled: 1-line block ×3, first 2 shown]
	v_dual_mov_b32 v9, 0 :: v_dual_and_b32 v0, 1, v0
	s_addk_i32 s44, 0x400
	s_delay_alu instid0(SALU_CYCLE_1) | instskip(NEXT) | instid1(VALU_DEP_2)
	v_cmp_gt_u32_e64 s0, s44, v25
	v_cmp_eq_u32_e64 s1, 0, v0
	s_waitcnt lgkmcnt(0)
	v_subrev_nc_u32_e32 v26, s33, v0
	v_subrev_nc_u32_e32 v27, s42, v0
	;; [unrolled: 1-line block ×3, first 2 shown]
	s_branch .LBB43_3
.LBB43_2:                               ;   in Loop: Header=BB43_3 Depth=1
	s_or_b32 exec_lo, exec_lo, s3
	s_add_i32 s5, s5, 1
	s_delay_alu instid0(SALU_CYCLE_1)
	s_cmp_eq_u32 s5, s6
	s_cbranch_scc1 .LBB43_72
.LBB43_3:                               ; =>This Loop Header: Depth=1
                                        ;     Child Loop BB43_5 Depth 2
                                        ;       Child Loop BB43_9 Depth 3
                                        ;         Child Loop BB43_13 Depth 4
                                        ;         Child Loop BB43_43 Depth 4
	;; [unrolled: 1-line block ×3, first 2 shown]
                                        ;     Child Loop BB43_63 Depth 2
                                        ;       Child Loop BB43_66 Depth 3
                                        ;       Child Loop BB43_69 Depth 3
	s_mov_b32 s2, 0
	s_mov_b32 s45, -1
	s_branch .LBB43_5
.LBB43_4:                               ;   in Loop: Header=BB43_5 Depth=2
	s_or_b32 exec_lo, exec_lo, s46
	s_xor_b32 s3, s45, -1
	s_movk_i32 s2, 0x200
	s_and_b32 vcc_lo, exec_lo, s3
	s_mov_b32 s45, 0
	s_cbranch_vccnz .LBB43_60
.LBB43_5:                               ;   Parent Loop BB43_3 Depth=1
                                        ; =>  This Loop Header: Depth=2
                                        ;       Child Loop BB43_9 Depth 3
                                        ;         Child Loop BB43_13 Depth 4
                                        ;         Child Loop BB43_43 Depth 4
	;; [unrolled: 1-line block ×3, first 2 shown]
	v_or_b32_e32 v10, s2, v25
	s_mov_b32 s46, exec_lo
	s_delay_alu instid0(VALU_DEP_1)
	v_cmpx_gt_i32_e64 s7, v10
	s_cbranch_execz .LBB43_4
; %bb.6:                                ;   in Loop: Header=BB43_5 Depth=2
	v_ashrrev_i32_e32 v11, 31, v10
	s_delay_alu instid0(VALU_DEP_1) | instskip(NEXT) | instid1(VALU_DEP_1)
	v_lshlrev_b64 v[0:1], 2, v[10:11]
	v_add_co_u32 v2, vcc_lo, s24, v0
	s_delay_alu instid0(VALU_DEP_2)
	v_add_co_ci_u32_e32 v3, vcc_lo, s25, v1, vcc_lo
	v_add_co_u32 v4, vcc_lo, s26, v0
	v_add_co_ci_u32_e32 v5, vcc_lo, s27, v1, vcc_lo
	global_load_b32 v2, v[2:3], off
	global_load_b32 v3, v[4:5], off
	s_waitcnt vmcnt(1)
	v_add_nc_u32_e32 v11, v26, v2
	s_waitcnt vmcnt(0)
	v_subrev_nc_u32_e32 v29, s33, v3
	s_delay_alu instid0(VALU_DEP_1)
	v_cmp_lt_i32_e32 vcc_lo, v11, v29
	s_and_b32 exec_lo, exec_lo, vcc_lo
	s_cbranch_execz .LBB43_4
; %bb.7:                                ;   in Loop: Header=BB43_5 Depth=2
	v_add_co_u32 v2, vcc_lo, s16, v0
	v_add_co_ci_u32_e32 v3, vcc_lo, s17, v1, vcc_lo
	v_add_co_u32 v0, vcc_lo, s18, v0
	v_add_co_ci_u32_e32 v1, vcc_lo, s19, v1, vcc_lo
	global_load_b32 v2, v[2:3], off
	s_mov_b32 s47, 0
	global_load_b32 v3, v[0:1], off
	s_waitcnt vmcnt(1)
	v_subrev_nc_u32_e32 v13, s42, v2
	s_waitcnt vmcnt(0)
	v_sub_nc_u32_e32 v30, v3, v2
	s_delay_alu instid0(VALU_DEP_2) | instskip(NEXT) | instid1(VALU_DEP_2)
	v_ashrrev_i32_e32 v14, 31, v13
	v_cmp_lt_i32_e64 s2, 0, v30
	s_delay_alu instid0(VALU_DEP_2) | instskip(SKIP_1) | instid1(VALU_DEP_2)
	v_lshlrev_b64 v[0:1], 2, v[13:14]
	v_lshlrev_b64 v[2:3], 4, v[13:14]
	v_add_co_u32 v31, vcc_lo, s20, v0
	s_delay_alu instid0(VALU_DEP_3) | instskip(NEXT) | instid1(VALU_DEP_3)
	v_add_co_ci_u32_e32 v32, vcc_lo, s21, v1, vcc_lo
	v_add_co_u32 v33, vcc_lo, s22, v2
	s_delay_alu instid0(VALU_DEP_4)
	v_add_co_ci_u32_e32 v34, vcc_lo, s23, v3, vcc_lo
	s_branch .LBB43_9
.LBB43_8:                               ;   in Loop: Header=BB43_9 Depth=3
	s_or_b32 exec_lo, exec_lo, s4
	v_add_nc_u32_e32 v11, 2, v11
	s_delay_alu instid0(VALU_DEP_1) | instskip(SKIP_1) | instid1(SALU_CYCLE_1)
	v_cmp_ge_i32_e32 vcc_lo, v11, v29
	s_or_b32 s47, vcc_lo, s47
	s_and_not1_b32 exec_lo, exec_lo, s47
	s_cbranch_execz .LBB43_4
.LBB43_9:                               ;   Parent Loop BB43_3 Depth=1
                                        ;     Parent Loop BB43_5 Depth=2
                                        ; =>    This Loop Header: Depth=3
                                        ;         Child Loop BB43_13 Depth 4
                                        ;         Child Loop BB43_43 Depth 4
	;; [unrolled: 1-line block ×3, first 2 shown]
	v_ashrrev_i32_e32 v12, 31, v11
	v_mov_b32_e32 v18, 0
	v_mov_b32_e32 v8, 0
	s_delay_alu instid0(VALU_DEP_3) | instskip(NEXT) | instid1(VALU_DEP_1)
	v_lshlrev_b64 v[0:1], 2, v[11:12]
	v_add_co_u32 v0, vcc_lo, s28, v0
	s_delay_alu instid0(VALU_DEP_2) | instskip(SKIP_3) | instid1(VALU_DEP_1)
	v_add_co_ci_u32_e32 v1, vcc_lo, s29, v1, vcc_lo
	global_load_b32 v0, v[0:1], off
	s_waitcnt vmcnt(0)
	v_subrev_nc_u32_e32 v14, s33, v0
	v_ashrrev_i32_e32 v15, 31, v14
	s_delay_alu instid0(VALU_DEP_1) | instskip(NEXT) | instid1(VALU_DEP_1)
	v_lshlrev_b64 v[0:1], 2, v[14:15]
	v_add_co_u32 v2, vcc_lo, s8, v0
	s_delay_alu instid0(VALU_DEP_2)
	v_add_co_ci_u32_e32 v3, vcc_lo, s9, v1, vcc_lo
	v_add_co_u32 v0, vcc_lo, s10, v0
	v_add_co_ci_u32_e32 v1, vcc_lo, s11, v1, vcc_lo
	global_load_b32 v4, v[2:3], off
	global_load_b32 v5, v[0:1], off
	v_mov_b32_e32 v0, 0
	v_mov_b32_e32 v1, 0
	s_delay_alu instid0(VALU_DEP_1)
	v_dual_mov_b32 v3, v1 :: v_dual_mov_b32 v2, v0
	s_waitcnt vmcnt(1)
	v_subrev_nc_u32_e32 v16, s43, v4
	s_waitcnt vmcnt(0)
	v_sub_nc_u32_e32 v35, v5, v4
	s_and_saveexec_b32 s4, s2
	s_cbranch_execz .LBB43_17
; %bb.10:                               ;   in Loop: Header=BB43_9 Depth=3
	v_ashrrev_i32_e32 v17, 31, v16
	v_mov_b32_e32 v0, 0
	v_dual_mov_b32 v18, 0 :: v_dual_mov_b32 v1, 0
	s_mov_b32 s48, 0
	s_delay_alu instid0(VALU_DEP_3) | instskip(SKIP_1) | instid1(VALU_DEP_3)
	v_lshlrev_b64 v[2:3], 2, v[16:17]
	v_lshlrev_b64 v[6:7], 4, v[16:17]
	v_mov_b32_e32 v8, v18
                                        ; implicit-def: $sgpr49
	s_delay_alu instid0(VALU_DEP_3) | instskip(NEXT) | instid1(VALU_DEP_4)
	v_add_co_u32 v4, vcc_lo, s12, v2
	v_add_co_ci_u32_e32 v5, vcc_lo, s13, v3, vcc_lo
	v_mov_b32_e32 v3, v1
	v_add_co_u32 v6, vcc_lo, s14, v6
	v_add_co_ci_u32_e32 v7, vcc_lo, s15, v7, vcc_lo
	v_mov_b32_e32 v2, v0
	s_branch .LBB43_13
.LBB43_11:                              ;   in Loop: Header=BB43_13 Depth=4
	s_or_b32 exec_lo, exec_lo, s3
	v_cmp_le_i32_e32 vcc_lo, v17, v20
	v_cmp_ge_i32_e64 s3, v17, v20
	v_add_co_ci_u32_e32 v8, vcc_lo, 0, v8, vcc_lo
	s_delay_alu instid0(VALU_DEP_2) | instskip(SKIP_1) | instid1(VALU_DEP_2)
	v_add_co_ci_u32_e64 v18, s3, 0, v18, s3
	s_and_not1_b32 s3, s49, exec_lo
	v_cmp_ge_i32_e32 vcc_lo, v8, v30
	s_and_b32 s49, vcc_lo, exec_lo
	s_delay_alu instid0(SALU_CYCLE_1)
	s_or_b32 s49, s3, s49
.LBB43_12:                              ;   in Loop: Header=BB43_13 Depth=4
	s_or_b32 exec_lo, exec_lo, s50
	s_delay_alu instid0(SALU_CYCLE_1) | instskip(NEXT) | instid1(SALU_CYCLE_1)
	s_and_b32 s3, exec_lo, s49
	s_or_b32 s48, s3, s48
	s_delay_alu instid0(SALU_CYCLE_1)
	s_and_not1_b32 exec_lo, exec_lo, s48
	s_cbranch_execz .LBB43_16
.LBB43_13:                              ;   Parent Loop BB43_3 Depth=1
                                        ;     Parent Loop BB43_5 Depth=2
                                        ;       Parent Loop BB43_9 Depth=3
                                        ; =>      This Inner Loop Header: Depth=4
	s_or_b32 s49, s49, exec_lo
	s_mov_b32 s50, exec_lo
	v_cmpx_lt_i32_e64 v18, v35
	s_cbranch_execz .LBB43_12
; %bb.14:                               ;   in Loop: Header=BB43_13 Depth=4
	v_mov_b32_e32 v19, v9
	v_lshlrev_b64 v[20:21], 2, v[8:9]
	s_mov_b32 s3, exec_lo
	s_delay_alu instid0(VALU_DEP_2) | instskip(NEXT) | instid1(VALU_DEP_2)
	v_lshlrev_b64 v[22:23], 2, v[18:19]
	v_add_co_u32 v20, vcc_lo, v31, v20
	s_delay_alu instid0(VALU_DEP_3) | instskip(NEXT) | instid1(VALU_DEP_3)
	v_add_co_ci_u32_e32 v21, vcc_lo, v32, v21, vcc_lo
	v_add_co_u32 v22, vcc_lo, v4, v22
	s_delay_alu instid0(VALU_DEP_4)
	v_add_co_ci_u32_e32 v23, vcc_lo, v5, v23, vcc_lo
	global_load_b32 v17, v[20:21], off
	global_load_b32 v20, v[22:23], off
	s_waitcnt vmcnt(1)
	v_subrev_nc_u32_e32 v17, s42, v17
	s_waitcnt vmcnt(0)
	v_subrev_nc_u32_e32 v20, s43, v20
	s_delay_alu instid0(VALU_DEP_1)
	v_cmpx_eq_u32_e64 v17, v20
	s_cbranch_execz .LBB43_11
; %bb.15:                               ;   in Loop: Header=BB43_13 Depth=4
	v_lshlrev_b64 v[21:22], 4, v[8:9]
	v_lshlrev_b64 v[23:24], 4, v[18:19]
	s_delay_alu instid0(VALU_DEP_2) | instskip(NEXT) | instid1(VALU_DEP_3)
	v_add_co_u32 v21, vcc_lo, v33, v21
	v_add_co_ci_u32_e32 v22, vcc_lo, v34, v22, vcc_lo
	s_delay_alu instid0(VALU_DEP_3) | instskip(NEXT) | instid1(VALU_DEP_4)
	v_add_co_u32 v36, vcc_lo, v6, v23
	v_add_co_ci_u32_e32 v37, vcc_lo, v7, v24, vcc_lo
	global_load_b128 v[21:24], v[21:22], off
	global_load_b128 v[36:39], v[36:37], off
	s_waitcnt vmcnt(0)
	v_fma_f64 v[0:1], v[21:22], v[36:37], v[0:1]
	v_fma_f64 v[2:3], v[23:24], v[36:37], v[2:3]
	s_delay_alu instid0(VALU_DEP_2) | instskip(NEXT) | instid1(VALU_DEP_2)
	v_fma_f64 v[0:1], -v[23:24], v[38:39], v[0:1]
	v_fma_f64 v[2:3], v[21:22], v[38:39], v[2:3]
	s_branch .LBB43_11
.LBB43_16:                              ;   in Loop: Header=BB43_9 Depth=3
	s_or_b32 exec_lo, exec_lo, s48
.LBB43_17:                              ;   in Loop: Header=BB43_9 Depth=3
	s_delay_alu instid0(SALU_CYCLE_1) | instskip(SKIP_3) | instid1(VALU_DEP_2)
	s_or_b32 exec_lo, exec_lo, s4
	v_lshlrev_b64 v[4:5], 4, v[11:12]
	v_cmp_le_i32_e64 s3, v10, v14
	s_mov_b32 s4, exec_lo
	v_add_co_u32 v4, vcc_lo, s30, v4
	s_delay_alu instid0(VALU_DEP_3)
	v_add_co_ci_u32_e32 v5, vcc_lo, s31, v5, vcc_lo
	global_load_b128 v[4:7], v[4:5], off
	s_waitcnt vmcnt(0)
	v_add_f64 v[0:1], v[4:5], -v[0:1]
	v_add_f64 v[2:3], v[6:7], -v[2:3]
	v_cmpx_gt_i32_e64 v10, v14
	s_cbranch_execz .LBB43_27
; %bb.18:                               ;   in Loop: Header=BB43_9 Depth=3
	v_lshlrev_b64 v[4:5], 4, v[14:15]
	s_mov_b32 s48, exec_lo
                                        ; implicit-def: $vgpr23_vgpr24
	s_delay_alu instid0(VALU_DEP_1) | instskip(NEXT) | instid1(VALU_DEP_2)
	v_add_co_u32 v4, vcc_lo, s36, v4
	v_add_co_ci_u32_e32 v5, vcc_lo, s37, v5, vcc_lo
	global_load_b128 v[4:7], v[4:5], off
	s_waitcnt vmcnt(0)
	v_cmp_gt_f64_e32 vcc_lo, 0, v[4:5]
	v_xor_b32_e32 v12, 0x80000000, v5
	v_mov_b32_e32 v19, v4
	v_xor_b32_e32 v17, 0x80000000, v7
	s_delay_alu instid0(VALU_DEP_3) | instskip(SKIP_1) | instid1(VALU_DEP_3)
	v_dual_mov_b32 v21, v6 :: v_dual_cndmask_b32 v20, v5, v12
	v_cmp_gt_f64_e32 vcc_lo, 0, v[6:7]
	v_cndmask_b32_e32 v22, v7, v17, vcc_lo
	s_delay_alu instid0(VALU_DEP_1)
	v_cmpx_ngt_f64_e32 v[19:20], v[21:22]
	s_xor_b32 s48, exec_lo, s48
	s_cbranch_execz .LBB43_22
; %bb.19:                               ;   in Loop: Header=BB43_9 Depth=3
	v_mov_b32_e32 v23, 0
	v_mov_b32_e32 v24, 0
	s_mov_b32 s49, exec_lo
	v_cmpx_neq_f64_e32 0, v[6:7]
	s_cbranch_execz .LBB43_21
; %bb.20:                               ;   in Loop: Header=BB43_9 Depth=3
	v_div_scale_f64 v[23:24], null, v[21:22], v[21:22], v[19:20]
	v_div_scale_f64 v[40:41], vcc_lo, v[19:20], v[21:22], v[19:20]
	s_delay_alu instid0(VALU_DEP_2) | instskip(SKIP_2) | instid1(VALU_DEP_1)
	v_rcp_f64_e32 v[36:37], v[23:24]
	s_waitcnt_depctr 0xfff
	v_fma_f64 v[38:39], -v[23:24], v[36:37], 1.0
	v_fma_f64 v[36:37], v[36:37], v[38:39], v[36:37]
	s_delay_alu instid0(VALU_DEP_1) | instskip(NEXT) | instid1(VALU_DEP_1)
	v_fma_f64 v[38:39], -v[23:24], v[36:37], 1.0
	v_fma_f64 v[36:37], v[36:37], v[38:39], v[36:37]
	s_delay_alu instid0(VALU_DEP_1) | instskip(NEXT) | instid1(VALU_DEP_1)
	v_mul_f64 v[38:39], v[40:41], v[36:37]
	v_fma_f64 v[23:24], -v[23:24], v[38:39], v[40:41]
	s_delay_alu instid0(VALU_DEP_1) | instskip(NEXT) | instid1(VALU_DEP_1)
	v_div_fmas_f64 v[23:24], v[23:24], v[36:37], v[38:39]
	v_div_fixup_f64 v[19:20], v[23:24], v[21:22], v[19:20]
	s_delay_alu instid0(VALU_DEP_1) | instskip(NEXT) | instid1(VALU_DEP_1)
	v_fma_f64 v[19:20], v[19:20], v[19:20], 1.0
	v_cmp_gt_f64_e32 vcc_lo, 0x10000000, v[19:20]
	v_cndmask_b32_e64 v12, 0, 1, vcc_lo
	s_delay_alu instid0(VALU_DEP_1) | instskip(NEXT) | instid1(VALU_DEP_1)
	v_lshlrev_b32_e32 v12, 8, v12
	v_ldexp_f64 v[19:20], v[19:20], v12
	v_cndmask_b32_e64 v12, 0, 0xffffff80, vcc_lo
	s_delay_alu instid0(VALU_DEP_2) | instskip(SKIP_4) | instid1(VALU_DEP_1)
	v_rsq_f64_e32 v[23:24], v[19:20]
	v_cmp_class_f64_e64 vcc_lo, v[19:20], 0x260
	s_waitcnt_depctr 0xfff
	v_mul_f64 v[36:37], v[19:20], v[23:24]
	v_mul_f64 v[23:24], v[23:24], 0.5
	v_fma_f64 v[38:39], -v[23:24], v[36:37], 0.5
	s_delay_alu instid0(VALU_DEP_1) | instskip(SKIP_1) | instid1(VALU_DEP_2)
	v_fma_f64 v[36:37], v[36:37], v[38:39], v[36:37]
	v_fma_f64 v[23:24], v[23:24], v[38:39], v[23:24]
	v_fma_f64 v[38:39], -v[36:37], v[36:37], v[19:20]
	s_delay_alu instid0(VALU_DEP_1) | instskip(NEXT) | instid1(VALU_DEP_1)
	v_fma_f64 v[36:37], v[38:39], v[23:24], v[36:37]
	v_fma_f64 v[38:39], -v[36:37], v[36:37], v[19:20]
	s_delay_alu instid0(VALU_DEP_1) | instskip(NEXT) | instid1(VALU_DEP_1)
	v_fma_f64 v[23:24], v[38:39], v[23:24], v[36:37]
	v_ldexp_f64 v[23:24], v[23:24], v12
	s_delay_alu instid0(VALU_DEP_1) | instskip(NEXT) | instid1(VALU_DEP_1)
	v_dual_cndmask_b32 v19, v23, v19 :: v_dual_cndmask_b32 v20, v24, v20
	v_mul_f64 v[23:24], v[21:22], v[19:20]
.LBB43_21:                              ;   in Loop: Header=BB43_9 Depth=3
	s_or_b32 exec_lo, exec_lo, s49
                                        ; implicit-def: $vgpr19_vgpr20
                                        ; implicit-def: $vgpr21_vgpr22
.LBB43_22:                              ;   in Loop: Header=BB43_9 Depth=3
	s_and_not1_saveexec_b32 s48, s48
	s_cbranch_execz .LBB43_24
; %bb.23:                               ;   in Loop: Header=BB43_9 Depth=3
	v_div_scale_f64 v[23:24], null, v[19:20], v[19:20], v[21:22]
	v_div_scale_f64 v[40:41], vcc_lo, v[21:22], v[19:20], v[21:22]
	s_delay_alu instid0(VALU_DEP_2) | instskip(SKIP_2) | instid1(VALU_DEP_1)
	v_rcp_f64_e32 v[36:37], v[23:24]
	s_waitcnt_depctr 0xfff
	v_fma_f64 v[38:39], -v[23:24], v[36:37], 1.0
	v_fma_f64 v[36:37], v[36:37], v[38:39], v[36:37]
	s_delay_alu instid0(VALU_DEP_1) | instskip(NEXT) | instid1(VALU_DEP_1)
	v_fma_f64 v[38:39], -v[23:24], v[36:37], 1.0
	v_fma_f64 v[36:37], v[36:37], v[38:39], v[36:37]
	s_delay_alu instid0(VALU_DEP_1) | instskip(NEXT) | instid1(VALU_DEP_1)
	v_mul_f64 v[38:39], v[40:41], v[36:37]
	v_fma_f64 v[23:24], -v[23:24], v[38:39], v[40:41]
	s_delay_alu instid0(VALU_DEP_1) | instskip(NEXT) | instid1(VALU_DEP_1)
	v_div_fmas_f64 v[23:24], v[23:24], v[36:37], v[38:39]
	v_div_fixup_f64 v[21:22], v[23:24], v[19:20], v[21:22]
	s_delay_alu instid0(VALU_DEP_1) | instskip(NEXT) | instid1(VALU_DEP_1)
	v_fma_f64 v[21:22], v[21:22], v[21:22], 1.0
	v_cmp_gt_f64_e32 vcc_lo, 0x10000000, v[21:22]
	v_cndmask_b32_e64 v12, 0, 1, vcc_lo
	s_delay_alu instid0(VALU_DEP_1) | instskip(NEXT) | instid1(VALU_DEP_1)
	v_lshlrev_b32_e32 v12, 8, v12
	v_ldexp_f64 v[21:22], v[21:22], v12
	v_cndmask_b32_e64 v12, 0, 0xffffff80, vcc_lo
	s_delay_alu instid0(VALU_DEP_2) | instskip(SKIP_4) | instid1(VALU_DEP_1)
	v_rsq_f64_e32 v[23:24], v[21:22]
	v_cmp_class_f64_e64 vcc_lo, v[21:22], 0x260
	s_waitcnt_depctr 0xfff
	v_mul_f64 v[36:37], v[21:22], v[23:24]
	v_mul_f64 v[23:24], v[23:24], 0.5
	v_fma_f64 v[38:39], -v[23:24], v[36:37], 0.5
	s_delay_alu instid0(VALU_DEP_1) | instskip(SKIP_1) | instid1(VALU_DEP_2)
	v_fma_f64 v[36:37], v[36:37], v[38:39], v[36:37]
	v_fma_f64 v[23:24], v[23:24], v[38:39], v[23:24]
	v_fma_f64 v[38:39], -v[36:37], v[36:37], v[21:22]
	s_delay_alu instid0(VALU_DEP_1) | instskip(NEXT) | instid1(VALU_DEP_1)
	v_fma_f64 v[36:37], v[38:39], v[23:24], v[36:37]
	v_fma_f64 v[38:39], -v[36:37], v[36:37], v[21:22]
	s_delay_alu instid0(VALU_DEP_1) | instskip(NEXT) | instid1(VALU_DEP_1)
	v_fma_f64 v[23:24], v[38:39], v[23:24], v[36:37]
	v_ldexp_f64 v[23:24], v[23:24], v12
	s_delay_alu instid0(VALU_DEP_1) | instskip(NEXT) | instid1(VALU_DEP_1)
	v_dual_cndmask_b32 v21, v23, v21 :: v_dual_cndmask_b32 v22, v24, v22
	v_mul_f64 v[23:24], v[19:20], v[21:22]
.LBB43_24:                              ;   in Loop: Header=BB43_9 Depth=3
	s_or_b32 exec_lo, exec_lo, s48
	v_mov_b32_e32 v19, 0
	v_mov_b32_e32 v20, 0
	s_mov_b32 s48, exec_lo
	s_delay_alu instid0(VALU_DEP_1) | instskip(NEXT) | instid1(VALU_DEP_4)
	v_dual_mov_b32 v22, v20 :: v_dual_mov_b32 v21, v19
	v_cmpx_lt_f64_e32 0, v[23:24]
	s_cbranch_execz .LBB43_26
; %bb.25:                               ;   in Loop: Header=BB43_9 Depth=3
	v_mul_f64 v[19:20], v[6:7], v[6:7]
	s_delay_alu instid0(VALU_DEP_1) | instskip(NEXT) | instid1(VALU_DEP_1)
	v_fma_f64 v[19:20], v[4:5], v[4:5], v[19:20]
	v_div_scale_f64 v[21:22], null, v[19:20], v[19:20], 1.0
	v_div_scale_f64 v[38:39], vcc_lo, 1.0, v[19:20], 1.0
	s_delay_alu instid0(VALU_DEP_2) | instskip(SKIP_2) | instid1(VALU_DEP_1)
	v_rcp_f64_e32 v[23:24], v[21:22]
	s_waitcnt_depctr 0xfff
	v_fma_f64 v[36:37], -v[21:22], v[23:24], 1.0
	v_fma_f64 v[23:24], v[23:24], v[36:37], v[23:24]
	s_delay_alu instid0(VALU_DEP_1) | instskip(NEXT) | instid1(VALU_DEP_1)
	v_fma_f64 v[36:37], -v[21:22], v[23:24], 1.0
	v_fma_f64 v[23:24], v[23:24], v[36:37], v[23:24]
	s_delay_alu instid0(VALU_DEP_1) | instskip(NEXT) | instid1(VALU_DEP_1)
	v_mul_f64 v[36:37], v[38:39], v[23:24]
	v_fma_f64 v[21:22], -v[21:22], v[36:37], v[38:39]
	v_mul_f64 v[38:39], v[2:3], v[6:7]
	v_mul_f64 v[6:7], v[6:7], -v[0:1]
	s_delay_alu instid0(VALU_DEP_3) | instskip(NEXT) | instid1(VALU_DEP_3)
	v_div_fmas_f64 v[21:22], v[21:22], v[23:24], v[36:37]
	v_fma_f64 v[0:1], v[0:1], v[4:5], v[38:39]
	s_delay_alu instid0(VALU_DEP_3) | instskip(NEXT) | instid1(VALU_DEP_3)
	v_fma_f64 v[2:3], v[2:3], v[4:5], v[6:7]
	v_div_fixup_f64 v[21:22], v[21:22], v[19:20], 1.0
	s_delay_alu instid0(VALU_DEP_1) | instskip(NEXT) | instid1(VALU_DEP_3)
	v_mul_f64 v[19:20], v[0:1], v[21:22]
	v_mul_f64 v[21:22], v[2:3], v[21:22]
.LBB43_26:                              ;   in Loop: Header=BB43_9 Depth=3
	s_or_b32 exec_lo, exec_lo, s48
	s_delay_alu instid0(VALU_DEP_2) | instskip(NEXT) | instid1(VALU_DEP_2)
	v_dual_mov_b32 v0, v19 :: v_dual_mov_b32 v1, v20
	v_dual_mov_b32 v2, v21 :: v_dual_mov_b32 v3, v22
.LBB43_27:                              ;   in Loop: Header=BB43_9 Depth=3
	s_or_b32 exec_lo, exec_lo, s4
	s_delay_alu instid0(VALU_DEP_2) | instskip(NEXT) | instid1(VALU_DEP_2)
	v_cmp_gt_f64_e32 vcc_lo, 0, v[0:1]
	v_cmp_gt_f64_e64 s4, 0, v[2:3]
	v_xor_b32_e32 v4, 0x80000000, v1
	v_xor_b32_e32 v6, 0x80000000, v3
                                        ; implicit-def: $vgpr19_vgpr20
	s_delay_alu instid0(VALU_DEP_2) | instskip(NEXT) | instid1(VALU_DEP_2)
	v_cndmask_b32_e32 v5, v1, v4, vcc_lo
	v_cndmask_b32_e64 v7, v3, v6, s4
	v_cndmask_b32_e32 v4, v0, v0, vcc_lo
	v_cndmask_b32_e64 v6, v2, v2, s4
	s_mov_b32 s4, exec_lo
	s_delay_alu instid0(VALU_DEP_1)
	v_cmpx_ngt_f64_e32 v[4:5], v[6:7]
	s_xor_b32 s4, exec_lo, s4
	s_cbranch_execnz .LBB43_30
; %bb.28:                               ;   in Loop: Header=BB43_9 Depth=3
	s_and_not1_saveexec_b32 s4, s4
	s_cbranch_execnz .LBB43_33
.LBB43_29:                              ;   in Loop: Header=BB43_9 Depth=3
	s_or_b32 exec_lo, exec_lo, s4
	s_delay_alu instid0(VALU_DEP_1) | instskip(NEXT) | instid1(VALU_DEP_1)
	v_cmp_class_f64_e64 s48, v[19:20], 0x1f8
	s_and_saveexec_b32 s4, s48
	s_cbranch_execz .LBB43_8
	s_branch .LBB43_34
.LBB43_30:                              ;   in Loop: Header=BB43_9 Depth=3
	v_mov_b32_e32 v19, 0
	v_mov_b32_e32 v20, 0
	s_mov_b32 s48, exec_lo
	v_cmpx_neq_f64_e32 0, v[2:3]
	s_cbranch_execz .LBB43_32
; %bb.31:                               ;   in Loop: Header=BB43_9 Depth=3
	v_div_scale_f64 v[19:20], null, v[6:7], v[6:7], v[4:5]
	v_div_scale_f64 v[36:37], vcc_lo, v[4:5], v[6:7], v[4:5]
	s_delay_alu instid0(VALU_DEP_2) | instskip(SKIP_2) | instid1(VALU_DEP_1)
	v_rcp_f64_e32 v[21:22], v[19:20]
	s_waitcnt_depctr 0xfff
	v_fma_f64 v[23:24], -v[19:20], v[21:22], 1.0
	v_fma_f64 v[21:22], v[21:22], v[23:24], v[21:22]
	s_delay_alu instid0(VALU_DEP_1) | instskip(NEXT) | instid1(VALU_DEP_1)
	v_fma_f64 v[23:24], -v[19:20], v[21:22], 1.0
	v_fma_f64 v[21:22], v[21:22], v[23:24], v[21:22]
	s_delay_alu instid0(VALU_DEP_1) | instskip(NEXT) | instid1(VALU_DEP_1)
	v_mul_f64 v[23:24], v[36:37], v[21:22]
	v_fma_f64 v[19:20], -v[19:20], v[23:24], v[36:37]
	s_delay_alu instid0(VALU_DEP_1) | instskip(NEXT) | instid1(VALU_DEP_1)
	v_div_fmas_f64 v[19:20], v[19:20], v[21:22], v[23:24]
	v_div_fixup_f64 v[4:5], v[19:20], v[6:7], v[4:5]
	s_delay_alu instid0(VALU_DEP_1) | instskip(NEXT) | instid1(VALU_DEP_1)
	v_fma_f64 v[4:5], v[4:5], v[4:5], 1.0
	v_cmp_gt_f64_e32 vcc_lo, 0x10000000, v[4:5]
	v_cndmask_b32_e64 v12, 0, 1, vcc_lo
	s_delay_alu instid0(VALU_DEP_1) | instskip(NEXT) | instid1(VALU_DEP_1)
	v_lshlrev_b32_e32 v12, 8, v12
	v_ldexp_f64 v[4:5], v[4:5], v12
	v_cndmask_b32_e64 v12, 0, 0xffffff80, vcc_lo
	s_delay_alu instid0(VALU_DEP_2) | instskip(SKIP_4) | instid1(VALU_DEP_1)
	v_rsq_f64_e32 v[19:20], v[4:5]
	v_cmp_class_f64_e64 vcc_lo, v[4:5], 0x260
	s_waitcnt_depctr 0xfff
	v_mul_f64 v[21:22], v[4:5], v[19:20]
	v_mul_f64 v[19:20], v[19:20], 0.5
	v_fma_f64 v[23:24], -v[19:20], v[21:22], 0.5
	s_delay_alu instid0(VALU_DEP_1) | instskip(SKIP_1) | instid1(VALU_DEP_2)
	v_fma_f64 v[21:22], v[21:22], v[23:24], v[21:22]
	v_fma_f64 v[19:20], v[19:20], v[23:24], v[19:20]
	v_fma_f64 v[23:24], -v[21:22], v[21:22], v[4:5]
	s_delay_alu instid0(VALU_DEP_1) | instskip(NEXT) | instid1(VALU_DEP_1)
	v_fma_f64 v[21:22], v[23:24], v[19:20], v[21:22]
	v_fma_f64 v[23:24], -v[21:22], v[21:22], v[4:5]
	s_delay_alu instid0(VALU_DEP_1) | instskip(NEXT) | instid1(VALU_DEP_1)
	v_fma_f64 v[19:20], v[23:24], v[19:20], v[21:22]
	v_ldexp_f64 v[19:20], v[19:20], v12
	s_delay_alu instid0(VALU_DEP_1) | instskip(NEXT) | instid1(VALU_DEP_1)
	v_dual_cndmask_b32 v5, v20, v5 :: v_dual_cndmask_b32 v4, v19, v4
	v_mul_f64 v[19:20], v[6:7], v[4:5]
.LBB43_32:                              ;   in Loop: Header=BB43_9 Depth=3
	s_or_b32 exec_lo, exec_lo, s48
                                        ; implicit-def: $vgpr4_vgpr5
                                        ; implicit-def: $vgpr6_vgpr7
	s_and_not1_saveexec_b32 s4, s4
	s_cbranch_execz .LBB43_29
.LBB43_33:                              ;   in Loop: Header=BB43_9 Depth=3
	v_div_scale_f64 v[19:20], null, v[4:5], v[4:5], v[6:7]
	v_div_scale_f64 v[36:37], vcc_lo, v[6:7], v[4:5], v[6:7]
	s_delay_alu instid0(VALU_DEP_2) | instskip(SKIP_2) | instid1(VALU_DEP_1)
	v_rcp_f64_e32 v[21:22], v[19:20]
	s_waitcnt_depctr 0xfff
	v_fma_f64 v[23:24], -v[19:20], v[21:22], 1.0
	v_fma_f64 v[21:22], v[21:22], v[23:24], v[21:22]
	s_delay_alu instid0(VALU_DEP_1) | instskip(NEXT) | instid1(VALU_DEP_1)
	v_fma_f64 v[23:24], -v[19:20], v[21:22], 1.0
	v_fma_f64 v[21:22], v[21:22], v[23:24], v[21:22]
	s_delay_alu instid0(VALU_DEP_1) | instskip(NEXT) | instid1(VALU_DEP_1)
	v_mul_f64 v[23:24], v[36:37], v[21:22]
	v_fma_f64 v[19:20], -v[19:20], v[23:24], v[36:37]
	s_delay_alu instid0(VALU_DEP_1) | instskip(NEXT) | instid1(VALU_DEP_1)
	v_div_fmas_f64 v[19:20], v[19:20], v[21:22], v[23:24]
	v_div_fixup_f64 v[6:7], v[19:20], v[4:5], v[6:7]
	s_delay_alu instid0(VALU_DEP_1) | instskip(NEXT) | instid1(VALU_DEP_1)
	v_fma_f64 v[6:7], v[6:7], v[6:7], 1.0
	v_cmp_gt_f64_e32 vcc_lo, 0x10000000, v[6:7]
	v_cndmask_b32_e64 v12, 0, 1, vcc_lo
	s_delay_alu instid0(VALU_DEP_1) | instskip(NEXT) | instid1(VALU_DEP_1)
	v_lshlrev_b32_e32 v12, 8, v12
	v_ldexp_f64 v[6:7], v[6:7], v12
	v_cndmask_b32_e64 v12, 0, 0xffffff80, vcc_lo
	s_delay_alu instid0(VALU_DEP_2) | instskip(SKIP_4) | instid1(VALU_DEP_1)
	v_rsq_f64_e32 v[19:20], v[6:7]
	v_cmp_class_f64_e64 vcc_lo, v[6:7], 0x260
	s_waitcnt_depctr 0xfff
	v_mul_f64 v[21:22], v[6:7], v[19:20]
	v_mul_f64 v[19:20], v[19:20], 0.5
	v_fma_f64 v[23:24], -v[19:20], v[21:22], 0.5
	s_delay_alu instid0(VALU_DEP_1) | instskip(SKIP_1) | instid1(VALU_DEP_2)
	v_fma_f64 v[21:22], v[21:22], v[23:24], v[21:22]
	v_fma_f64 v[19:20], v[19:20], v[23:24], v[19:20]
	v_fma_f64 v[23:24], -v[21:22], v[21:22], v[6:7]
	s_delay_alu instid0(VALU_DEP_1) | instskip(NEXT) | instid1(VALU_DEP_1)
	v_fma_f64 v[21:22], v[23:24], v[19:20], v[21:22]
	v_fma_f64 v[23:24], -v[21:22], v[21:22], v[6:7]
	s_delay_alu instid0(VALU_DEP_1) | instskip(NEXT) | instid1(VALU_DEP_1)
	v_fma_f64 v[19:20], v[23:24], v[19:20], v[21:22]
	v_ldexp_f64 v[19:20], v[19:20], v12
	s_delay_alu instid0(VALU_DEP_1) | instskip(NEXT) | instid1(VALU_DEP_1)
	v_dual_cndmask_b32 v7, v20, v7 :: v_dual_cndmask_b32 v6, v19, v6
	v_mul_f64 v[19:20], v[4:5], v[6:7]
	s_or_b32 exec_lo, exec_lo, s4
	s_delay_alu instid0(VALU_DEP_1) | instskip(NEXT) | instid1(VALU_DEP_1)
	v_cmp_class_f64_e64 s48, v[19:20], 0x1f8
	s_and_saveexec_b32 s4, s48
	s_cbranch_execz .LBB43_8
.LBB43_34:                              ;   in Loop: Header=BB43_9 Depth=3
	s_mov_b32 s48, 0
                                        ; implicit-def: $vgpr4_vgpr5
	s_and_saveexec_b32 s49, s3
	s_delay_alu instid0(SALU_CYCLE_1)
	s_xor_b32 s3, exec_lo, s49
	s_cbranch_execnz .LBB43_37
; %bb.35:                               ;   in Loop: Header=BB43_9 Depth=3
	s_and_not1_saveexec_b32 s3, s3
	s_cbranch_execnz .LBB43_50
.LBB43_36:                              ;   in Loop: Header=BB43_9 Depth=3
	s_or_b32 exec_lo, exec_lo, s3
	s_delay_alu instid0(SALU_CYCLE_1)
	s_and_b32 exec_lo, exec_lo, s48
	s_cbranch_execz .LBB43_8
	s_branch .LBB43_59
.LBB43_37:                              ;   in Loop: Header=BB43_9 Depth=3
	s_mov_b32 s49, exec_lo
                                        ; implicit-def: $vgpr4_vgpr5
	v_cmpx_ge_i32_e64 v10, v14
	s_xor_b32 s49, exec_lo, s49
; %bb.38:                               ;   in Loop: Header=BB43_9 Depth=3
	v_lshlrev_b64 v[4:5], 4, v[14:15]
	s_mov_b32 s48, exec_lo
                                        ; implicit-def: $vgpr18
                                        ; implicit-def: $vgpr35
                                        ; implicit-def: $vgpr16
	s_delay_alu instid0(VALU_DEP_1) | instskip(NEXT) | instid1(VALU_DEP_2)
	v_add_co_u32 v4, vcc_lo, s38, v4
	v_add_co_ci_u32_e32 v5, vcc_lo, s39, v5, vcc_lo
; %bb.39:                               ;   in Loop: Header=BB43_9 Depth=3
	s_and_not1_saveexec_b32 s49, s49
	s_cbranch_execz .LBB43_49
; %bb.40:                               ;   in Loop: Header=BB43_9 Depth=3
	s_mov_b32 s51, s48
	s_mov_b32 s50, exec_lo
                                        ; implicit-def: $vgpr4_vgpr5
	v_cmpx_lt_i32_e64 v18, v35
	s_cbranch_execz .LBB43_48
; %bb.41:                               ;   in Loop: Header=BB43_9 Depth=3
	s_mov_b32 s52, 0
                                        ; implicit-def: $sgpr51
                                        ; implicit-def: $sgpr54
                                        ; implicit-def: $sgpr53
	s_set_inst_prefetch_distance 0x1
	s_branch .LBB43_43
	.p2align	6
.LBB43_42:                              ;   in Loop: Header=BB43_43 Depth=4
	s_or_b32 exec_lo, exec_lo, s55
	s_delay_alu instid0(SALU_CYCLE_1) | instskip(NEXT) | instid1(SALU_CYCLE_1)
	s_and_b32 s55, exec_lo, s54
	s_or_b32 s52, s55, s52
	s_and_not1_b32 s51, s51, exec_lo
	s_and_b32 s55, s53, exec_lo
	s_delay_alu instid0(SALU_CYCLE_1)
	s_or_b32 s51, s51, s55
	s_and_not1_b32 exec_lo, exec_lo, s52
	s_cbranch_execz .LBB43_45
.LBB43_43:                              ;   Parent Loop BB43_3 Depth=1
                                        ;     Parent Loop BB43_5 Depth=2
                                        ;       Parent Loop BB43_9 Depth=3
                                        ; =>      This Inner Loop Header: Depth=4
	v_add_nc_u32_e32 v6, v16, v18
	s_or_b32 s53, s53, exec_lo
	s_or_b32 s54, s54, exec_lo
	s_mov_b32 s55, exec_lo
	s_delay_alu instid0(VALU_DEP_1) | instskip(NEXT) | instid1(VALU_DEP_1)
	v_ashrrev_i32_e32 v7, 31, v6
	v_lshlrev_b64 v[4:5], 2, v[6:7]
	s_delay_alu instid0(VALU_DEP_1) | instskip(NEXT) | instid1(VALU_DEP_2)
	v_add_co_u32 v4, vcc_lo, s12, v4
	v_add_co_ci_u32_e32 v5, vcc_lo, s13, v5, vcc_lo
	global_load_b32 v4, v[4:5], off
	s_waitcnt vmcnt(0)
	v_subrev_nc_u32_e32 v4, s43, v4
	s_delay_alu instid0(VALU_DEP_1)
	v_cmpx_ne_u32_e64 v4, v10
	s_cbranch_execz .LBB43_42
; %bb.44:                               ;   in Loop: Header=BB43_43 Depth=4
	v_add_nc_u32_e32 v18, 1, v18
	s_and_not1_b32 s54, s54, exec_lo
	s_and_not1_b32 s53, s53, exec_lo
	s_delay_alu instid0(VALU_DEP_1) | instskip(SKIP_1) | instid1(SALU_CYCLE_1)
	v_cmp_ge_i32_e32 vcc_lo, v18, v35
	s_and_b32 s56, vcc_lo, exec_lo
	s_or_b32 s54, s54, s56
	s_branch .LBB43_42
.LBB43_45:                              ;   in Loop: Header=BB43_9 Depth=3
	s_set_inst_prefetch_distance 0x2
	s_or_b32 exec_lo, exec_lo, s52
	s_mov_b32 s52, s48
                                        ; implicit-def: $vgpr4_vgpr5
	s_and_saveexec_b32 s53, s51
	s_delay_alu instid0(SALU_CYCLE_1)
	s_xor_b32 s51, exec_lo, s53
; %bb.46:                               ;   in Loop: Header=BB43_9 Depth=3
	v_lshlrev_b64 v[4:5], 4, v[6:7]
	s_or_b32 s52, s48, exec_lo
	s_delay_alu instid0(VALU_DEP_1) | instskip(NEXT) | instid1(VALU_DEP_2)
	v_add_co_u32 v4, vcc_lo, s34, v4
	v_add_co_ci_u32_e32 v5, vcc_lo, s35, v5, vcc_lo
; %bb.47:                               ;   in Loop: Header=BB43_9 Depth=3
	s_or_b32 exec_lo, exec_lo, s51
	s_delay_alu instid0(SALU_CYCLE_1) | instskip(SKIP_1) | instid1(SALU_CYCLE_1)
	s_and_not1_b32 s51, s48, exec_lo
	s_and_b32 s52, s52, exec_lo
	s_or_b32 s51, s51, s52
.LBB43_48:                              ;   in Loop: Header=BB43_9 Depth=3
	s_or_b32 exec_lo, exec_lo, s50
	s_delay_alu instid0(SALU_CYCLE_1) | instskip(SKIP_1) | instid1(SALU_CYCLE_1)
	s_and_not1_b32 s48, s48, exec_lo
	s_and_b32 s50, s51, exec_lo
	s_or_b32 s48, s48, s50
.LBB43_49:                              ;   in Loop: Header=BB43_9 Depth=3
	s_or_b32 exec_lo, exec_lo, s49
	s_delay_alu instid0(SALU_CYCLE_1)
	s_and_b32 s48, s48, exec_lo
                                        ; implicit-def: $vgpr14_vgpr15
	s_and_not1_saveexec_b32 s3, s3
	s_cbranch_execz .LBB43_36
.LBB43_50:                              ;   in Loop: Header=BB43_9 Depth=3
	s_mov_b32 s50, s48
	s_mov_b32 s49, exec_lo
                                        ; implicit-def: $vgpr4_vgpr5
	v_cmpx_lt_i32_e64 v8, v30
	s_cbranch_execz .LBB43_58
; %bb.51:                               ;   in Loop: Header=BB43_9 Depth=3
	s_mov_b32 s51, 0
                                        ; implicit-def: $sgpr50
                                        ; implicit-def: $sgpr53
                                        ; implicit-def: $sgpr52
	s_set_inst_prefetch_distance 0x1
	s_branch .LBB43_53
	.p2align	6
.LBB43_52:                              ;   in Loop: Header=BB43_53 Depth=4
	s_or_b32 exec_lo, exec_lo, s54
	s_delay_alu instid0(SALU_CYCLE_1) | instskip(NEXT) | instid1(SALU_CYCLE_1)
	s_and_b32 s54, exec_lo, s53
	s_or_b32 s51, s54, s51
	s_and_not1_b32 s50, s50, exec_lo
	s_and_b32 s54, s52, exec_lo
	s_delay_alu instid0(SALU_CYCLE_1)
	s_or_b32 s50, s50, s54
	s_and_not1_b32 exec_lo, exec_lo, s51
	s_cbranch_execz .LBB43_55
.LBB43_53:                              ;   Parent Loop BB43_3 Depth=1
                                        ;     Parent Loop BB43_5 Depth=2
                                        ;       Parent Loop BB43_9 Depth=3
                                        ; =>      This Inner Loop Header: Depth=4
	v_add_nc_u32_e32 v6, v13, v8
	s_or_b32 s52, s52, exec_lo
	s_or_b32 s53, s53, exec_lo
	s_mov_b32 s54, exec_lo
	s_delay_alu instid0(VALU_DEP_1) | instskip(NEXT) | instid1(VALU_DEP_1)
	v_ashrrev_i32_e32 v7, 31, v6
	v_lshlrev_b64 v[4:5], 2, v[6:7]
	s_delay_alu instid0(VALU_DEP_1) | instskip(NEXT) | instid1(VALU_DEP_2)
	v_add_co_u32 v4, vcc_lo, s20, v4
	v_add_co_ci_u32_e32 v5, vcc_lo, s21, v5, vcc_lo
	global_load_b32 v4, v[4:5], off
	s_waitcnt vmcnt(0)
	v_subrev_nc_u32_e32 v4, s42, v4
	s_delay_alu instid0(VALU_DEP_1)
	v_cmpx_ne_u32_e64 v4, v14
	s_cbranch_execz .LBB43_52
; %bb.54:                               ;   in Loop: Header=BB43_53 Depth=4
	v_add_nc_u32_e32 v8, 1, v8
	s_and_not1_b32 s53, s53, exec_lo
	s_and_not1_b32 s52, s52, exec_lo
	s_delay_alu instid0(VALU_DEP_1) | instskip(SKIP_1) | instid1(SALU_CYCLE_1)
	v_cmp_ge_i32_e32 vcc_lo, v8, v30
	s_and_b32 s55, vcc_lo, exec_lo
	s_or_b32 s53, s53, s55
	s_branch .LBB43_52
.LBB43_55:                              ;   in Loop: Header=BB43_9 Depth=3
	s_set_inst_prefetch_distance 0x2
	s_or_b32 exec_lo, exec_lo, s51
	s_mov_b32 s51, s48
                                        ; implicit-def: $vgpr4_vgpr5
	s_and_saveexec_b32 s52, s50
	s_delay_alu instid0(SALU_CYCLE_1)
	s_xor_b32 s50, exec_lo, s52
; %bb.56:                               ;   in Loop: Header=BB43_9 Depth=3
	v_lshlrev_b64 v[4:5], 4, v[6:7]
	s_or_b32 s51, s48, exec_lo
	s_delay_alu instid0(VALU_DEP_1) | instskip(NEXT) | instid1(VALU_DEP_2)
	v_add_co_u32 v4, vcc_lo, s40, v4
	v_add_co_ci_u32_e32 v5, vcc_lo, s41, v5, vcc_lo
; %bb.57:                               ;   in Loop: Header=BB43_9 Depth=3
	s_or_b32 exec_lo, exec_lo, s50
	s_delay_alu instid0(SALU_CYCLE_1) | instskip(SKIP_1) | instid1(SALU_CYCLE_1)
	s_and_not1_b32 s50, s48, exec_lo
	s_and_b32 s51, s51, exec_lo
	s_or_b32 s50, s50, s51
.LBB43_58:                              ;   in Loop: Header=BB43_9 Depth=3
	s_or_b32 exec_lo, exec_lo, s49
	s_delay_alu instid0(SALU_CYCLE_1) | instskip(SKIP_1) | instid1(SALU_CYCLE_1)
	s_and_not1_b32 s48, s48, exec_lo
	s_and_b32 s49, s50, exec_lo
	s_or_b32 s48, s48, s49
	s_or_b32 exec_lo, exec_lo, s3
	s_delay_alu instid0(SALU_CYCLE_1)
	s_and_b32 exec_lo, exec_lo, s48
	s_cbranch_execz .LBB43_8
.LBB43_59:                              ;   in Loop: Header=BB43_9 Depth=3
	global_store_b128 v[4:5], v[0:3], off
	s_branch .LBB43_8
.LBB43_60:                              ;   in Loop: Header=BB43_3 Depth=1
	s_and_saveexec_b32 s3, s0
	s_cbranch_execz .LBB43_2
; %bb.61:                               ;   in Loop: Header=BB43_3 Depth=1
	v_mov_b32_e32 v0, v25
	s_mov_b32 s4, 0
	s_branch .LBB43_63
.LBB43_62:                              ;   in Loop: Header=BB43_63 Depth=2
	s_or_b32 exec_lo, exec_lo, s45
	v_add_nc_u32_e32 v0, 0x200, v0
	s_delay_alu instid0(VALU_DEP_1) | instskip(SKIP_1) | instid1(SALU_CYCLE_1)
	v_cmp_le_u32_e32 vcc_lo, s44, v0
	s_or_b32 s4, vcc_lo, s4
	s_and_not1_b32 exec_lo, exec_lo, s4
	s_cbranch_execz .LBB43_2
.LBB43_63:                              ;   Parent Loop BB43_3 Depth=1
                                        ; =>  This Loop Header: Depth=2
                                        ;       Child Loop BB43_66 Depth 3
                                        ;       Child Loop BB43_69 Depth 3
	s_mov_b32 s45, exec_lo
	s_delay_alu instid0(VALU_DEP_1)
	v_cmpx_gt_i32_e64 s7, v0
	s_cbranch_execz .LBB43_62
; %bb.64:                               ;   in Loop: Header=BB43_63 Depth=2
	v_ashrrev_i32_e32 v1, 31, v0
	s_mov_b32 s46, exec_lo
	s_delay_alu instid0(VALU_DEP_1) | instskip(NEXT) | instid1(VALU_DEP_1)
	v_lshlrev_b64 v[2:3], 2, v[0:1]
	v_add_co_u32 v4, vcc_lo, s16, v2
	s_delay_alu instid0(VALU_DEP_2)
	v_add_co_ci_u32_e32 v5, vcc_lo, s17, v3, vcc_lo
	v_add_co_u32 v6, vcc_lo, s18, v2
	v_add_co_ci_u32_e32 v7, vcc_lo, s19, v3, vcc_lo
	global_load_b32 v4, v[4:5], off
	global_load_b32 v5, v[6:7], off
	s_waitcnt vmcnt(1)
	v_add_nc_u32_e32 v4, v27, v4
	s_waitcnt vmcnt(0)
	v_subrev_nc_u32_e32 v10, s42, v5
	s_delay_alu instid0(VALU_DEP_1)
	v_cmpx_lt_i32_e64 v4, v10
	s_cbranch_execz .LBB43_67
; %bb.65:                               ;   in Loop: Header=BB43_63 Depth=2
	v_ashrrev_i32_e32 v5, 31, v4
	s_mov_b32 s47, 0
	s_delay_alu instid0(VALU_DEP_1) | instskip(NEXT) | instid1(VALU_DEP_1)
	v_lshlrev_b64 v[7:8], 4, v[4:5]
	v_add_co_u32 v5, vcc_lo, s22, v7
	s_delay_alu instid0(VALU_DEP_2)
	v_add_co_ci_u32_e32 v6, vcc_lo, s23, v8, vcc_lo
	v_add_co_u32 v7, vcc_lo, s40, v7
	v_add_co_ci_u32_e32 v8, vcc_lo, s41, v8, vcc_lo
.LBB43_66:                              ;   Parent Loop BB43_3 Depth=1
                                        ;     Parent Loop BB43_63 Depth=2
                                        ; =>    This Inner Loop Header: Depth=3
	global_load_b128 v[11:14], v[7:8], off
	v_add_nc_u32_e32 v4, 2, v4
	v_add_co_u32 v7, vcc_lo, v7, 32
	v_add_co_ci_u32_e32 v8, vcc_lo, 0, v8, vcc_lo
	s_delay_alu instid0(VALU_DEP_3) | instskip(SKIP_4) | instid1(VALU_DEP_1)
	v_cmp_ge_i32_e32 vcc_lo, v4, v10
	s_or_b32 s47, vcc_lo, s47
	s_waitcnt vmcnt(0)
	global_store_b128 v[5:6], v[11:14], off
	v_add_co_u32 v5, s2, v5, 32
	v_add_co_ci_u32_e64 v6, s2, 0, v6, s2
	s_and_not1_b32 exec_lo, exec_lo, s47
	s_cbranch_execnz .LBB43_66
.LBB43_67:                              ;   in Loop: Header=BB43_63 Depth=2
	s_or_b32 exec_lo, exec_lo, s46
	v_add_co_u32 v4, vcc_lo, s8, v2
	v_add_co_ci_u32_e32 v5, vcc_lo, s9, v3, vcc_lo
	v_add_co_u32 v2, vcc_lo, s10, v2
	v_add_co_ci_u32_e32 v3, vcc_lo, s11, v3, vcc_lo
	s_mov_b32 s46, exec_lo
	global_load_b32 v4, v[4:5], off
	global_load_b32 v3, v[2:3], off
	s_waitcnt vmcnt(1)
	v_add_nc_u32_e32 v2, v28, v4
	s_waitcnt vmcnt(0)
	v_subrev_nc_u32_e32 v7, s43, v3
	s_delay_alu instid0(VALU_DEP_1)
	v_cmpx_lt_i32_e64 v2, v7
	s_cbranch_execz .LBB43_70
; %bb.68:                               ;   in Loop: Header=BB43_63 Depth=2
	v_ashrrev_i32_e32 v3, 31, v2
	s_mov_b32 s47, 0
	s_delay_alu instid0(VALU_DEP_1) | instskip(NEXT) | instid1(VALU_DEP_1)
	v_lshlrev_b64 v[5:6], 4, v[2:3]
	v_add_co_u32 v3, vcc_lo, s14, v5
	s_delay_alu instid0(VALU_DEP_2)
	v_add_co_ci_u32_e32 v4, vcc_lo, s15, v6, vcc_lo
	v_add_co_u32 v5, vcc_lo, s34, v5
	v_add_co_ci_u32_e32 v6, vcc_lo, s35, v6, vcc_lo
.LBB43_69:                              ;   Parent Loop BB43_3 Depth=1
                                        ;     Parent Loop BB43_63 Depth=2
                                        ; =>    This Inner Loop Header: Depth=3
	global_load_b128 v[10:13], v[5:6], off
	v_add_nc_u32_e32 v2, 2, v2
	v_add_co_u32 v5, vcc_lo, v5, 32
	v_add_co_ci_u32_e32 v6, vcc_lo, 0, v6, vcc_lo
	s_delay_alu instid0(VALU_DEP_3) | instskip(SKIP_4) | instid1(VALU_DEP_1)
	v_cmp_ge_i32_e32 vcc_lo, v2, v7
	s_or_b32 s47, vcc_lo, s47
	s_waitcnt vmcnt(0)
	global_store_b128 v[3:4], v[10:13], off
	v_add_co_u32 v3, s2, v3, 32
	v_add_co_ci_u32_e64 v4, s2, 0, v4, s2
	s_and_not1_b32 exec_lo, exec_lo, s47
	s_cbranch_execnz .LBB43_69
.LBB43_70:                              ;   in Loop: Header=BB43_63 Depth=2
	s_or_b32 exec_lo, exec_lo, s46
	s_delay_alu instid0(SALU_CYCLE_1)
	s_and_b32 exec_lo, exec_lo, s1
	s_cbranch_execz .LBB43_62
; %bb.71:                               ;   in Loop: Header=BB43_63 Depth=2
	v_lshlrev_b64 v[5:6], 4, v[0:1]
	s_delay_alu instid0(VALU_DEP_1) | instskip(NEXT) | instid1(VALU_DEP_2)
	v_add_co_u32 v1, vcc_lo, s38, v5
	v_add_co_ci_u32_e32 v2, vcc_lo, s39, v6, vcc_lo
	v_add_co_u32 v5, vcc_lo, s36, v5
	v_add_co_ci_u32_e32 v6, vcc_lo, s37, v6, vcc_lo
	global_load_b128 v[1:4], v[1:2], off
	s_waitcnt vmcnt(0)
	global_store_b128 v[5:6], v[1:4], off
	s_branch .LBB43_62
.LBB43_72:
	s_nop 0
	s_sendmsg sendmsg(MSG_DEALLOC_VGPRS)
	s_endpgm
	.section	.rodata,"a",@progbits
	.p2align	6, 0x0
	.amdhsa_kernel _ZN9rocsparseL14kernel_freerunILi1024ELi2E21rocsparse_complex_numIdEiiEEvT3_S3_T2_PKS4_S6_PKS3_PKT1_21rocsparse_index_base_S6_S6_S8_PS9_SD_SC_S6_S6_S8_SD_SD_SC_SD_SD_
		.amdhsa_group_segment_fixed_size 0
		.amdhsa_private_segment_fixed_size 0
		.amdhsa_kernarg_size 168
		.amdhsa_user_sgpr_count 15
		.amdhsa_user_sgpr_dispatch_ptr 0
		.amdhsa_user_sgpr_queue_ptr 0
		.amdhsa_user_sgpr_kernarg_segment_ptr 1
		.amdhsa_user_sgpr_dispatch_id 0
		.amdhsa_user_sgpr_private_segment_size 0
		.amdhsa_wavefront_size32 1
		.amdhsa_uses_dynamic_stack 0
		.amdhsa_enable_private_segment 0
		.amdhsa_system_sgpr_workgroup_id_x 1
		.amdhsa_system_sgpr_workgroup_id_y 0
		.amdhsa_system_sgpr_workgroup_id_z 0
		.amdhsa_system_sgpr_workgroup_info 0
		.amdhsa_system_vgpr_workitem_id 0
		.amdhsa_next_free_vgpr 42
		.amdhsa_next_free_sgpr 57
		.amdhsa_reserve_vcc 1
		.amdhsa_float_round_mode_32 0
		.amdhsa_float_round_mode_16_64 0
		.amdhsa_float_denorm_mode_32 3
		.amdhsa_float_denorm_mode_16_64 3
		.amdhsa_dx10_clamp 1
		.amdhsa_ieee_mode 1
		.amdhsa_fp16_overflow 0
		.amdhsa_workgroup_processor_mode 1
		.amdhsa_memory_ordered 1
		.amdhsa_forward_progress 0
		.amdhsa_shared_vgpr_count 0
		.amdhsa_exception_fp_ieee_invalid_op 0
		.amdhsa_exception_fp_denorm_src 0
		.amdhsa_exception_fp_ieee_div_zero 0
		.amdhsa_exception_fp_ieee_overflow 0
		.amdhsa_exception_fp_ieee_underflow 0
		.amdhsa_exception_fp_ieee_inexact 0
		.amdhsa_exception_int_div_zero 0
	.end_amdhsa_kernel
	.section	.text._ZN9rocsparseL14kernel_freerunILi1024ELi2E21rocsparse_complex_numIdEiiEEvT3_S3_T2_PKS4_S6_PKS3_PKT1_21rocsparse_index_base_S6_S6_S8_PS9_SD_SC_S6_S6_S8_SD_SD_SC_SD_SD_,"axG",@progbits,_ZN9rocsparseL14kernel_freerunILi1024ELi2E21rocsparse_complex_numIdEiiEEvT3_S3_T2_PKS4_S6_PKS3_PKT1_21rocsparse_index_base_S6_S6_S8_PS9_SD_SC_S6_S6_S8_SD_SD_SC_SD_SD_,comdat
.Lfunc_end43:
	.size	_ZN9rocsparseL14kernel_freerunILi1024ELi2E21rocsparse_complex_numIdEiiEEvT3_S3_T2_PKS4_S6_PKS3_PKT1_21rocsparse_index_base_S6_S6_S8_PS9_SD_SC_S6_S6_S8_SD_SD_SC_SD_SD_, .Lfunc_end43-_ZN9rocsparseL14kernel_freerunILi1024ELi2E21rocsparse_complex_numIdEiiEEvT3_S3_T2_PKS4_S6_PKS3_PKT1_21rocsparse_index_base_S6_S6_S8_PS9_SD_SC_S6_S6_S8_SD_SD_SC_SD_SD_
                                        ; -- End function
	.section	.AMDGPU.csdata,"",@progbits
; Kernel info:
; codeLenInByte = 4184
; NumSgprs: 59
; NumVgprs: 42
; ScratchSize: 0
; MemoryBound: 1
; FloatMode: 240
; IeeeMode: 1
; LDSByteSize: 0 bytes/workgroup (compile time only)
; SGPRBlocks: 7
; VGPRBlocks: 5
; NumSGPRsForWavesPerEU: 59
; NumVGPRsForWavesPerEU: 42
; Occupancy: 16
; WaveLimiterHint : 1
; COMPUTE_PGM_RSRC2:SCRATCH_EN: 0
; COMPUTE_PGM_RSRC2:USER_SGPR: 15
; COMPUTE_PGM_RSRC2:TRAP_HANDLER: 0
; COMPUTE_PGM_RSRC2:TGID_X_EN: 1
; COMPUTE_PGM_RSRC2:TGID_Y_EN: 0
; COMPUTE_PGM_RSRC2:TGID_Z_EN: 0
; COMPUTE_PGM_RSRC2:TIDIG_COMP_CNT: 0
	.section	.text._ZN9rocsparseL14kernel_freerunILi1024ELi4E21rocsparse_complex_numIdEiiEEvT3_S3_T2_PKS4_S6_PKS3_PKT1_21rocsparse_index_base_S6_S6_S8_PS9_SD_SC_S6_S6_S8_SD_SD_SC_SD_SD_,"axG",@progbits,_ZN9rocsparseL14kernel_freerunILi1024ELi4E21rocsparse_complex_numIdEiiEEvT3_S3_T2_PKS4_S6_PKS3_PKT1_21rocsparse_index_base_S6_S6_S8_PS9_SD_SC_S6_S6_S8_SD_SD_SC_SD_SD_,comdat
	.globl	_ZN9rocsparseL14kernel_freerunILi1024ELi4E21rocsparse_complex_numIdEiiEEvT3_S3_T2_PKS4_S6_PKS3_PKT1_21rocsparse_index_base_S6_S6_S8_PS9_SD_SC_S6_S6_S8_SD_SD_SC_SD_SD_ ; -- Begin function _ZN9rocsparseL14kernel_freerunILi1024ELi4E21rocsparse_complex_numIdEiiEEvT3_S3_T2_PKS4_S6_PKS3_PKT1_21rocsparse_index_base_S6_S6_S8_PS9_SD_SC_S6_S6_S8_SD_SD_SC_SD_SD_
	.p2align	8
	.type	_ZN9rocsparseL14kernel_freerunILi1024ELi4E21rocsparse_complex_numIdEiiEEvT3_S3_T2_PKS4_S6_PKS3_PKT1_21rocsparse_index_base_S6_S6_S8_PS9_SD_SC_S6_S6_S8_SD_SD_SC_SD_SD_,@function
_ZN9rocsparseL14kernel_freerunILi1024ELi4E21rocsparse_complex_numIdEiiEEvT3_S3_T2_PKS4_S6_PKS3_PKT1_21rocsparse_index_base_S6_S6_S8_PS9_SD_SC_S6_S6_S8_SD_SD_SC_SD_SD_: ; @_ZN9rocsparseL14kernel_freerunILi1024ELi4E21rocsparse_complex_numIdEiiEEvT3_S3_T2_PKS4_S6_PKS3_PKT1_21rocsparse_index_base_S6_S6_S8_PS9_SD_SC_S6_S6_S8_SD_SD_SC_SD_SD_
; %bb.0:
	s_load_b64 s[6:7], s[0:1], 0x0
	v_lshrrev_b32_e32 v1, 2, v0
	s_lshl_b32 s44, s15, 10
	s_mov_b32 s5, 0
	s_delay_alu instid0(VALU_DEP_1) | instskip(SKIP_1) | instid1(VALU_DEP_1)
	v_or_b32_e32 v25, s44, v1
	s_waitcnt lgkmcnt(0)
	v_cmp_gt_i32_e32 vcc_lo, s7, v25
	s_cmp_gt_i32 s6, 0
	s_cselect_b32 s2, -1, 0
	s_delay_alu instid0(SALU_CYCLE_1) | instskip(NEXT) | instid1(SALU_CYCLE_1)
	s_and_b32 s2, vcc_lo, s2
	s_and_saveexec_b32 s3, s2
	s_cbranch_execz .LBB44_72
; %bb.1:
	s_clause 0x8
	s_load_b32 s33, s[0:1], 0x30
	s_load_b32 s42, s[0:1], 0x60
	s_load_b32 s43, s[0:1], 0x90
	s_load_b64 s[34:35], s[0:1], 0x88
	s_load_b64 s[40:41], s[0:1], 0x58
	s_load_b128 s[36:39], s[0:1], 0x98
	s_load_b256 s[8:15], s[0:1], 0x68
	s_load_b256 s[16:23], s[0:1], 0x38
	;; [unrolled: 1-line block ×3, first 2 shown]
	v_dual_mov_b32 v9, 0 :: v_dual_and_b32 v0, 3, v0
	s_addk_i32 s44, 0x400
	s_delay_alu instid0(SALU_CYCLE_1) | instskip(NEXT) | instid1(VALU_DEP_2)
	v_cmp_gt_u32_e64 s0, s44, v25
	v_cmp_eq_u32_e64 s1, 0, v0
	s_waitcnt lgkmcnt(0)
	v_subrev_nc_u32_e32 v26, s33, v0
	v_subrev_nc_u32_e32 v27, s42, v0
	;; [unrolled: 1-line block ×3, first 2 shown]
	s_branch .LBB44_3
.LBB44_2:                               ;   in Loop: Header=BB44_3 Depth=1
	s_or_b32 exec_lo, exec_lo, s3
	s_add_i32 s5, s5, 1
	s_delay_alu instid0(SALU_CYCLE_1)
	s_cmp_eq_u32 s5, s6
	s_cbranch_scc1 .LBB44_72
.LBB44_3:                               ; =>This Loop Header: Depth=1
                                        ;     Child Loop BB44_5 Depth 2
                                        ;       Child Loop BB44_9 Depth 3
                                        ;         Child Loop BB44_13 Depth 4
                                        ;         Child Loop BB44_43 Depth 4
	;; [unrolled: 1-line block ×3, first 2 shown]
                                        ;     Child Loop BB44_63 Depth 2
                                        ;       Child Loop BB44_66 Depth 3
                                        ;       Child Loop BB44_69 Depth 3
	s_mov_b32 s45, 0
	s_branch .LBB44_5
.LBB44_4:                               ;   in Loop: Header=BB44_5 Depth=2
	s_or_b32 exec_lo, exec_lo, s46
	s_add_i32 s45, s45, 1
	s_delay_alu instid0(SALU_CYCLE_1)
	s_cmp_eq_u32 s45, 4
	s_cbranch_scc1 .LBB44_60
.LBB44_5:                               ;   Parent Loop BB44_3 Depth=1
                                        ; =>  This Loop Header: Depth=2
                                        ;       Child Loop BB44_9 Depth 3
                                        ;         Child Loop BB44_13 Depth 4
                                        ;         Child Loop BB44_43 Depth 4
	;; [unrolled: 1-line block ×3, first 2 shown]
	v_lshl_add_u32 v10, s45, 8, v25
	s_mov_b32 s46, exec_lo
	s_delay_alu instid0(VALU_DEP_1)
	v_cmpx_gt_i32_e64 s7, v10
	s_cbranch_execz .LBB44_4
; %bb.6:                                ;   in Loop: Header=BB44_5 Depth=2
	v_ashrrev_i32_e32 v11, 31, v10
	s_delay_alu instid0(VALU_DEP_1) | instskip(NEXT) | instid1(VALU_DEP_1)
	v_lshlrev_b64 v[0:1], 2, v[10:11]
	v_add_co_u32 v2, vcc_lo, s24, v0
	s_delay_alu instid0(VALU_DEP_2)
	v_add_co_ci_u32_e32 v3, vcc_lo, s25, v1, vcc_lo
	v_add_co_u32 v4, vcc_lo, s26, v0
	v_add_co_ci_u32_e32 v5, vcc_lo, s27, v1, vcc_lo
	global_load_b32 v2, v[2:3], off
	global_load_b32 v3, v[4:5], off
	s_waitcnt vmcnt(1)
	v_add_nc_u32_e32 v11, v26, v2
	s_waitcnt vmcnt(0)
	v_subrev_nc_u32_e32 v29, s33, v3
	s_delay_alu instid0(VALU_DEP_1)
	v_cmp_lt_i32_e32 vcc_lo, v11, v29
	s_and_b32 exec_lo, exec_lo, vcc_lo
	s_cbranch_execz .LBB44_4
; %bb.7:                                ;   in Loop: Header=BB44_5 Depth=2
	v_add_co_u32 v2, vcc_lo, s16, v0
	v_add_co_ci_u32_e32 v3, vcc_lo, s17, v1, vcc_lo
	v_add_co_u32 v0, vcc_lo, s18, v0
	v_add_co_ci_u32_e32 v1, vcc_lo, s19, v1, vcc_lo
	global_load_b32 v2, v[2:3], off
	s_mov_b32 s47, 0
	global_load_b32 v3, v[0:1], off
	s_waitcnt vmcnt(1)
	v_subrev_nc_u32_e32 v13, s42, v2
	s_waitcnt vmcnt(0)
	v_sub_nc_u32_e32 v30, v3, v2
	s_delay_alu instid0(VALU_DEP_2) | instskip(NEXT) | instid1(VALU_DEP_2)
	v_ashrrev_i32_e32 v14, 31, v13
	v_cmp_lt_i32_e64 s2, 0, v30
	s_delay_alu instid0(VALU_DEP_2) | instskip(SKIP_1) | instid1(VALU_DEP_2)
	v_lshlrev_b64 v[0:1], 2, v[13:14]
	v_lshlrev_b64 v[2:3], 4, v[13:14]
	v_add_co_u32 v31, vcc_lo, s20, v0
	s_delay_alu instid0(VALU_DEP_3) | instskip(NEXT) | instid1(VALU_DEP_3)
	v_add_co_ci_u32_e32 v32, vcc_lo, s21, v1, vcc_lo
	v_add_co_u32 v33, vcc_lo, s22, v2
	s_delay_alu instid0(VALU_DEP_4)
	v_add_co_ci_u32_e32 v34, vcc_lo, s23, v3, vcc_lo
	s_branch .LBB44_9
.LBB44_8:                               ;   in Loop: Header=BB44_9 Depth=3
	s_or_b32 exec_lo, exec_lo, s4
	v_add_nc_u32_e32 v11, 4, v11
	s_delay_alu instid0(VALU_DEP_1) | instskip(SKIP_1) | instid1(SALU_CYCLE_1)
	v_cmp_ge_i32_e32 vcc_lo, v11, v29
	s_or_b32 s47, vcc_lo, s47
	s_and_not1_b32 exec_lo, exec_lo, s47
	s_cbranch_execz .LBB44_4
.LBB44_9:                               ;   Parent Loop BB44_3 Depth=1
                                        ;     Parent Loop BB44_5 Depth=2
                                        ; =>    This Loop Header: Depth=3
                                        ;         Child Loop BB44_13 Depth 4
                                        ;         Child Loop BB44_43 Depth 4
	;; [unrolled: 1-line block ×3, first 2 shown]
	v_ashrrev_i32_e32 v12, 31, v11
	v_mov_b32_e32 v18, 0
	v_mov_b32_e32 v8, 0
	s_delay_alu instid0(VALU_DEP_3) | instskip(NEXT) | instid1(VALU_DEP_1)
	v_lshlrev_b64 v[0:1], 2, v[11:12]
	v_add_co_u32 v0, vcc_lo, s28, v0
	s_delay_alu instid0(VALU_DEP_2) | instskip(SKIP_3) | instid1(VALU_DEP_1)
	v_add_co_ci_u32_e32 v1, vcc_lo, s29, v1, vcc_lo
	global_load_b32 v0, v[0:1], off
	s_waitcnt vmcnt(0)
	v_subrev_nc_u32_e32 v14, s33, v0
	v_ashrrev_i32_e32 v15, 31, v14
	s_delay_alu instid0(VALU_DEP_1) | instskip(NEXT) | instid1(VALU_DEP_1)
	v_lshlrev_b64 v[0:1], 2, v[14:15]
	v_add_co_u32 v2, vcc_lo, s8, v0
	s_delay_alu instid0(VALU_DEP_2)
	v_add_co_ci_u32_e32 v3, vcc_lo, s9, v1, vcc_lo
	v_add_co_u32 v0, vcc_lo, s10, v0
	v_add_co_ci_u32_e32 v1, vcc_lo, s11, v1, vcc_lo
	global_load_b32 v4, v[2:3], off
	global_load_b32 v5, v[0:1], off
	v_mov_b32_e32 v0, 0
	v_mov_b32_e32 v1, 0
	s_delay_alu instid0(VALU_DEP_1)
	v_dual_mov_b32 v3, v1 :: v_dual_mov_b32 v2, v0
	s_waitcnt vmcnt(1)
	v_subrev_nc_u32_e32 v16, s43, v4
	s_waitcnt vmcnt(0)
	v_sub_nc_u32_e32 v35, v5, v4
	s_and_saveexec_b32 s4, s2
	s_cbranch_execz .LBB44_17
; %bb.10:                               ;   in Loop: Header=BB44_9 Depth=3
	v_ashrrev_i32_e32 v17, 31, v16
	v_mov_b32_e32 v0, 0
	v_dual_mov_b32 v18, 0 :: v_dual_mov_b32 v1, 0
	s_mov_b32 s48, 0
	s_delay_alu instid0(VALU_DEP_3) | instskip(SKIP_1) | instid1(VALU_DEP_3)
	v_lshlrev_b64 v[2:3], 2, v[16:17]
	v_lshlrev_b64 v[6:7], 4, v[16:17]
	v_mov_b32_e32 v8, v18
                                        ; implicit-def: $sgpr49
	s_delay_alu instid0(VALU_DEP_3) | instskip(NEXT) | instid1(VALU_DEP_4)
	v_add_co_u32 v4, vcc_lo, s12, v2
	v_add_co_ci_u32_e32 v5, vcc_lo, s13, v3, vcc_lo
	v_mov_b32_e32 v3, v1
	v_add_co_u32 v6, vcc_lo, s14, v6
	v_add_co_ci_u32_e32 v7, vcc_lo, s15, v7, vcc_lo
	v_mov_b32_e32 v2, v0
	s_branch .LBB44_13
.LBB44_11:                              ;   in Loop: Header=BB44_13 Depth=4
	s_or_b32 exec_lo, exec_lo, s3
	v_cmp_le_i32_e32 vcc_lo, v17, v20
	v_cmp_ge_i32_e64 s3, v17, v20
	v_add_co_ci_u32_e32 v8, vcc_lo, 0, v8, vcc_lo
	s_delay_alu instid0(VALU_DEP_2) | instskip(SKIP_1) | instid1(VALU_DEP_2)
	v_add_co_ci_u32_e64 v18, s3, 0, v18, s3
	s_and_not1_b32 s3, s49, exec_lo
	v_cmp_ge_i32_e32 vcc_lo, v8, v30
	s_and_b32 s49, vcc_lo, exec_lo
	s_delay_alu instid0(SALU_CYCLE_1)
	s_or_b32 s49, s3, s49
.LBB44_12:                              ;   in Loop: Header=BB44_13 Depth=4
	s_or_b32 exec_lo, exec_lo, s50
	s_delay_alu instid0(SALU_CYCLE_1) | instskip(NEXT) | instid1(SALU_CYCLE_1)
	s_and_b32 s3, exec_lo, s49
	s_or_b32 s48, s3, s48
	s_delay_alu instid0(SALU_CYCLE_1)
	s_and_not1_b32 exec_lo, exec_lo, s48
	s_cbranch_execz .LBB44_16
.LBB44_13:                              ;   Parent Loop BB44_3 Depth=1
                                        ;     Parent Loop BB44_5 Depth=2
                                        ;       Parent Loop BB44_9 Depth=3
                                        ; =>      This Inner Loop Header: Depth=4
	s_or_b32 s49, s49, exec_lo
	s_mov_b32 s50, exec_lo
	v_cmpx_lt_i32_e64 v18, v35
	s_cbranch_execz .LBB44_12
; %bb.14:                               ;   in Loop: Header=BB44_13 Depth=4
	v_mov_b32_e32 v19, v9
	v_lshlrev_b64 v[20:21], 2, v[8:9]
	s_mov_b32 s3, exec_lo
	s_delay_alu instid0(VALU_DEP_2) | instskip(NEXT) | instid1(VALU_DEP_2)
	v_lshlrev_b64 v[22:23], 2, v[18:19]
	v_add_co_u32 v20, vcc_lo, v31, v20
	s_delay_alu instid0(VALU_DEP_3) | instskip(NEXT) | instid1(VALU_DEP_3)
	v_add_co_ci_u32_e32 v21, vcc_lo, v32, v21, vcc_lo
	v_add_co_u32 v22, vcc_lo, v4, v22
	s_delay_alu instid0(VALU_DEP_4)
	v_add_co_ci_u32_e32 v23, vcc_lo, v5, v23, vcc_lo
	global_load_b32 v17, v[20:21], off
	global_load_b32 v20, v[22:23], off
	s_waitcnt vmcnt(1)
	v_subrev_nc_u32_e32 v17, s42, v17
	s_waitcnt vmcnt(0)
	v_subrev_nc_u32_e32 v20, s43, v20
	s_delay_alu instid0(VALU_DEP_1)
	v_cmpx_eq_u32_e64 v17, v20
	s_cbranch_execz .LBB44_11
; %bb.15:                               ;   in Loop: Header=BB44_13 Depth=4
	v_lshlrev_b64 v[21:22], 4, v[8:9]
	v_lshlrev_b64 v[23:24], 4, v[18:19]
	s_delay_alu instid0(VALU_DEP_2) | instskip(NEXT) | instid1(VALU_DEP_3)
	v_add_co_u32 v21, vcc_lo, v33, v21
	v_add_co_ci_u32_e32 v22, vcc_lo, v34, v22, vcc_lo
	s_delay_alu instid0(VALU_DEP_3) | instskip(NEXT) | instid1(VALU_DEP_4)
	v_add_co_u32 v36, vcc_lo, v6, v23
	v_add_co_ci_u32_e32 v37, vcc_lo, v7, v24, vcc_lo
	global_load_b128 v[21:24], v[21:22], off
	global_load_b128 v[36:39], v[36:37], off
	s_waitcnt vmcnt(0)
	v_fma_f64 v[0:1], v[21:22], v[36:37], v[0:1]
	v_fma_f64 v[2:3], v[23:24], v[36:37], v[2:3]
	s_delay_alu instid0(VALU_DEP_2) | instskip(NEXT) | instid1(VALU_DEP_2)
	v_fma_f64 v[0:1], -v[23:24], v[38:39], v[0:1]
	v_fma_f64 v[2:3], v[21:22], v[38:39], v[2:3]
	s_branch .LBB44_11
.LBB44_16:                              ;   in Loop: Header=BB44_9 Depth=3
	s_or_b32 exec_lo, exec_lo, s48
.LBB44_17:                              ;   in Loop: Header=BB44_9 Depth=3
	s_delay_alu instid0(SALU_CYCLE_1) | instskip(SKIP_3) | instid1(VALU_DEP_2)
	s_or_b32 exec_lo, exec_lo, s4
	v_lshlrev_b64 v[4:5], 4, v[11:12]
	v_cmp_le_i32_e64 s3, v10, v14
	s_mov_b32 s4, exec_lo
	v_add_co_u32 v4, vcc_lo, s30, v4
	s_delay_alu instid0(VALU_DEP_3)
	v_add_co_ci_u32_e32 v5, vcc_lo, s31, v5, vcc_lo
	global_load_b128 v[4:7], v[4:5], off
	s_waitcnt vmcnt(0)
	v_add_f64 v[0:1], v[4:5], -v[0:1]
	v_add_f64 v[2:3], v[6:7], -v[2:3]
	v_cmpx_gt_i32_e64 v10, v14
	s_cbranch_execz .LBB44_27
; %bb.18:                               ;   in Loop: Header=BB44_9 Depth=3
	v_lshlrev_b64 v[4:5], 4, v[14:15]
	s_mov_b32 s48, exec_lo
                                        ; implicit-def: $vgpr23_vgpr24
	s_delay_alu instid0(VALU_DEP_1) | instskip(NEXT) | instid1(VALU_DEP_2)
	v_add_co_u32 v4, vcc_lo, s36, v4
	v_add_co_ci_u32_e32 v5, vcc_lo, s37, v5, vcc_lo
	global_load_b128 v[4:7], v[4:5], off
	s_waitcnt vmcnt(0)
	v_cmp_gt_f64_e32 vcc_lo, 0, v[4:5]
	v_xor_b32_e32 v12, 0x80000000, v5
	v_mov_b32_e32 v19, v4
	v_xor_b32_e32 v17, 0x80000000, v7
	s_delay_alu instid0(VALU_DEP_3) | instskip(SKIP_1) | instid1(VALU_DEP_3)
	v_dual_mov_b32 v21, v6 :: v_dual_cndmask_b32 v20, v5, v12
	v_cmp_gt_f64_e32 vcc_lo, 0, v[6:7]
	v_cndmask_b32_e32 v22, v7, v17, vcc_lo
	s_delay_alu instid0(VALU_DEP_1)
	v_cmpx_ngt_f64_e32 v[19:20], v[21:22]
	s_xor_b32 s48, exec_lo, s48
	s_cbranch_execz .LBB44_22
; %bb.19:                               ;   in Loop: Header=BB44_9 Depth=3
	v_mov_b32_e32 v23, 0
	v_mov_b32_e32 v24, 0
	s_mov_b32 s49, exec_lo
	v_cmpx_neq_f64_e32 0, v[6:7]
	s_cbranch_execz .LBB44_21
; %bb.20:                               ;   in Loop: Header=BB44_9 Depth=3
	v_div_scale_f64 v[23:24], null, v[21:22], v[21:22], v[19:20]
	v_div_scale_f64 v[40:41], vcc_lo, v[19:20], v[21:22], v[19:20]
	s_delay_alu instid0(VALU_DEP_2) | instskip(SKIP_2) | instid1(VALU_DEP_1)
	v_rcp_f64_e32 v[36:37], v[23:24]
	s_waitcnt_depctr 0xfff
	v_fma_f64 v[38:39], -v[23:24], v[36:37], 1.0
	v_fma_f64 v[36:37], v[36:37], v[38:39], v[36:37]
	s_delay_alu instid0(VALU_DEP_1) | instskip(NEXT) | instid1(VALU_DEP_1)
	v_fma_f64 v[38:39], -v[23:24], v[36:37], 1.0
	v_fma_f64 v[36:37], v[36:37], v[38:39], v[36:37]
	s_delay_alu instid0(VALU_DEP_1) | instskip(NEXT) | instid1(VALU_DEP_1)
	v_mul_f64 v[38:39], v[40:41], v[36:37]
	v_fma_f64 v[23:24], -v[23:24], v[38:39], v[40:41]
	s_delay_alu instid0(VALU_DEP_1) | instskip(NEXT) | instid1(VALU_DEP_1)
	v_div_fmas_f64 v[23:24], v[23:24], v[36:37], v[38:39]
	v_div_fixup_f64 v[19:20], v[23:24], v[21:22], v[19:20]
	s_delay_alu instid0(VALU_DEP_1) | instskip(NEXT) | instid1(VALU_DEP_1)
	v_fma_f64 v[19:20], v[19:20], v[19:20], 1.0
	v_cmp_gt_f64_e32 vcc_lo, 0x10000000, v[19:20]
	v_cndmask_b32_e64 v12, 0, 1, vcc_lo
	s_delay_alu instid0(VALU_DEP_1) | instskip(NEXT) | instid1(VALU_DEP_1)
	v_lshlrev_b32_e32 v12, 8, v12
	v_ldexp_f64 v[19:20], v[19:20], v12
	v_cndmask_b32_e64 v12, 0, 0xffffff80, vcc_lo
	s_delay_alu instid0(VALU_DEP_2) | instskip(SKIP_4) | instid1(VALU_DEP_1)
	v_rsq_f64_e32 v[23:24], v[19:20]
	v_cmp_class_f64_e64 vcc_lo, v[19:20], 0x260
	s_waitcnt_depctr 0xfff
	v_mul_f64 v[36:37], v[19:20], v[23:24]
	v_mul_f64 v[23:24], v[23:24], 0.5
	v_fma_f64 v[38:39], -v[23:24], v[36:37], 0.5
	s_delay_alu instid0(VALU_DEP_1) | instskip(SKIP_1) | instid1(VALU_DEP_2)
	v_fma_f64 v[36:37], v[36:37], v[38:39], v[36:37]
	v_fma_f64 v[23:24], v[23:24], v[38:39], v[23:24]
	v_fma_f64 v[38:39], -v[36:37], v[36:37], v[19:20]
	s_delay_alu instid0(VALU_DEP_1) | instskip(NEXT) | instid1(VALU_DEP_1)
	v_fma_f64 v[36:37], v[38:39], v[23:24], v[36:37]
	v_fma_f64 v[38:39], -v[36:37], v[36:37], v[19:20]
	s_delay_alu instid0(VALU_DEP_1) | instskip(NEXT) | instid1(VALU_DEP_1)
	v_fma_f64 v[23:24], v[38:39], v[23:24], v[36:37]
	v_ldexp_f64 v[23:24], v[23:24], v12
	s_delay_alu instid0(VALU_DEP_1) | instskip(NEXT) | instid1(VALU_DEP_1)
	v_dual_cndmask_b32 v19, v23, v19 :: v_dual_cndmask_b32 v20, v24, v20
	v_mul_f64 v[23:24], v[21:22], v[19:20]
.LBB44_21:                              ;   in Loop: Header=BB44_9 Depth=3
	s_or_b32 exec_lo, exec_lo, s49
                                        ; implicit-def: $vgpr19_vgpr20
                                        ; implicit-def: $vgpr21_vgpr22
.LBB44_22:                              ;   in Loop: Header=BB44_9 Depth=3
	s_and_not1_saveexec_b32 s48, s48
	s_cbranch_execz .LBB44_24
; %bb.23:                               ;   in Loop: Header=BB44_9 Depth=3
	v_div_scale_f64 v[23:24], null, v[19:20], v[19:20], v[21:22]
	v_div_scale_f64 v[40:41], vcc_lo, v[21:22], v[19:20], v[21:22]
	s_delay_alu instid0(VALU_DEP_2) | instskip(SKIP_2) | instid1(VALU_DEP_1)
	v_rcp_f64_e32 v[36:37], v[23:24]
	s_waitcnt_depctr 0xfff
	v_fma_f64 v[38:39], -v[23:24], v[36:37], 1.0
	v_fma_f64 v[36:37], v[36:37], v[38:39], v[36:37]
	s_delay_alu instid0(VALU_DEP_1) | instskip(NEXT) | instid1(VALU_DEP_1)
	v_fma_f64 v[38:39], -v[23:24], v[36:37], 1.0
	v_fma_f64 v[36:37], v[36:37], v[38:39], v[36:37]
	s_delay_alu instid0(VALU_DEP_1) | instskip(NEXT) | instid1(VALU_DEP_1)
	v_mul_f64 v[38:39], v[40:41], v[36:37]
	v_fma_f64 v[23:24], -v[23:24], v[38:39], v[40:41]
	s_delay_alu instid0(VALU_DEP_1) | instskip(NEXT) | instid1(VALU_DEP_1)
	v_div_fmas_f64 v[23:24], v[23:24], v[36:37], v[38:39]
	v_div_fixup_f64 v[21:22], v[23:24], v[19:20], v[21:22]
	s_delay_alu instid0(VALU_DEP_1) | instskip(NEXT) | instid1(VALU_DEP_1)
	v_fma_f64 v[21:22], v[21:22], v[21:22], 1.0
	v_cmp_gt_f64_e32 vcc_lo, 0x10000000, v[21:22]
	v_cndmask_b32_e64 v12, 0, 1, vcc_lo
	s_delay_alu instid0(VALU_DEP_1) | instskip(NEXT) | instid1(VALU_DEP_1)
	v_lshlrev_b32_e32 v12, 8, v12
	v_ldexp_f64 v[21:22], v[21:22], v12
	v_cndmask_b32_e64 v12, 0, 0xffffff80, vcc_lo
	s_delay_alu instid0(VALU_DEP_2) | instskip(SKIP_4) | instid1(VALU_DEP_1)
	v_rsq_f64_e32 v[23:24], v[21:22]
	v_cmp_class_f64_e64 vcc_lo, v[21:22], 0x260
	s_waitcnt_depctr 0xfff
	v_mul_f64 v[36:37], v[21:22], v[23:24]
	v_mul_f64 v[23:24], v[23:24], 0.5
	v_fma_f64 v[38:39], -v[23:24], v[36:37], 0.5
	s_delay_alu instid0(VALU_DEP_1) | instskip(SKIP_1) | instid1(VALU_DEP_2)
	v_fma_f64 v[36:37], v[36:37], v[38:39], v[36:37]
	v_fma_f64 v[23:24], v[23:24], v[38:39], v[23:24]
	v_fma_f64 v[38:39], -v[36:37], v[36:37], v[21:22]
	s_delay_alu instid0(VALU_DEP_1) | instskip(NEXT) | instid1(VALU_DEP_1)
	v_fma_f64 v[36:37], v[38:39], v[23:24], v[36:37]
	v_fma_f64 v[38:39], -v[36:37], v[36:37], v[21:22]
	s_delay_alu instid0(VALU_DEP_1) | instskip(NEXT) | instid1(VALU_DEP_1)
	v_fma_f64 v[23:24], v[38:39], v[23:24], v[36:37]
	v_ldexp_f64 v[23:24], v[23:24], v12
	s_delay_alu instid0(VALU_DEP_1) | instskip(NEXT) | instid1(VALU_DEP_1)
	v_dual_cndmask_b32 v21, v23, v21 :: v_dual_cndmask_b32 v22, v24, v22
	v_mul_f64 v[23:24], v[19:20], v[21:22]
.LBB44_24:                              ;   in Loop: Header=BB44_9 Depth=3
	s_or_b32 exec_lo, exec_lo, s48
	v_mov_b32_e32 v19, 0
	v_mov_b32_e32 v20, 0
	s_mov_b32 s48, exec_lo
	s_delay_alu instid0(VALU_DEP_1) | instskip(NEXT) | instid1(VALU_DEP_4)
	v_dual_mov_b32 v22, v20 :: v_dual_mov_b32 v21, v19
	v_cmpx_lt_f64_e32 0, v[23:24]
	s_cbranch_execz .LBB44_26
; %bb.25:                               ;   in Loop: Header=BB44_9 Depth=3
	v_mul_f64 v[19:20], v[6:7], v[6:7]
	s_delay_alu instid0(VALU_DEP_1) | instskip(NEXT) | instid1(VALU_DEP_1)
	v_fma_f64 v[19:20], v[4:5], v[4:5], v[19:20]
	v_div_scale_f64 v[21:22], null, v[19:20], v[19:20], 1.0
	v_div_scale_f64 v[38:39], vcc_lo, 1.0, v[19:20], 1.0
	s_delay_alu instid0(VALU_DEP_2) | instskip(SKIP_2) | instid1(VALU_DEP_1)
	v_rcp_f64_e32 v[23:24], v[21:22]
	s_waitcnt_depctr 0xfff
	v_fma_f64 v[36:37], -v[21:22], v[23:24], 1.0
	v_fma_f64 v[23:24], v[23:24], v[36:37], v[23:24]
	s_delay_alu instid0(VALU_DEP_1) | instskip(NEXT) | instid1(VALU_DEP_1)
	v_fma_f64 v[36:37], -v[21:22], v[23:24], 1.0
	v_fma_f64 v[23:24], v[23:24], v[36:37], v[23:24]
	s_delay_alu instid0(VALU_DEP_1) | instskip(NEXT) | instid1(VALU_DEP_1)
	v_mul_f64 v[36:37], v[38:39], v[23:24]
	v_fma_f64 v[21:22], -v[21:22], v[36:37], v[38:39]
	v_mul_f64 v[38:39], v[2:3], v[6:7]
	v_mul_f64 v[6:7], v[6:7], -v[0:1]
	s_delay_alu instid0(VALU_DEP_3) | instskip(NEXT) | instid1(VALU_DEP_3)
	v_div_fmas_f64 v[21:22], v[21:22], v[23:24], v[36:37]
	v_fma_f64 v[0:1], v[0:1], v[4:5], v[38:39]
	s_delay_alu instid0(VALU_DEP_3) | instskip(NEXT) | instid1(VALU_DEP_3)
	v_fma_f64 v[2:3], v[2:3], v[4:5], v[6:7]
	v_div_fixup_f64 v[21:22], v[21:22], v[19:20], 1.0
	s_delay_alu instid0(VALU_DEP_1) | instskip(NEXT) | instid1(VALU_DEP_3)
	v_mul_f64 v[19:20], v[0:1], v[21:22]
	v_mul_f64 v[21:22], v[2:3], v[21:22]
.LBB44_26:                              ;   in Loop: Header=BB44_9 Depth=3
	s_or_b32 exec_lo, exec_lo, s48
	s_delay_alu instid0(VALU_DEP_2) | instskip(NEXT) | instid1(VALU_DEP_2)
	v_dual_mov_b32 v0, v19 :: v_dual_mov_b32 v1, v20
	v_dual_mov_b32 v2, v21 :: v_dual_mov_b32 v3, v22
.LBB44_27:                              ;   in Loop: Header=BB44_9 Depth=3
	s_or_b32 exec_lo, exec_lo, s4
	s_delay_alu instid0(VALU_DEP_2) | instskip(NEXT) | instid1(VALU_DEP_2)
	v_cmp_gt_f64_e32 vcc_lo, 0, v[0:1]
	v_cmp_gt_f64_e64 s4, 0, v[2:3]
	v_xor_b32_e32 v4, 0x80000000, v1
	v_xor_b32_e32 v6, 0x80000000, v3
                                        ; implicit-def: $vgpr19_vgpr20
	s_delay_alu instid0(VALU_DEP_2) | instskip(NEXT) | instid1(VALU_DEP_2)
	v_cndmask_b32_e32 v5, v1, v4, vcc_lo
	v_cndmask_b32_e64 v7, v3, v6, s4
	v_cndmask_b32_e32 v4, v0, v0, vcc_lo
	v_cndmask_b32_e64 v6, v2, v2, s4
	s_mov_b32 s4, exec_lo
	s_delay_alu instid0(VALU_DEP_1)
	v_cmpx_ngt_f64_e32 v[4:5], v[6:7]
	s_xor_b32 s4, exec_lo, s4
	s_cbranch_execnz .LBB44_30
; %bb.28:                               ;   in Loop: Header=BB44_9 Depth=3
	s_and_not1_saveexec_b32 s4, s4
	s_cbranch_execnz .LBB44_33
.LBB44_29:                              ;   in Loop: Header=BB44_9 Depth=3
	s_or_b32 exec_lo, exec_lo, s4
	s_delay_alu instid0(VALU_DEP_1) | instskip(NEXT) | instid1(VALU_DEP_1)
	v_cmp_class_f64_e64 s48, v[19:20], 0x1f8
	s_and_saveexec_b32 s4, s48
	s_cbranch_execz .LBB44_8
	s_branch .LBB44_34
.LBB44_30:                              ;   in Loop: Header=BB44_9 Depth=3
	v_mov_b32_e32 v19, 0
	v_mov_b32_e32 v20, 0
	s_mov_b32 s48, exec_lo
	v_cmpx_neq_f64_e32 0, v[2:3]
	s_cbranch_execz .LBB44_32
; %bb.31:                               ;   in Loop: Header=BB44_9 Depth=3
	v_div_scale_f64 v[19:20], null, v[6:7], v[6:7], v[4:5]
	v_div_scale_f64 v[36:37], vcc_lo, v[4:5], v[6:7], v[4:5]
	s_delay_alu instid0(VALU_DEP_2) | instskip(SKIP_2) | instid1(VALU_DEP_1)
	v_rcp_f64_e32 v[21:22], v[19:20]
	s_waitcnt_depctr 0xfff
	v_fma_f64 v[23:24], -v[19:20], v[21:22], 1.0
	v_fma_f64 v[21:22], v[21:22], v[23:24], v[21:22]
	s_delay_alu instid0(VALU_DEP_1) | instskip(NEXT) | instid1(VALU_DEP_1)
	v_fma_f64 v[23:24], -v[19:20], v[21:22], 1.0
	v_fma_f64 v[21:22], v[21:22], v[23:24], v[21:22]
	s_delay_alu instid0(VALU_DEP_1) | instskip(NEXT) | instid1(VALU_DEP_1)
	v_mul_f64 v[23:24], v[36:37], v[21:22]
	v_fma_f64 v[19:20], -v[19:20], v[23:24], v[36:37]
	s_delay_alu instid0(VALU_DEP_1) | instskip(NEXT) | instid1(VALU_DEP_1)
	v_div_fmas_f64 v[19:20], v[19:20], v[21:22], v[23:24]
	v_div_fixup_f64 v[4:5], v[19:20], v[6:7], v[4:5]
	s_delay_alu instid0(VALU_DEP_1) | instskip(NEXT) | instid1(VALU_DEP_1)
	v_fma_f64 v[4:5], v[4:5], v[4:5], 1.0
	v_cmp_gt_f64_e32 vcc_lo, 0x10000000, v[4:5]
	v_cndmask_b32_e64 v12, 0, 1, vcc_lo
	s_delay_alu instid0(VALU_DEP_1) | instskip(NEXT) | instid1(VALU_DEP_1)
	v_lshlrev_b32_e32 v12, 8, v12
	v_ldexp_f64 v[4:5], v[4:5], v12
	v_cndmask_b32_e64 v12, 0, 0xffffff80, vcc_lo
	s_delay_alu instid0(VALU_DEP_2) | instskip(SKIP_4) | instid1(VALU_DEP_1)
	v_rsq_f64_e32 v[19:20], v[4:5]
	v_cmp_class_f64_e64 vcc_lo, v[4:5], 0x260
	s_waitcnt_depctr 0xfff
	v_mul_f64 v[21:22], v[4:5], v[19:20]
	v_mul_f64 v[19:20], v[19:20], 0.5
	v_fma_f64 v[23:24], -v[19:20], v[21:22], 0.5
	s_delay_alu instid0(VALU_DEP_1) | instskip(SKIP_1) | instid1(VALU_DEP_2)
	v_fma_f64 v[21:22], v[21:22], v[23:24], v[21:22]
	v_fma_f64 v[19:20], v[19:20], v[23:24], v[19:20]
	v_fma_f64 v[23:24], -v[21:22], v[21:22], v[4:5]
	s_delay_alu instid0(VALU_DEP_1) | instskip(NEXT) | instid1(VALU_DEP_1)
	v_fma_f64 v[21:22], v[23:24], v[19:20], v[21:22]
	v_fma_f64 v[23:24], -v[21:22], v[21:22], v[4:5]
	s_delay_alu instid0(VALU_DEP_1) | instskip(NEXT) | instid1(VALU_DEP_1)
	v_fma_f64 v[19:20], v[23:24], v[19:20], v[21:22]
	v_ldexp_f64 v[19:20], v[19:20], v12
	s_delay_alu instid0(VALU_DEP_1) | instskip(NEXT) | instid1(VALU_DEP_1)
	v_dual_cndmask_b32 v5, v20, v5 :: v_dual_cndmask_b32 v4, v19, v4
	v_mul_f64 v[19:20], v[6:7], v[4:5]
.LBB44_32:                              ;   in Loop: Header=BB44_9 Depth=3
	s_or_b32 exec_lo, exec_lo, s48
                                        ; implicit-def: $vgpr4_vgpr5
                                        ; implicit-def: $vgpr6_vgpr7
	s_and_not1_saveexec_b32 s4, s4
	s_cbranch_execz .LBB44_29
.LBB44_33:                              ;   in Loop: Header=BB44_9 Depth=3
	v_div_scale_f64 v[19:20], null, v[4:5], v[4:5], v[6:7]
	v_div_scale_f64 v[36:37], vcc_lo, v[6:7], v[4:5], v[6:7]
	s_delay_alu instid0(VALU_DEP_2) | instskip(SKIP_2) | instid1(VALU_DEP_1)
	v_rcp_f64_e32 v[21:22], v[19:20]
	s_waitcnt_depctr 0xfff
	v_fma_f64 v[23:24], -v[19:20], v[21:22], 1.0
	v_fma_f64 v[21:22], v[21:22], v[23:24], v[21:22]
	s_delay_alu instid0(VALU_DEP_1) | instskip(NEXT) | instid1(VALU_DEP_1)
	v_fma_f64 v[23:24], -v[19:20], v[21:22], 1.0
	v_fma_f64 v[21:22], v[21:22], v[23:24], v[21:22]
	s_delay_alu instid0(VALU_DEP_1) | instskip(NEXT) | instid1(VALU_DEP_1)
	v_mul_f64 v[23:24], v[36:37], v[21:22]
	v_fma_f64 v[19:20], -v[19:20], v[23:24], v[36:37]
	s_delay_alu instid0(VALU_DEP_1) | instskip(NEXT) | instid1(VALU_DEP_1)
	v_div_fmas_f64 v[19:20], v[19:20], v[21:22], v[23:24]
	v_div_fixup_f64 v[6:7], v[19:20], v[4:5], v[6:7]
	s_delay_alu instid0(VALU_DEP_1) | instskip(NEXT) | instid1(VALU_DEP_1)
	v_fma_f64 v[6:7], v[6:7], v[6:7], 1.0
	v_cmp_gt_f64_e32 vcc_lo, 0x10000000, v[6:7]
	v_cndmask_b32_e64 v12, 0, 1, vcc_lo
	s_delay_alu instid0(VALU_DEP_1) | instskip(NEXT) | instid1(VALU_DEP_1)
	v_lshlrev_b32_e32 v12, 8, v12
	v_ldexp_f64 v[6:7], v[6:7], v12
	v_cndmask_b32_e64 v12, 0, 0xffffff80, vcc_lo
	s_delay_alu instid0(VALU_DEP_2) | instskip(SKIP_4) | instid1(VALU_DEP_1)
	v_rsq_f64_e32 v[19:20], v[6:7]
	v_cmp_class_f64_e64 vcc_lo, v[6:7], 0x260
	s_waitcnt_depctr 0xfff
	v_mul_f64 v[21:22], v[6:7], v[19:20]
	v_mul_f64 v[19:20], v[19:20], 0.5
	v_fma_f64 v[23:24], -v[19:20], v[21:22], 0.5
	s_delay_alu instid0(VALU_DEP_1) | instskip(SKIP_1) | instid1(VALU_DEP_2)
	v_fma_f64 v[21:22], v[21:22], v[23:24], v[21:22]
	v_fma_f64 v[19:20], v[19:20], v[23:24], v[19:20]
	v_fma_f64 v[23:24], -v[21:22], v[21:22], v[6:7]
	s_delay_alu instid0(VALU_DEP_1) | instskip(NEXT) | instid1(VALU_DEP_1)
	v_fma_f64 v[21:22], v[23:24], v[19:20], v[21:22]
	v_fma_f64 v[23:24], -v[21:22], v[21:22], v[6:7]
	s_delay_alu instid0(VALU_DEP_1) | instskip(NEXT) | instid1(VALU_DEP_1)
	v_fma_f64 v[19:20], v[23:24], v[19:20], v[21:22]
	v_ldexp_f64 v[19:20], v[19:20], v12
	s_delay_alu instid0(VALU_DEP_1) | instskip(NEXT) | instid1(VALU_DEP_1)
	v_dual_cndmask_b32 v7, v20, v7 :: v_dual_cndmask_b32 v6, v19, v6
	v_mul_f64 v[19:20], v[4:5], v[6:7]
	s_or_b32 exec_lo, exec_lo, s4
	s_delay_alu instid0(VALU_DEP_1) | instskip(NEXT) | instid1(VALU_DEP_1)
	v_cmp_class_f64_e64 s48, v[19:20], 0x1f8
	s_and_saveexec_b32 s4, s48
	s_cbranch_execz .LBB44_8
.LBB44_34:                              ;   in Loop: Header=BB44_9 Depth=3
	s_mov_b32 s48, 0
                                        ; implicit-def: $vgpr4_vgpr5
	s_and_saveexec_b32 s49, s3
	s_delay_alu instid0(SALU_CYCLE_1)
	s_xor_b32 s3, exec_lo, s49
	s_cbranch_execnz .LBB44_37
; %bb.35:                               ;   in Loop: Header=BB44_9 Depth=3
	s_and_not1_saveexec_b32 s3, s3
	s_cbranch_execnz .LBB44_50
.LBB44_36:                              ;   in Loop: Header=BB44_9 Depth=3
	s_or_b32 exec_lo, exec_lo, s3
	s_delay_alu instid0(SALU_CYCLE_1)
	s_and_b32 exec_lo, exec_lo, s48
	s_cbranch_execz .LBB44_8
	s_branch .LBB44_59
.LBB44_37:                              ;   in Loop: Header=BB44_9 Depth=3
	s_mov_b32 s49, exec_lo
                                        ; implicit-def: $vgpr4_vgpr5
	v_cmpx_ge_i32_e64 v10, v14
	s_xor_b32 s49, exec_lo, s49
; %bb.38:                               ;   in Loop: Header=BB44_9 Depth=3
	v_lshlrev_b64 v[4:5], 4, v[14:15]
	s_mov_b32 s48, exec_lo
                                        ; implicit-def: $vgpr18
                                        ; implicit-def: $vgpr35
                                        ; implicit-def: $vgpr16
	s_delay_alu instid0(VALU_DEP_1) | instskip(NEXT) | instid1(VALU_DEP_2)
	v_add_co_u32 v4, vcc_lo, s38, v4
	v_add_co_ci_u32_e32 v5, vcc_lo, s39, v5, vcc_lo
; %bb.39:                               ;   in Loop: Header=BB44_9 Depth=3
	s_and_not1_saveexec_b32 s49, s49
	s_cbranch_execz .LBB44_49
; %bb.40:                               ;   in Loop: Header=BB44_9 Depth=3
	s_mov_b32 s51, s48
	s_mov_b32 s50, exec_lo
                                        ; implicit-def: $vgpr4_vgpr5
	v_cmpx_lt_i32_e64 v18, v35
	s_cbranch_execz .LBB44_48
; %bb.41:                               ;   in Loop: Header=BB44_9 Depth=3
	s_mov_b32 s52, 0
                                        ; implicit-def: $sgpr51
                                        ; implicit-def: $sgpr54
                                        ; implicit-def: $sgpr53
	s_set_inst_prefetch_distance 0x1
	s_branch .LBB44_43
	.p2align	6
.LBB44_42:                              ;   in Loop: Header=BB44_43 Depth=4
	s_or_b32 exec_lo, exec_lo, s55
	s_delay_alu instid0(SALU_CYCLE_1) | instskip(NEXT) | instid1(SALU_CYCLE_1)
	s_and_b32 s55, exec_lo, s54
	s_or_b32 s52, s55, s52
	s_and_not1_b32 s51, s51, exec_lo
	s_and_b32 s55, s53, exec_lo
	s_delay_alu instid0(SALU_CYCLE_1)
	s_or_b32 s51, s51, s55
	s_and_not1_b32 exec_lo, exec_lo, s52
	s_cbranch_execz .LBB44_45
.LBB44_43:                              ;   Parent Loop BB44_3 Depth=1
                                        ;     Parent Loop BB44_5 Depth=2
                                        ;       Parent Loop BB44_9 Depth=3
                                        ; =>      This Inner Loop Header: Depth=4
	v_add_nc_u32_e32 v6, v16, v18
	s_or_b32 s53, s53, exec_lo
	s_or_b32 s54, s54, exec_lo
	s_mov_b32 s55, exec_lo
	s_delay_alu instid0(VALU_DEP_1) | instskip(NEXT) | instid1(VALU_DEP_1)
	v_ashrrev_i32_e32 v7, 31, v6
	v_lshlrev_b64 v[4:5], 2, v[6:7]
	s_delay_alu instid0(VALU_DEP_1) | instskip(NEXT) | instid1(VALU_DEP_2)
	v_add_co_u32 v4, vcc_lo, s12, v4
	v_add_co_ci_u32_e32 v5, vcc_lo, s13, v5, vcc_lo
	global_load_b32 v4, v[4:5], off
	s_waitcnt vmcnt(0)
	v_subrev_nc_u32_e32 v4, s43, v4
	s_delay_alu instid0(VALU_DEP_1)
	v_cmpx_ne_u32_e64 v4, v10
	s_cbranch_execz .LBB44_42
; %bb.44:                               ;   in Loop: Header=BB44_43 Depth=4
	v_add_nc_u32_e32 v18, 1, v18
	s_and_not1_b32 s54, s54, exec_lo
	s_and_not1_b32 s53, s53, exec_lo
	s_delay_alu instid0(VALU_DEP_1) | instskip(SKIP_1) | instid1(SALU_CYCLE_1)
	v_cmp_ge_i32_e32 vcc_lo, v18, v35
	s_and_b32 s56, vcc_lo, exec_lo
	s_or_b32 s54, s54, s56
	s_branch .LBB44_42
.LBB44_45:                              ;   in Loop: Header=BB44_9 Depth=3
	s_set_inst_prefetch_distance 0x2
	s_or_b32 exec_lo, exec_lo, s52
	s_mov_b32 s52, s48
                                        ; implicit-def: $vgpr4_vgpr5
	s_and_saveexec_b32 s53, s51
	s_delay_alu instid0(SALU_CYCLE_1)
	s_xor_b32 s51, exec_lo, s53
; %bb.46:                               ;   in Loop: Header=BB44_9 Depth=3
	v_lshlrev_b64 v[4:5], 4, v[6:7]
	s_or_b32 s52, s48, exec_lo
	s_delay_alu instid0(VALU_DEP_1) | instskip(NEXT) | instid1(VALU_DEP_2)
	v_add_co_u32 v4, vcc_lo, s34, v4
	v_add_co_ci_u32_e32 v5, vcc_lo, s35, v5, vcc_lo
; %bb.47:                               ;   in Loop: Header=BB44_9 Depth=3
	s_or_b32 exec_lo, exec_lo, s51
	s_delay_alu instid0(SALU_CYCLE_1) | instskip(SKIP_1) | instid1(SALU_CYCLE_1)
	s_and_not1_b32 s51, s48, exec_lo
	s_and_b32 s52, s52, exec_lo
	s_or_b32 s51, s51, s52
.LBB44_48:                              ;   in Loop: Header=BB44_9 Depth=3
	s_or_b32 exec_lo, exec_lo, s50
	s_delay_alu instid0(SALU_CYCLE_1) | instskip(SKIP_1) | instid1(SALU_CYCLE_1)
	s_and_not1_b32 s48, s48, exec_lo
	s_and_b32 s50, s51, exec_lo
	s_or_b32 s48, s48, s50
.LBB44_49:                              ;   in Loop: Header=BB44_9 Depth=3
	s_or_b32 exec_lo, exec_lo, s49
	s_delay_alu instid0(SALU_CYCLE_1)
	s_and_b32 s48, s48, exec_lo
                                        ; implicit-def: $vgpr14_vgpr15
	s_and_not1_saveexec_b32 s3, s3
	s_cbranch_execz .LBB44_36
.LBB44_50:                              ;   in Loop: Header=BB44_9 Depth=3
	s_mov_b32 s50, s48
	s_mov_b32 s49, exec_lo
                                        ; implicit-def: $vgpr4_vgpr5
	v_cmpx_lt_i32_e64 v8, v30
	s_cbranch_execz .LBB44_58
; %bb.51:                               ;   in Loop: Header=BB44_9 Depth=3
	s_mov_b32 s51, 0
                                        ; implicit-def: $sgpr50
                                        ; implicit-def: $sgpr53
                                        ; implicit-def: $sgpr52
	s_set_inst_prefetch_distance 0x1
	s_branch .LBB44_53
	.p2align	6
.LBB44_52:                              ;   in Loop: Header=BB44_53 Depth=4
	s_or_b32 exec_lo, exec_lo, s54
	s_delay_alu instid0(SALU_CYCLE_1) | instskip(NEXT) | instid1(SALU_CYCLE_1)
	s_and_b32 s54, exec_lo, s53
	s_or_b32 s51, s54, s51
	s_and_not1_b32 s50, s50, exec_lo
	s_and_b32 s54, s52, exec_lo
	s_delay_alu instid0(SALU_CYCLE_1)
	s_or_b32 s50, s50, s54
	s_and_not1_b32 exec_lo, exec_lo, s51
	s_cbranch_execz .LBB44_55
.LBB44_53:                              ;   Parent Loop BB44_3 Depth=1
                                        ;     Parent Loop BB44_5 Depth=2
                                        ;       Parent Loop BB44_9 Depth=3
                                        ; =>      This Inner Loop Header: Depth=4
	v_add_nc_u32_e32 v6, v13, v8
	s_or_b32 s52, s52, exec_lo
	s_or_b32 s53, s53, exec_lo
	s_mov_b32 s54, exec_lo
	s_delay_alu instid0(VALU_DEP_1) | instskip(NEXT) | instid1(VALU_DEP_1)
	v_ashrrev_i32_e32 v7, 31, v6
	v_lshlrev_b64 v[4:5], 2, v[6:7]
	s_delay_alu instid0(VALU_DEP_1) | instskip(NEXT) | instid1(VALU_DEP_2)
	v_add_co_u32 v4, vcc_lo, s20, v4
	v_add_co_ci_u32_e32 v5, vcc_lo, s21, v5, vcc_lo
	global_load_b32 v4, v[4:5], off
	s_waitcnt vmcnt(0)
	v_subrev_nc_u32_e32 v4, s42, v4
	s_delay_alu instid0(VALU_DEP_1)
	v_cmpx_ne_u32_e64 v4, v14
	s_cbranch_execz .LBB44_52
; %bb.54:                               ;   in Loop: Header=BB44_53 Depth=4
	v_add_nc_u32_e32 v8, 1, v8
	s_and_not1_b32 s53, s53, exec_lo
	s_and_not1_b32 s52, s52, exec_lo
	s_delay_alu instid0(VALU_DEP_1) | instskip(SKIP_1) | instid1(SALU_CYCLE_1)
	v_cmp_ge_i32_e32 vcc_lo, v8, v30
	s_and_b32 s55, vcc_lo, exec_lo
	s_or_b32 s53, s53, s55
	s_branch .LBB44_52
.LBB44_55:                              ;   in Loop: Header=BB44_9 Depth=3
	s_set_inst_prefetch_distance 0x2
	s_or_b32 exec_lo, exec_lo, s51
	s_mov_b32 s51, s48
                                        ; implicit-def: $vgpr4_vgpr5
	s_and_saveexec_b32 s52, s50
	s_delay_alu instid0(SALU_CYCLE_1)
	s_xor_b32 s50, exec_lo, s52
; %bb.56:                               ;   in Loop: Header=BB44_9 Depth=3
	v_lshlrev_b64 v[4:5], 4, v[6:7]
	s_or_b32 s51, s48, exec_lo
	s_delay_alu instid0(VALU_DEP_1) | instskip(NEXT) | instid1(VALU_DEP_2)
	v_add_co_u32 v4, vcc_lo, s40, v4
	v_add_co_ci_u32_e32 v5, vcc_lo, s41, v5, vcc_lo
; %bb.57:                               ;   in Loop: Header=BB44_9 Depth=3
	s_or_b32 exec_lo, exec_lo, s50
	s_delay_alu instid0(SALU_CYCLE_1) | instskip(SKIP_1) | instid1(SALU_CYCLE_1)
	s_and_not1_b32 s50, s48, exec_lo
	s_and_b32 s51, s51, exec_lo
	s_or_b32 s50, s50, s51
.LBB44_58:                              ;   in Loop: Header=BB44_9 Depth=3
	s_or_b32 exec_lo, exec_lo, s49
	s_delay_alu instid0(SALU_CYCLE_1) | instskip(SKIP_1) | instid1(SALU_CYCLE_1)
	s_and_not1_b32 s48, s48, exec_lo
	s_and_b32 s49, s50, exec_lo
	s_or_b32 s48, s48, s49
	s_or_b32 exec_lo, exec_lo, s3
	s_delay_alu instid0(SALU_CYCLE_1)
	s_and_b32 exec_lo, exec_lo, s48
	s_cbranch_execz .LBB44_8
.LBB44_59:                              ;   in Loop: Header=BB44_9 Depth=3
	global_store_b128 v[4:5], v[0:3], off
	s_branch .LBB44_8
.LBB44_60:                              ;   in Loop: Header=BB44_3 Depth=1
	s_and_saveexec_b32 s3, s0
	s_cbranch_execz .LBB44_2
; %bb.61:                               ;   in Loop: Header=BB44_3 Depth=1
	v_mov_b32_e32 v0, v25
	s_mov_b32 s4, 0
	s_branch .LBB44_63
.LBB44_62:                              ;   in Loop: Header=BB44_63 Depth=2
	s_or_b32 exec_lo, exec_lo, s45
	v_add_nc_u32_e32 v0, 0x100, v0
	s_delay_alu instid0(VALU_DEP_1) | instskip(SKIP_1) | instid1(SALU_CYCLE_1)
	v_cmp_le_u32_e32 vcc_lo, s44, v0
	s_or_b32 s4, vcc_lo, s4
	s_and_not1_b32 exec_lo, exec_lo, s4
	s_cbranch_execz .LBB44_2
.LBB44_63:                              ;   Parent Loop BB44_3 Depth=1
                                        ; =>  This Loop Header: Depth=2
                                        ;       Child Loop BB44_66 Depth 3
                                        ;       Child Loop BB44_69 Depth 3
	s_mov_b32 s45, exec_lo
	s_delay_alu instid0(VALU_DEP_1)
	v_cmpx_gt_i32_e64 s7, v0
	s_cbranch_execz .LBB44_62
; %bb.64:                               ;   in Loop: Header=BB44_63 Depth=2
	v_ashrrev_i32_e32 v1, 31, v0
	s_mov_b32 s46, exec_lo
	s_delay_alu instid0(VALU_DEP_1) | instskip(NEXT) | instid1(VALU_DEP_1)
	v_lshlrev_b64 v[2:3], 2, v[0:1]
	v_add_co_u32 v4, vcc_lo, s16, v2
	s_delay_alu instid0(VALU_DEP_2)
	v_add_co_ci_u32_e32 v5, vcc_lo, s17, v3, vcc_lo
	v_add_co_u32 v6, vcc_lo, s18, v2
	v_add_co_ci_u32_e32 v7, vcc_lo, s19, v3, vcc_lo
	global_load_b32 v4, v[4:5], off
	global_load_b32 v5, v[6:7], off
	s_waitcnt vmcnt(1)
	v_add_nc_u32_e32 v4, v27, v4
	s_waitcnt vmcnt(0)
	v_subrev_nc_u32_e32 v10, s42, v5
	s_delay_alu instid0(VALU_DEP_1)
	v_cmpx_lt_i32_e64 v4, v10
	s_cbranch_execz .LBB44_67
; %bb.65:                               ;   in Loop: Header=BB44_63 Depth=2
	v_ashrrev_i32_e32 v5, 31, v4
	s_mov_b32 s47, 0
	s_delay_alu instid0(VALU_DEP_1) | instskip(NEXT) | instid1(VALU_DEP_1)
	v_lshlrev_b64 v[7:8], 4, v[4:5]
	v_add_co_u32 v5, vcc_lo, s22, v7
	s_delay_alu instid0(VALU_DEP_2)
	v_add_co_ci_u32_e32 v6, vcc_lo, s23, v8, vcc_lo
	v_add_co_u32 v7, vcc_lo, s40, v7
	v_add_co_ci_u32_e32 v8, vcc_lo, s41, v8, vcc_lo
.LBB44_66:                              ;   Parent Loop BB44_3 Depth=1
                                        ;     Parent Loop BB44_63 Depth=2
                                        ; =>    This Inner Loop Header: Depth=3
	global_load_b128 v[11:14], v[7:8], off
	v_add_nc_u32_e32 v4, 4, v4
	v_add_co_u32 v7, vcc_lo, v7, 64
	v_add_co_ci_u32_e32 v8, vcc_lo, 0, v8, vcc_lo
	s_delay_alu instid0(VALU_DEP_3) | instskip(SKIP_4) | instid1(VALU_DEP_1)
	v_cmp_ge_i32_e32 vcc_lo, v4, v10
	s_or_b32 s47, vcc_lo, s47
	s_waitcnt vmcnt(0)
	global_store_b128 v[5:6], v[11:14], off
	v_add_co_u32 v5, s2, v5, 64
	v_add_co_ci_u32_e64 v6, s2, 0, v6, s2
	s_and_not1_b32 exec_lo, exec_lo, s47
	s_cbranch_execnz .LBB44_66
.LBB44_67:                              ;   in Loop: Header=BB44_63 Depth=2
	s_or_b32 exec_lo, exec_lo, s46
	v_add_co_u32 v4, vcc_lo, s8, v2
	v_add_co_ci_u32_e32 v5, vcc_lo, s9, v3, vcc_lo
	v_add_co_u32 v2, vcc_lo, s10, v2
	v_add_co_ci_u32_e32 v3, vcc_lo, s11, v3, vcc_lo
	s_mov_b32 s46, exec_lo
	global_load_b32 v4, v[4:5], off
	global_load_b32 v3, v[2:3], off
	s_waitcnt vmcnt(1)
	v_add_nc_u32_e32 v2, v28, v4
	s_waitcnt vmcnt(0)
	v_subrev_nc_u32_e32 v7, s43, v3
	s_delay_alu instid0(VALU_DEP_1)
	v_cmpx_lt_i32_e64 v2, v7
	s_cbranch_execz .LBB44_70
; %bb.68:                               ;   in Loop: Header=BB44_63 Depth=2
	v_ashrrev_i32_e32 v3, 31, v2
	s_mov_b32 s47, 0
	s_delay_alu instid0(VALU_DEP_1) | instskip(NEXT) | instid1(VALU_DEP_1)
	v_lshlrev_b64 v[5:6], 4, v[2:3]
	v_add_co_u32 v3, vcc_lo, s14, v5
	s_delay_alu instid0(VALU_DEP_2)
	v_add_co_ci_u32_e32 v4, vcc_lo, s15, v6, vcc_lo
	v_add_co_u32 v5, vcc_lo, s34, v5
	v_add_co_ci_u32_e32 v6, vcc_lo, s35, v6, vcc_lo
.LBB44_69:                              ;   Parent Loop BB44_3 Depth=1
                                        ;     Parent Loop BB44_63 Depth=2
                                        ; =>    This Inner Loop Header: Depth=3
	global_load_b128 v[10:13], v[5:6], off
	v_add_nc_u32_e32 v2, 4, v2
	v_add_co_u32 v5, vcc_lo, v5, 64
	v_add_co_ci_u32_e32 v6, vcc_lo, 0, v6, vcc_lo
	s_delay_alu instid0(VALU_DEP_3) | instskip(SKIP_4) | instid1(VALU_DEP_1)
	v_cmp_ge_i32_e32 vcc_lo, v2, v7
	s_or_b32 s47, vcc_lo, s47
	s_waitcnt vmcnt(0)
	global_store_b128 v[3:4], v[10:13], off
	v_add_co_u32 v3, s2, v3, 64
	v_add_co_ci_u32_e64 v4, s2, 0, v4, s2
	s_and_not1_b32 exec_lo, exec_lo, s47
	s_cbranch_execnz .LBB44_69
.LBB44_70:                              ;   in Loop: Header=BB44_63 Depth=2
	s_or_b32 exec_lo, exec_lo, s46
	s_delay_alu instid0(SALU_CYCLE_1)
	s_and_b32 exec_lo, exec_lo, s1
	s_cbranch_execz .LBB44_62
; %bb.71:                               ;   in Loop: Header=BB44_63 Depth=2
	v_lshlrev_b64 v[5:6], 4, v[0:1]
	s_delay_alu instid0(VALU_DEP_1) | instskip(NEXT) | instid1(VALU_DEP_2)
	v_add_co_u32 v1, vcc_lo, s38, v5
	v_add_co_ci_u32_e32 v2, vcc_lo, s39, v6, vcc_lo
	v_add_co_u32 v5, vcc_lo, s36, v5
	v_add_co_ci_u32_e32 v6, vcc_lo, s37, v6, vcc_lo
	global_load_b128 v[1:4], v[1:2], off
	s_waitcnt vmcnt(0)
	global_store_b128 v[5:6], v[1:4], off
	s_branch .LBB44_62
.LBB44_72:
	s_nop 0
	s_sendmsg sendmsg(MSG_DEALLOC_VGPRS)
	s_endpgm
	.section	.rodata,"a",@progbits
	.p2align	6, 0x0
	.amdhsa_kernel _ZN9rocsparseL14kernel_freerunILi1024ELi4E21rocsparse_complex_numIdEiiEEvT3_S3_T2_PKS4_S6_PKS3_PKT1_21rocsparse_index_base_S6_S6_S8_PS9_SD_SC_S6_S6_S8_SD_SD_SC_SD_SD_
		.amdhsa_group_segment_fixed_size 0
		.amdhsa_private_segment_fixed_size 0
		.amdhsa_kernarg_size 168
		.amdhsa_user_sgpr_count 15
		.amdhsa_user_sgpr_dispatch_ptr 0
		.amdhsa_user_sgpr_queue_ptr 0
		.amdhsa_user_sgpr_kernarg_segment_ptr 1
		.amdhsa_user_sgpr_dispatch_id 0
		.amdhsa_user_sgpr_private_segment_size 0
		.amdhsa_wavefront_size32 1
		.amdhsa_uses_dynamic_stack 0
		.amdhsa_enable_private_segment 0
		.amdhsa_system_sgpr_workgroup_id_x 1
		.amdhsa_system_sgpr_workgroup_id_y 0
		.amdhsa_system_sgpr_workgroup_id_z 0
		.amdhsa_system_sgpr_workgroup_info 0
		.amdhsa_system_vgpr_workitem_id 0
		.amdhsa_next_free_vgpr 42
		.amdhsa_next_free_sgpr 57
		.amdhsa_reserve_vcc 1
		.amdhsa_float_round_mode_32 0
		.amdhsa_float_round_mode_16_64 0
		.amdhsa_float_denorm_mode_32 3
		.amdhsa_float_denorm_mode_16_64 3
		.amdhsa_dx10_clamp 1
		.amdhsa_ieee_mode 1
		.amdhsa_fp16_overflow 0
		.amdhsa_workgroup_processor_mode 1
		.amdhsa_memory_ordered 1
		.amdhsa_forward_progress 0
		.amdhsa_shared_vgpr_count 0
		.amdhsa_exception_fp_ieee_invalid_op 0
		.amdhsa_exception_fp_denorm_src 0
		.amdhsa_exception_fp_ieee_div_zero 0
		.amdhsa_exception_fp_ieee_overflow 0
		.amdhsa_exception_fp_ieee_underflow 0
		.amdhsa_exception_fp_ieee_inexact 0
		.amdhsa_exception_int_div_zero 0
	.end_amdhsa_kernel
	.section	.text._ZN9rocsparseL14kernel_freerunILi1024ELi4E21rocsparse_complex_numIdEiiEEvT3_S3_T2_PKS4_S6_PKS3_PKT1_21rocsparse_index_base_S6_S6_S8_PS9_SD_SC_S6_S6_S8_SD_SD_SC_SD_SD_,"axG",@progbits,_ZN9rocsparseL14kernel_freerunILi1024ELi4E21rocsparse_complex_numIdEiiEEvT3_S3_T2_PKS4_S6_PKS3_PKT1_21rocsparse_index_base_S6_S6_S8_PS9_SD_SC_S6_S6_S8_SD_SD_SC_SD_SD_,comdat
.Lfunc_end44:
	.size	_ZN9rocsparseL14kernel_freerunILi1024ELi4E21rocsparse_complex_numIdEiiEEvT3_S3_T2_PKS4_S6_PKS3_PKT1_21rocsparse_index_base_S6_S6_S8_PS9_SD_SC_S6_S6_S8_SD_SD_SC_SD_SD_, .Lfunc_end44-_ZN9rocsparseL14kernel_freerunILi1024ELi4E21rocsparse_complex_numIdEiiEEvT3_S3_T2_PKS4_S6_PKS3_PKT1_21rocsparse_index_base_S6_S6_S8_PS9_SD_SC_S6_S6_S8_SD_SD_SC_SD_SD_
                                        ; -- End function
	.section	.AMDGPU.csdata,"",@progbits
; Kernel info:
; codeLenInByte = 4180
; NumSgprs: 59
; NumVgprs: 42
; ScratchSize: 0
; MemoryBound: 1
; FloatMode: 240
; IeeeMode: 1
; LDSByteSize: 0 bytes/workgroup (compile time only)
; SGPRBlocks: 7
; VGPRBlocks: 5
; NumSGPRsForWavesPerEU: 59
; NumVGPRsForWavesPerEU: 42
; Occupancy: 16
; WaveLimiterHint : 1
; COMPUTE_PGM_RSRC2:SCRATCH_EN: 0
; COMPUTE_PGM_RSRC2:USER_SGPR: 15
; COMPUTE_PGM_RSRC2:TRAP_HANDLER: 0
; COMPUTE_PGM_RSRC2:TGID_X_EN: 1
; COMPUTE_PGM_RSRC2:TGID_Y_EN: 0
; COMPUTE_PGM_RSRC2:TGID_Z_EN: 0
; COMPUTE_PGM_RSRC2:TIDIG_COMP_CNT: 0
	.section	.text._ZN9rocsparseL14kernel_freerunILi1024ELi8E21rocsparse_complex_numIdEiiEEvT3_S3_T2_PKS4_S6_PKS3_PKT1_21rocsparse_index_base_S6_S6_S8_PS9_SD_SC_S6_S6_S8_SD_SD_SC_SD_SD_,"axG",@progbits,_ZN9rocsparseL14kernel_freerunILi1024ELi8E21rocsparse_complex_numIdEiiEEvT3_S3_T2_PKS4_S6_PKS3_PKT1_21rocsparse_index_base_S6_S6_S8_PS9_SD_SC_S6_S6_S8_SD_SD_SC_SD_SD_,comdat
	.globl	_ZN9rocsparseL14kernel_freerunILi1024ELi8E21rocsparse_complex_numIdEiiEEvT3_S3_T2_PKS4_S6_PKS3_PKT1_21rocsparse_index_base_S6_S6_S8_PS9_SD_SC_S6_S6_S8_SD_SD_SC_SD_SD_ ; -- Begin function _ZN9rocsparseL14kernel_freerunILi1024ELi8E21rocsparse_complex_numIdEiiEEvT3_S3_T2_PKS4_S6_PKS3_PKT1_21rocsparse_index_base_S6_S6_S8_PS9_SD_SC_S6_S6_S8_SD_SD_SC_SD_SD_
	.p2align	8
	.type	_ZN9rocsparseL14kernel_freerunILi1024ELi8E21rocsparse_complex_numIdEiiEEvT3_S3_T2_PKS4_S6_PKS3_PKT1_21rocsparse_index_base_S6_S6_S8_PS9_SD_SC_S6_S6_S8_SD_SD_SC_SD_SD_,@function
_ZN9rocsparseL14kernel_freerunILi1024ELi8E21rocsparse_complex_numIdEiiEEvT3_S3_T2_PKS4_S6_PKS3_PKT1_21rocsparse_index_base_S6_S6_S8_PS9_SD_SC_S6_S6_S8_SD_SD_SC_SD_SD_: ; @_ZN9rocsparseL14kernel_freerunILi1024ELi8E21rocsparse_complex_numIdEiiEEvT3_S3_T2_PKS4_S6_PKS3_PKT1_21rocsparse_index_base_S6_S6_S8_PS9_SD_SC_S6_S6_S8_SD_SD_SC_SD_SD_
; %bb.0:
	s_load_b64 s[6:7], s[0:1], 0x0
	v_lshrrev_b32_e32 v1, 3, v0
	s_lshl_b32 s44, s15, 10
	s_mov_b32 s5, 0
	s_delay_alu instid0(VALU_DEP_1) | instskip(SKIP_1) | instid1(VALU_DEP_1)
	v_or_b32_e32 v25, s44, v1
	s_waitcnt lgkmcnt(0)
	v_cmp_gt_i32_e32 vcc_lo, s7, v25
	s_cmp_gt_i32 s6, 0
	s_cselect_b32 s2, -1, 0
	s_delay_alu instid0(SALU_CYCLE_1) | instskip(NEXT) | instid1(SALU_CYCLE_1)
	s_and_b32 s2, vcc_lo, s2
	s_and_saveexec_b32 s3, s2
	s_cbranch_execz .LBB45_72
; %bb.1:
	s_clause 0x8
	s_load_b32 s33, s[0:1], 0x30
	s_load_b32 s42, s[0:1], 0x60
	;; [unrolled: 1-line block ×3, first 2 shown]
	s_load_b64 s[34:35], s[0:1], 0x88
	s_load_b64 s[40:41], s[0:1], 0x58
	s_load_b128 s[36:39], s[0:1], 0x98
	s_load_b256 s[8:15], s[0:1], 0x68
	s_load_b256 s[16:23], s[0:1], 0x38
	;; [unrolled: 1-line block ×3, first 2 shown]
	v_dual_mov_b32 v9, 0 :: v_dual_and_b32 v0, 7, v0
	s_addk_i32 s44, 0x400
	s_delay_alu instid0(SALU_CYCLE_1) | instskip(NEXT) | instid1(VALU_DEP_2)
	v_cmp_gt_u32_e64 s0, s44, v25
	v_cmp_eq_u32_e64 s1, 0, v0
	s_waitcnt lgkmcnt(0)
	v_subrev_nc_u32_e32 v26, s33, v0
	v_subrev_nc_u32_e32 v27, s42, v0
	;; [unrolled: 1-line block ×3, first 2 shown]
	s_branch .LBB45_3
.LBB45_2:                               ;   in Loop: Header=BB45_3 Depth=1
	s_or_b32 exec_lo, exec_lo, s3
	s_add_i32 s5, s5, 1
	s_delay_alu instid0(SALU_CYCLE_1)
	s_cmp_eq_u32 s5, s6
	s_cbranch_scc1 .LBB45_72
.LBB45_3:                               ; =>This Loop Header: Depth=1
                                        ;     Child Loop BB45_5 Depth 2
                                        ;       Child Loop BB45_9 Depth 3
                                        ;         Child Loop BB45_13 Depth 4
                                        ;         Child Loop BB45_43 Depth 4
	;; [unrolled: 1-line block ×3, first 2 shown]
                                        ;     Child Loop BB45_63 Depth 2
                                        ;       Child Loop BB45_66 Depth 3
                                        ;       Child Loop BB45_69 Depth 3
	s_mov_b32 s45, 0
	s_branch .LBB45_5
.LBB45_4:                               ;   in Loop: Header=BB45_5 Depth=2
	s_or_b32 exec_lo, exec_lo, s46
	s_add_i32 s45, s45, 1
	s_delay_alu instid0(SALU_CYCLE_1)
	s_cmp_eq_u32 s45, 8
	s_cbranch_scc1 .LBB45_60
.LBB45_5:                               ;   Parent Loop BB45_3 Depth=1
                                        ; =>  This Loop Header: Depth=2
                                        ;       Child Loop BB45_9 Depth 3
                                        ;         Child Loop BB45_13 Depth 4
                                        ;         Child Loop BB45_43 Depth 4
	;; [unrolled: 1-line block ×3, first 2 shown]
	v_lshl_add_u32 v10, s45, 7, v25
	s_mov_b32 s46, exec_lo
	s_delay_alu instid0(VALU_DEP_1)
	v_cmpx_gt_i32_e64 s7, v10
	s_cbranch_execz .LBB45_4
; %bb.6:                                ;   in Loop: Header=BB45_5 Depth=2
	v_ashrrev_i32_e32 v11, 31, v10
	s_delay_alu instid0(VALU_DEP_1) | instskip(NEXT) | instid1(VALU_DEP_1)
	v_lshlrev_b64 v[0:1], 2, v[10:11]
	v_add_co_u32 v2, vcc_lo, s24, v0
	s_delay_alu instid0(VALU_DEP_2)
	v_add_co_ci_u32_e32 v3, vcc_lo, s25, v1, vcc_lo
	v_add_co_u32 v4, vcc_lo, s26, v0
	v_add_co_ci_u32_e32 v5, vcc_lo, s27, v1, vcc_lo
	global_load_b32 v2, v[2:3], off
	global_load_b32 v3, v[4:5], off
	s_waitcnt vmcnt(1)
	v_add_nc_u32_e32 v11, v26, v2
	s_waitcnt vmcnt(0)
	v_subrev_nc_u32_e32 v29, s33, v3
	s_delay_alu instid0(VALU_DEP_1)
	v_cmp_lt_i32_e32 vcc_lo, v11, v29
	s_and_b32 exec_lo, exec_lo, vcc_lo
	s_cbranch_execz .LBB45_4
; %bb.7:                                ;   in Loop: Header=BB45_5 Depth=2
	v_add_co_u32 v2, vcc_lo, s16, v0
	v_add_co_ci_u32_e32 v3, vcc_lo, s17, v1, vcc_lo
	v_add_co_u32 v0, vcc_lo, s18, v0
	v_add_co_ci_u32_e32 v1, vcc_lo, s19, v1, vcc_lo
	global_load_b32 v2, v[2:3], off
	s_mov_b32 s47, 0
	global_load_b32 v3, v[0:1], off
	s_waitcnt vmcnt(1)
	v_subrev_nc_u32_e32 v13, s42, v2
	s_waitcnt vmcnt(0)
	v_sub_nc_u32_e32 v30, v3, v2
	s_delay_alu instid0(VALU_DEP_2) | instskip(NEXT) | instid1(VALU_DEP_2)
	v_ashrrev_i32_e32 v14, 31, v13
	v_cmp_lt_i32_e64 s2, 0, v30
	s_delay_alu instid0(VALU_DEP_2) | instskip(SKIP_1) | instid1(VALU_DEP_2)
	v_lshlrev_b64 v[0:1], 2, v[13:14]
	v_lshlrev_b64 v[2:3], 4, v[13:14]
	v_add_co_u32 v31, vcc_lo, s20, v0
	s_delay_alu instid0(VALU_DEP_3) | instskip(NEXT) | instid1(VALU_DEP_3)
	v_add_co_ci_u32_e32 v32, vcc_lo, s21, v1, vcc_lo
	v_add_co_u32 v33, vcc_lo, s22, v2
	s_delay_alu instid0(VALU_DEP_4)
	v_add_co_ci_u32_e32 v34, vcc_lo, s23, v3, vcc_lo
	s_branch .LBB45_9
.LBB45_8:                               ;   in Loop: Header=BB45_9 Depth=3
	s_or_b32 exec_lo, exec_lo, s4
	v_add_nc_u32_e32 v11, 8, v11
	s_delay_alu instid0(VALU_DEP_1) | instskip(SKIP_1) | instid1(SALU_CYCLE_1)
	v_cmp_ge_i32_e32 vcc_lo, v11, v29
	s_or_b32 s47, vcc_lo, s47
	s_and_not1_b32 exec_lo, exec_lo, s47
	s_cbranch_execz .LBB45_4
.LBB45_9:                               ;   Parent Loop BB45_3 Depth=1
                                        ;     Parent Loop BB45_5 Depth=2
                                        ; =>    This Loop Header: Depth=3
                                        ;         Child Loop BB45_13 Depth 4
                                        ;         Child Loop BB45_43 Depth 4
	;; [unrolled: 1-line block ×3, first 2 shown]
	v_ashrrev_i32_e32 v12, 31, v11
	v_mov_b32_e32 v18, 0
	v_mov_b32_e32 v8, 0
	s_delay_alu instid0(VALU_DEP_3) | instskip(NEXT) | instid1(VALU_DEP_1)
	v_lshlrev_b64 v[0:1], 2, v[11:12]
	v_add_co_u32 v0, vcc_lo, s28, v0
	s_delay_alu instid0(VALU_DEP_2) | instskip(SKIP_3) | instid1(VALU_DEP_1)
	v_add_co_ci_u32_e32 v1, vcc_lo, s29, v1, vcc_lo
	global_load_b32 v0, v[0:1], off
	s_waitcnt vmcnt(0)
	v_subrev_nc_u32_e32 v14, s33, v0
	v_ashrrev_i32_e32 v15, 31, v14
	s_delay_alu instid0(VALU_DEP_1) | instskip(NEXT) | instid1(VALU_DEP_1)
	v_lshlrev_b64 v[0:1], 2, v[14:15]
	v_add_co_u32 v2, vcc_lo, s8, v0
	s_delay_alu instid0(VALU_DEP_2)
	v_add_co_ci_u32_e32 v3, vcc_lo, s9, v1, vcc_lo
	v_add_co_u32 v0, vcc_lo, s10, v0
	v_add_co_ci_u32_e32 v1, vcc_lo, s11, v1, vcc_lo
	global_load_b32 v4, v[2:3], off
	global_load_b32 v5, v[0:1], off
	v_mov_b32_e32 v0, 0
	v_mov_b32_e32 v1, 0
	s_delay_alu instid0(VALU_DEP_1)
	v_dual_mov_b32 v3, v1 :: v_dual_mov_b32 v2, v0
	s_waitcnt vmcnt(1)
	v_subrev_nc_u32_e32 v16, s43, v4
	s_waitcnt vmcnt(0)
	v_sub_nc_u32_e32 v35, v5, v4
	s_and_saveexec_b32 s4, s2
	s_cbranch_execz .LBB45_17
; %bb.10:                               ;   in Loop: Header=BB45_9 Depth=3
	v_ashrrev_i32_e32 v17, 31, v16
	v_mov_b32_e32 v0, 0
	v_dual_mov_b32 v18, 0 :: v_dual_mov_b32 v1, 0
	s_mov_b32 s48, 0
	s_delay_alu instid0(VALU_DEP_3) | instskip(SKIP_1) | instid1(VALU_DEP_3)
	v_lshlrev_b64 v[2:3], 2, v[16:17]
	v_lshlrev_b64 v[6:7], 4, v[16:17]
	v_mov_b32_e32 v8, v18
                                        ; implicit-def: $sgpr49
	s_delay_alu instid0(VALU_DEP_3) | instskip(NEXT) | instid1(VALU_DEP_4)
	v_add_co_u32 v4, vcc_lo, s12, v2
	v_add_co_ci_u32_e32 v5, vcc_lo, s13, v3, vcc_lo
	v_mov_b32_e32 v3, v1
	v_add_co_u32 v6, vcc_lo, s14, v6
	v_add_co_ci_u32_e32 v7, vcc_lo, s15, v7, vcc_lo
	v_mov_b32_e32 v2, v0
	s_branch .LBB45_13
.LBB45_11:                              ;   in Loop: Header=BB45_13 Depth=4
	s_or_b32 exec_lo, exec_lo, s3
	v_cmp_le_i32_e32 vcc_lo, v17, v20
	v_cmp_ge_i32_e64 s3, v17, v20
	v_add_co_ci_u32_e32 v8, vcc_lo, 0, v8, vcc_lo
	s_delay_alu instid0(VALU_DEP_2) | instskip(SKIP_1) | instid1(VALU_DEP_2)
	v_add_co_ci_u32_e64 v18, s3, 0, v18, s3
	s_and_not1_b32 s3, s49, exec_lo
	v_cmp_ge_i32_e32 vcc_lo, v8, v30
	s_and_b32 s49, vcc_lo, exec_lo
	s_delay_alu instid0(SALU_CYCLE_1)
	s_or_b32 s49, s3, s49
.LBB45_12:                              ;   in Loop: Header=BB45_13 Depth=4
	s_or_b32 exec_lo, exec_lo, s50
	s_delay_alu instid0(SALU_CYCLE_1) | instskip(NEXT) | instid1(SALU_CYCLE_1)
	s_and_b32 s3, exec_lo, s49
	s_or_b32 s48, s3, s48
	s_delay_alu instid0(SALU_CYCLE_1)
	s_and_not1_b32 exec_lo, exec_lo, s48
	s_cbranch_execz .LBB45_16
.LBB45_13:                              ;   Parent Loop BB45_3 Depth=1
                                        ;     Parent Loop BB45_5 Depth=2
                                        ;       Parent Loop BB45_9 Depth=3
                                        ; =>      This Inner Loop Header: Depth=4
	s_or_b32 s49, s49, exec_lo
	s_mov_b32 s50, exec_lo
	v_cmpx_lt_i32_e64 v18, v35
	s_cbranch_execz .LBB45_12
; %bb.14:                               ;   in Loop: Header=BB45_13 Depth=4
	v_mov_b32_e32 v19, v9
	v_lshlrev_b64 v[20:21], 2, v[8:9]
	s_mov_b32 s3, exec_lo
	s_delay_alu instid0(VALU_DEP_2) | instskip(NEXT) | instid1(VALU_DEP_2)
	v_lshlrev_b64 v[22:23], 2, v[18:19]
	v_add_co_u32 v20, vcc_lo, v31, v20
	s_delay_alu instid0(VALU_DEP_3) | instskip(NEXT) | instid1(VALU_DEP_3)
	v_add_co_ci_u32_e32 v21, vcc_lo, v32, v21, vcc_lo
	v_add_co_u32 v22, vcc_lo, v4, v22
	s_delay_alu instid0(VALU_DEP_4)
	v_add_co_ci_u32_e32 v23, vcc_lo, v5, v23, vcc_lo
	global_load_b32 v17, v[20:21], off
	global_load_b32 v20, v[22:23], off
	s_waitcnt vmcnt(1)
	v_subrev_nc_u32_e32 v17, s42, v17
	s_waitcnt vmcnt(0)
	v_subrev_nc_u32_e32 v20, s43, v20
	s_delay_alu instid0(VALU_DEP_1)
	v_cmpx_eq_u32_e64 v17, v20
	s_cbranch_execz .LBB45_11
; %bb.15:                               ;   in Loop: Header=BB45_13 Depth=4
	v_lshlrev_b64 v[21:22], 4, v[8:9]
	v_lshlrev_b64 v[23:24], 4, v[18:19]
	s_delay_alu instid0(VALU_DEP_2) | instskip(NEXT) | instid1(VALU_DEP_3)
	v_add_co_u32 v21, vcc_lo, v33, v21
	v_add_co_ci_u32_e32 v22, vcc_lo, v34, v22, vcc_lo
	s_delay_alu instid0(VALU_DEP_3) | instskip(NEXT) | instid1(VALU_DEP_4)
	v_add_co_u32 v36, vcc_lo, v6, v23
	v_add_co_ci_u32_e32 v37, vcc_lo, v7, v24, vcc_lo
	global_load_b128 v[21:24], v[21:22], off
	global_load_b128 v[36:39], v[36:37], off
	s_waitcnt vmcnt(0)
	v_fma_f64 v[0:1], v[21:22], v[36:37], v[0:1]
	v_fma_f64 v[2:3], v[23:24], v[36:37], v[2:3]
	s_delay_alu instid0(VALU_DEP_2) | instskip(NEXT) | instid1(VALU_DEP_2)
	v_fma_f64 v[0:1], -v[23:24], v[38:39], v[0:1]
	v_fma_f64 v[2:3], v[21:22], v[38:39], v[2:3]
	s_branch .LBB45_11
.LBB45_16:                              ;   in Loop: Header=BB45_9 Depth=3
	s_or_b32 exec_lo, exec_lo, s48
.LBB45_17:                              ;   in Loop: Header=BB45_9 Depth=3
	s_delay_alu instid0(SALU_CYCLE_1) | instskip(SKIP_3) | instid1(VALU_DEP_2)
	s_or_b32 exec_lo, exec_lo, s4
	v_lshlrev_b64 v[4:5], 4, v[11:12]
	v_cmp_le_i32_e64 s3, v10, v14
	s_mov_b32 s4, exec_lo
	v_add_co_u32 v4, vcc_lo, s30, v4
	s_delay_alu instid0(VALU_DEP_3)
	v_add_co_ci_u32_e32 v5, vcc_lo, s31, v5, vcc_lo
	global_load_b128 v[4:7], v[4:5], off
	s_waitcnt vmcnt(0)
	v_add_f64 v[0:1], v[4:5], -v[0:1]
	v_add_f64 v[2:3], v[6:7], -v[2:3]
	v_cmpx_gt_i32_e64 v10, v14
	s_cbranch_execz .LBB45_27
; %bb.18:                               ;   in Loop: Header=BB45_9 Depth=3
	v_lshlrev_b64 v[4:5], 4, v[14:15]
	s_mov_b32 s48, exec_lo
                                        ; implicit-def: $vgpr23_vgpr24
	s_delay_alu instid0(VALU_DEP_1) | instskip(NEXT) | instid1(VALU_DEP_2)
	v_add_co_u32 v4, vcc_lo, s36, v4
	v_add_co_ci_u32_e32 v5, vcc_lo, s37, v5, vcc_lo
	global_load_b128 v[4:7], v[4:5], off
	s_waitcnt vmcnt(0)
	v_cmp_gt_f64_e32 vcc_lo, 0, v[4:5]
	v_xor_b32_e32 v12, 0x80000000, v5
	v_mov_b32_e32 v19, v4
	v_xor_b32_e32 v17, 0x80000000, v7
	s_delay_alu instid0(VALU_DEP_3) | instskip(SKIP_1) | instid1(VALU_DEP_3)
	v_dual_mov_b32 v21, v6 :: v_dual_cndmask_b32 v20, v5, v12
	v_cmp_gt_f64_e32 vcc_lo, 0, v[6:7]
	v_cndmask_b32_e32 v22, v7, v17, vcc_lo
	s_delay_alu instid0(VALU_DEP_1)
	v_cmpx_ngt_f64_e32 v[19:20], v[21:22]
	s_xor_b32 s48, exec_lo, s48
	s_cbranch_execz .LBB45_22
; %bb.19:                               ;   in Loop: Header=BB45_9 Depth=3
	v_mov_b32_e32 v23, 0
	v_mov_b32_e32 v24, 0
	s_mov_b32 s49, exec_lo
	v_cmpx_neq_f64_e32 0, v[6:7]
	s_cbranch_execz .LBB45_21
; %bb.20:                               ;   in Loop: Header=BB45_9 Depth=3
	v_div_scale_f64 v[23:24], null, v[21:22], v[21:22], v[19:20]
	v_div_scale_f64 v[40:41], vcc_lo, v[19:20], v[21:22], v[19:20]
	s_delay_alu instid0(VALU_DEP_2) | instskip(SKIP_2) | instid1(VALU_DEP_1)
	v_rcp_f64_e32 v[36:37], v[23:24]
	s_waitcnt_depctr 0xfff
	v_fma_f64 v[38:39], -v[23:24], v[36:37], 1.0
	v_fma_f64 v[36:37], v[36:37], v[38:39], v[36:37]
	s_delay_alu instid0(VALU_DEP_1) | instskip(NEXT) | instid1(VALU_DEP_1)
	v_fma_f64 v[38:39], -v[23:24], v[36:37], 1.0
	v_fma_f64 v[36:37], v[36:37], v[38:39], v[36:37]
	s_delay_alu instid0(VALU_DEP_1) | instskip(NEXT) | instid1(VALU_DEP_1)
	v_mul_f64 v[38:39], v[40:41], v[36:37]
	v_fma_f64 v[23:24], -v[23:24], v[38:39], v[40:41]
	s_delay_alu instid0(VALU_DEP_1) | instskip(NEXT) | instid1(VALU_DEP_1)
	v_div_fmas_f64 v[23:24], v[23:24], v[36:37], v[38:39]
	v_div_fixup_f64 v[19:20], v[23:24], v[21:22], v[19:20]
	s_delay_alu instid0(VALU_DEP_1) | instskip(NEXT) | instid1(VALU_DEP_1)
	v_fma_f64 v[19:20], v[19:20], v[19:20], 1.0
	v_cmp_gt_f64_e32 vcc_lo, 0x10000000, v[19:20]
	v_cndmask_b32_e64 v12, 0, 1, vcc_lo
	s_delay_alu instid0(VALU_DEP_1) | instskip(NEXT) | instid1(VALU_DEP_1)
	v_lshlrev_b32_e32 v12, 8, v12
	v_ldexp_f64 v[19:20], v[19:20], v12
	v_cndmask_b32_e64 v12, 0, 0xffffff80, vcc_lo
	s_delay_alu instid0(VALU_DEP_2) | instskip(SKIP_4) | instid1(VALU_DEP_1)
	v_rsq_f64_e32 v[23:24], v[19:20]
	v_cmp_class_f64_e64 vcc_lo, v[19:20], 0x260
	s_waitcnt_depctr 0xfff
	v_mul_f64 v[36:37], v[19:20], v[23:24]
	v_mul_f64 v[23:24], v[23:24], 0.5
	v_fma_f64 v[38:39], -v[23:24], v[36:37], 0.5
	s_delay_alu instid0(VALU_DEP_1) | instskip(SKIP_1) | instid1(VALU_DEP_2)
	v_fma_f64 v[36:37], v[36:37], v[38:39], v[36:37]
	v_fma_f64 v[23:24], v[23:24], v[38:39], v[23:24]
	v_fma_f64 v[38:39], -v[36:37], v[36:37], v[19:20]
	s_delay_alu instid0(VALU_DEP_1) | instskip(NEXT) | instid1(VALU_DEP_1)
	v_fma_f64 v[36:37], v[38:39], v[23:24], v[36:37]
	v_fma_f64 v[38:39], -v[36:37], v[36:37], v[19:20]
	s_delay_alu instid0(VALU_DEP_1) | instskip(NEXT) | instid1(VALU_DEP_1)
	v_fma_f64 v[23:24], v[38:39], v[23:24], v[36:37]
	v_ldexp_f64 v[23:24], v[23:24], v12
	s_delay_alu instid0(VALU_DEP_1) | instskip(NEXT) | instid1(VALU_DEP_1)
	v_dual_cndmask_b32 v19, v23, v19 :: v_dual_cndmask_b32 v20, v24, v20
	v_mul_f64 v[23:24], v[21:22], v[19:20]
.LBB45_21:                              ;   in Loop: Header=BB45_9 Depth=3
	s_or_b32 exec_lo, exec_lo, s49
                                        ; implicit-def: $vgpr19_vgpr20
                                        ; implicit-def: $vgpr21_vgpr22
.LBB45_22:                              ;   in Loop: Header=BB45_9 Depth=3
	s_and_not1_saveexec_b32 s48, s48
	s_cbranch_execz .LBB45_24
; %bb.23:                               ;   in Loop: Header=BB45_9 Depth=3
	v_div_scale_f64 v[23:24], null, v[19:20], v[19:20], v[21:22]
	v_div_scale_f64 v[40:41], vcc_lo, v[21:22], v[19:20], v[21:22]
	s_delay_alu instid0(VALU_DEP_2) | instskip(SKIP_2) | instid1(VALU_DEP_1)
	v_rcp_f64_e32 v[36:37], v[23:24]
	s_waitcnt_depctr 0xfff
	v_fma_f64 v[38:39], -v[23:24], v[36:37], 1.0
	v_fma_f64 v[36:37], v[36:37], v[38:39], v[36:37]
	s_delay_alu instid0(VALU_DEP_1) | instskip(NEXT) | instid1(VALU_DEP_1)
	v_fma_f64 v[38:39], -v[23:24], v[36:37], 1.0
	v_fma_f64 v[36:37], v[36:37], v[38:39], v[36:37]
	s_delay_alu instid0(VALU_DEP_1) | instskip(NEXT) | instid1(VALU_DEP_1)
	v_mul_f64 v[38:39], v[40:41], v[36:37]
	v_fma_f64 v[23:24], -v[23:24], v[38:39], v[40:41]
	s_delay_alu instid0(VALU_DEP_1) | instskip(NEXT) | instid1(VALU_DEP_1)
	v_div_fmas_f64 v[23:24], v[23:24], v[36:37], v[38:39]
	v_div_fixup_f64 v[21:22], v[23:24], v[19:20], v[21:22]
	s_delay_alu instid0(VALU_DEP_1) | instskip(NEXT) | instid1(VALU_DEP_1)
	v_fma_f64 v[21:22], v[21:22], v[21:22], 1.0
	v_cmp_gt_f64_e32 vcc_lo, 0x10000000, v[21:22]
	v_cndmask_b32_e64 v12, 0, 1, vcc_lo
	s_delay_alu instid0(VALU_DEP_1) | instskip(NEXT) | instid1(VALU_DEP_1)
	v_lshlrev_b32_e32 v12, 8, v12
	v_ldexp_f64 v[21:22], v[21:22], v12
	v_cndmask_b32_e64 v12, 0, 0xffffff80, vcc_lo
	s_delay_alu instid0(VALU_DEP_2) | instskip(SKIP_4) | instid1(VALU_DEP_1)
	v_rsq_f64_e32 v[23:24], v[21:22]
	v_cmp_class_f64_e64 vcc_lo, v[21:22], 0x260
	s_waitcnt_depctr 0xfff
	v_mul_f64 v[36:37], v[21:22], v[23:24]
	v_mul_f64 v[23:24], v[23:24], 0.5
	v_fma_f64 v[38:39], -v[23:24], v[36:37], 0.5
	s_delay_alu instid0(VALU_DEP_1) | instskip(SKIP_1) | instid1(VALU_DEP_2)
	v_fma_f64 v[36:37], v[36:37], v[38:39], v[36:37]
	v_fma_f64 v[23:24], v[23:24], v[38:39], v[23:24]
	v_fma_f64 v[38:39], -v[36:37], v[36:37], v[21:22]
	s_delay_alu instid0(VALU_DEP_1) | instskip(NEXT) | instid1(VALU_DEP_1)
	v_fma_f64 v[36:37], v[38:39], v[23:24], v[36:37]
	v_fma_f64 v[38:39], -v[36:37], v[36:37], v[21:22]
	s_delay_alu instid0(VALU_DEP_1) | instskip(NEXT) | instid1(VALU_DEP_1)
	v_fma_f64 v[23:24], v[38:39], v[23:24], v[36:37]
	v_ldexp_f64 v[23:24], v[23:24], v12
	s_delay_alu instid0(VALU_DEP_1) | instskip(NEXT) | instid1(VALU_DEP_1)
	v_dual_cndmask_b32 v21, v23, v21 :: v_dual_cndmask_b32 v22, v24, v22
	v_mul_f64 v[23:24], v[19:20], v[21:22]
.LBB45_24:                              ;   in Loop: Header=BB45_9 Depth=3
	s_or_b32 exec_lo, exec_lo, s48
	v_mov_b32_e32 v19, 0
	v_mov_b32_e32 v20, 0
	s_mov_b32 s48, exec_lo
	s_delay_alu instid0(VALU_DEP_1) | instskip(NEXT) | instid1(VALU_DEP_4)
	v_dual_mov_b32 v22, v20 :: v_dual_mov_b32 v21, v19
	v_cmpx_lt_f64_e32 0, v[23:24]
	s_cbranch_execz .LBB45_26
; %bb.25:                               ;   in Loop: Header=BB45_9 Depth=3
	v_mul_f64 v[19:20], v[6:7], v[6:7]
	s_delay_alu instid0(VALU_DEP_1) | instskip(NEXT) | instid1(VALU_DEP_1)
	v_fma_f64 v[19:20], v[4:5], v[4:5], v[19:20]
	v_div_scale_f64 v[21:22], null, v[19:20], v[19:20], 1.0
	v_div_scale_f64 v[38:39], vcc_lo, 1.0, v[19:20], 1.0
	s_delay_alu instid0(VALU_DEP_2) | instskip(SKIP_2) | instid1(VALU_DEP_1)
	v_rcp_f64_e32 v[23:24], v[21:22]
	s_waitcnt_depctr 0xfff
	v_fma_f64 v[36:37], -v[21:22], v[23:24], 1.0
	v_fma_f64 v[23:24], v[23:24], v[36:37], v[23:24]
	s_delay_alu instid0(VALU_DEP_1) | instskip(NEXT) | instid1(VALU_DEP_1)
	v_fma_f64 v[36:37], -v[21:22], v[23:24], 1.0
	v_fma_f64 v[23:24], v[23:24], v[36:37], v[23:24]
	s_delay_alu instid0(VALU_DEP_1) | instskip(NEXT) | instid1(VALU_DEP_1)
	v_mul_f64 v[36:37], v[38:39], v[23:24]
	v_fma_f64 v[21:22], -v[21:22], v[36:37], v[38:39]
	v_mul_f64 v[38:39], v[2:3], v[6:7]
	v_mul_f64 v[6:7], v[6:7], -v[0:1]
	s_delay_alu instid0(VALU_DEP_3) | instskip(NEXT) | instid1(VALU_DEP_3)
	v_div_fmas_f64 v[21:22], v[21:22], v[23:24], v[36:37]
	v_fma_f64 v[0:1], v[0:1], v[4:5], v[38:39]
	s_delay_alu instid0(VALU_DEP_3) | instskip(NEXT) | instid1(VALU_DEP_3)
	v_fma_f64 v[2:3], v[2:3], v[4:5], v[6:7]
	v_div_fixup_f64 v[21:22], v[21:22], v[19:20], 1.0
	s_delay_alu instid0(VALU_DEP_1) | instskip(NEXT) | instid1(VALU_DEP_3)
	v_mul_f64 v[19:20], v[0:1], v[21:22]
	v_mul_f64 v[21:22], v[2:3], v[21:22]
.LBB45_26:                              ;   in Loop: Header=BB45_9 Depth=3
	s_or_b32 exec_lo, exec_lo, s48
	s_delay_alu instid0(VALU_DEP_2) | instskip(NEXT) | instid1(VALU_DEP_2)
	v_dual_mov_b32 v0, v19 :: v_dual_mov_b32 v1, v20
	v_dual_mov_b32 v2, v21 :: v_dual_mov_b32 v3, v22
.LBB45_27:                              ;   in Loop: Header=BB45_9 Depth=3
	s_or_b32 exec_lo, exec_lo, s4
	s_delay_alu instid0(VALU_DEP_2) | instskip(NEXT) | instid1(VALU_DEP_2)
	v_cmp_gt_f64_e32 vcc_lo, 0, v[0:1]
	v_cmp_gt_f64_e64 s4, 0, v[2:3]
	v_xor_b32_e32 v4, 0x80000000, v1
	v_xor_b32_e32 v6, 0x80000000, v3
                                        ; implicit-def: $vgpr19_vgpr20
	s_delay_alu instid0(VALU_DEP_2) | instskip(NEXT) | instid1(VALU_DEP_2)
	v_cndmask_b32_e32 v5, v1, v4, vcc_lo
	v_cndmask_b32_e64 v7, v3, v6, s4
	v_cndmask_b32_e32 v4, v0, v0, vcc_lo
	v_cndmask_b32_e64 v6, v2, v2, s4
	s_mov_b32 s4, exec_lo
	s_delay_alu instid0(VALU_DEP_1)
	v_cmpx_ngt_f64_e32 v[4:5], v[6:7]
	s_xor_b32 s4, exec_lo, s4
	s_cbranch_execnz .LBB45_30
; %bb.28:                               ;   in Loop: Header=BB45_9 Depth=3
	s_and_not1_saveexec_b32 s4, s4
	s_cbranch_execnz .LBB45_33
.LBB45_29:                              ;   in Loop: Header=BB45_9 Depth=3
	s_or_b32 exec_lo, exec_lo, s4
	s_delay_alu instid0(VALU_DEP_1) | instskip(NEXT) | instid1(VALU_DEP_1)
	v_cmp_class_f64_e64 s48, v[19:20], 0x1f8
	s_and_saveexec_b32 s4, s48
	s_cbranch_execz .LBB45_8
	s_branch .LBB45_34
.LBB45_30:                              ;   in Loop: Header=BB45_9 Depth=3
	v_mov_b32_e32 v19, 0
	v_mov_b32_e32 v20, 0
	s_mov_b32 s48, exec_lo
	v_cmpx_neq_f64_e32 0, v[2:3]
	s_cbranch_execz .LBB45_32
; %bb.31:                               ;   in Loop: Header=BB45_9 Depth=3
	v_div_scale_f64 v[19:20], null, v[6:7], v[6:7], v[4:5]
	v_div_scale_f64 v[36:37], vcc_lo, v[4:5], v[6:7], v[4:5]
	s_delay_alu instid0(VALU_DEP_2) | instskip(SKIP_2) | instid1(VALU_DEP_1)
	v_rcp_f64_e32 v[21:22], v[19:20]
	s_waitcnt_depctr 0xfff
	v_fma_f64 v[23:24], -v[19:20], v[21:22], 1.0
	v_fma_f64 v[21:22], v[21:22], v[23:24], v[21:22]
	s_delay_alu instid0(VALU_DEP_1) | instskip(NEXT) | instid1(VALU_DEP_1)
	v_fma_f64 v[23:24], -v[19:20], v[21:22], 1.0
	v_fma_f64 v[21:22], v[21:22], v[23:24], v[21:22]
	s_delay_alu instid0(VALU_DEP_1) | instskip(NEXT) | instid1(VALU_DEP_1)
	v_mul_f64 v[23:24], v[36:37], v[21:22]
	v_fma_f64 v[19:20], -v[19:20], v[23:24], v[36:37]
	s_delay_alu instid0(VALU_DEP_1) | instskip(NEXT) | instid1(VALU_DEP_1)
	v_div_fmas_f64 v[19:20], v[19:20], v[21:22], v[23:24]
	v_div_fixup_f64 v[4:5], v[19:20], v[6:7], v[4:5]
	s_delay_alu instid0(VALU_DEP_1) | instskip(NEXT) | instid1(VALU_DEP_1)
	v_fma_f64 v[4:5], v[4:5], v[4:5], 1.0
	v_cmp_gt_f64_e32 vcc_lo, 0x10000000, v[4:5]
	v_cndmask_b32_e64 v12, 0, 1, vcc_lo
	s_delay_alu instid0(VALU_DEP_1) | instskip(NEXT) | instid1(VALU_DEP_1)
	v_lshlrev_b32_e32 v12, 8, v12
	v_ldexp_f64 v[4:5], v[4:5], v12
	v_cndmask_b32_e64 v12, 0, 0xffffff80, vcc_lo
	s_delay_alu instid0(VALU_DEP_2) | instskip(SKIP_4) | instid1(VALU_DEP_1)
	v_rsq_f64_e32 v[19:20], v[4:5]
	v_cmp_class_f64_e64 vcc_lo, v[4:5], 0x260
	s_waitcnt_depctr 0xfff
	v_mul_f64 v[21:22], v[4:5], v[19:20]
	v_mul_f64 v[19:20], v[19:20], 0.5
	v_fma_f64 v[23:24], -v[19:20], v[21:22], 0.5
	s_delay_alu instid0(VALU_DEP_1) | instskip(SKIP_1) | instid1(VALU_DEP_2)
	v_fma_f64 v[21:22], v[21:22], v[23:24], v[21:22]
	v_fma_f64 v[19:20], v[19:20], v[23:24], v[19:20]
	v_fma_f64 v[23:24], -v[21:22], v[21:22], v[4:5]
	s_delay_alu instid0(VALU_DEP_1) | instskip(NEXT) | instid1(VALU_DEP_1)
	v_fma_f64 v[21:22], v[23:24], v[19:20], v[21:22]
	v_fma_f64 v[23:24], -v[21:22], v[21:22], v[4:5]
	s_delay_alu instid0(VALU_DEP_1) | instskip(NEXT) | instid1(VALU_DEP_1)
	v_fma_f64 v[19:20], v[23:24], v[19:20], v[21:22]
	v_ldexp_f64 v[19:20], v[19:20], v12
	s_delay_alu instid0(VALU_DEP_1) | instskip(NEXT) | instid1(VALU_DEP_1)
	v_dual_cndmask_b32 v5, v20, v5 :: v_dual_cndmask_b32 v4, v19, v4
	v_mul_f64 v[19:20], v[6:7], v[4:5]
.LBB45_32:                              ;   in Loop: Header=BB45_9 Depth=3
	s_or_b32 exec_lo, exec_lo, s48
                                        ; implicit-def: $vgpr4_vgpr5
                                        ; implicit-def: $vgpr6_vgpr7
	s_and_not1_saveexec_b32 s4, s4
	s_cbranch_execz .LBB45_29
.LBB45_33:                              ;   in Loop: Header=BB45_9 Depth=3
	v_div_scale_f64 v[19:20], null, v[4:5], v[4:5], v[6:7]
	v_div_scale_f64 v[36:37], vcc_lo, v[6:7], v[4:5], v[6:7]
	s_delay_alu instid0(VALU_DEP_2) | instskip(SKIP_2) | instid1(VALU_DEP_1)
	v_rcp_f64_e32 v[21:22], v[19:20]
	s_waitcnt_depctr 0xfff
	v_fma_f64 v[23:24], -v[19:20], v[21:22], 1.0
	v_fma_f64 v[21:22], v[21:22], v[23:24], v[21:22]
	s_delay_alu instid0(VALU_DEP_1) | instskip(NEXT) | instid1(VALU_DEP_1)
	v_fma_f64 v[23:24], -v[19:20], v[21:22], 1.0
	v_fma_f64 v[21:22], v[21:22], v[23:24], v[21:22]
	s_delay_alu instid0(VALU_DEP_1) | instskip(NEXT) | instid1(VALU_DEP_1)
	v_mul_f64 v[23:24], v[36:37], v[21:22]
	v_fma_f64 v[19:20], -v[19:20], v[23:24], v[36:37]
	s_delay_alu instid0(VALU_DEP_1) | instskip(NEXT) | instid1(VALU_DEP_1)
	v_div_fmas_f64 v[19:20], v[19:20], v[21:22], v[23:24]
	v_div_fixup_f64 v[6:7], v[19:20], v[4:5], v[6:7]
	s_delay_alu instid0(VALU_DEP_1) | instskip(NEXT) | instid1(VALU_DEP_1)
	v_fma_f64 v[6:7], v[6:7], v[6:7], 1.0
	v_cmp_gt_f64_e32 vcc_lo, 0x10000000, v[6:7]
	v_cndmask_b32_e64 v12, 0, 1, vcc_lo
	s_delay_alu instid0(VALU_DEP_1) | instskip(NEXT) | instid1(VALU_DEP_1)
	v_lshlrev_b32_e32 v12, 8, v12
	v_ldexp_f64 v[6:7], v[6:7], v12
	v_cndmask_b32_e64 v12, 0, 0xffffff80, vcc_lo
	s_delay_alu instid0(VALU_DEP_2) | instskip(SKIP_4) | instid1(VALU_DEP_1)
	v_rsq_f64_e32 v[19:20], v[6:7]
	v_cmp_class_f64_e64 vcc_lo, v[6:7], 0x260
	s_waitcnt_depctr 0xfff
	v_mul_f64 v[21:22], v[6:7], v[19:20]
	v_mul_f64 v[19:20], v[19:20], 0.5
	v_fma_f64 v[23:24], -v[19:20], v[21:22], 0.5
	s_delay_alu instid0(VALU_DEP_1) | instskip(SKIP_1) | instid1(VALU_DEP_2)
	v_fma_f64 v[21:22], v[21:22], v[23:24], v[21:22]
	v_fma_f64 v[19:20], v[19:20], v[23:24], v[19:20]
	v_fma_f64 v[23:24], -v[21:22], v[21:22], v[6:7]
	s_delay_alu instid0(VALU_DEP_1) | instskip(NEXT) | instid1(VALU_DEP_1)
	v_fma_f64 v[21:22], v[23:24], v[19:20], v[21:22]
	v_fma_f64 v[23:24], -v[21:22], v[21:22], v[6:7]
	s_delay_alu instid0(VALU_DEP_1) | instskip(NEXT) | instid1(VALU_DEP_1)
	v_fma_f64 v[19:20], v[23:24], v[19:20], v[21:22]
	v_ldexp_f64 v[19:20], v[19:20], v12
	s_delay_alu instid0(VALU_DEP_1) | instskip(NEXT) | instid1(VALU_DEP_1)
	v_dual_cndmask_b32 v7, v20, v7 :: v_dual_cndmask_b32 v6, v19, v6
	v_mul_f64 v[19:20], v[4:5], v[6:7]
	s_or_b32 exec_lo, exec_lo, s4
	s_delay_alu instid0(VALU_DEP_1) | instskip(NEXT) | instid1(VALU_DEP_1)
	v_cmp_class_f64_e64 s48, v[19:20], 0x1f8
	s_and_saveexec_b32 s4, s48
	s_cbranch_execz .LBB45_8
.LBB45_34:                              ;   in Loop: Header=BB45_9 Depth=3
	s_mov_b32 s48, 0
                                        ; implicit-def: $vgpr4_vgpr5
	s_and_saveexec_b32 s49, s3
	s_delay_alu instid0(SALU_CYCLE_1)
	s_xor_b32 s3, exec_lo, s49
	s_cbranch_execnz .LBB45_37
; %bb.35:                               ;   in Loop: Header=BB45_9 Depth=3
	s_and_not1_saveexec_b32 s3, s3
	s_cbranch_execnz .LBB45_50
.LBB45_36:                              ;   in Loop: Header=BB45_9 Depth=3
	s_or_b32 exec_lo, exec_lo, s3
	s_delay_alu instid0(SALU_CYCLE_1)
	s_and_b32 exec_lo, exec_lo, s48
	s_cbranch_execz .LBB45_8
	s_branch .LBB45_59
.LBB45_37:                              ;   in Loop: Header=BB45_9 Depth=3
	s_mov_b32 s49, exec_lo
                                        ; implicit-def: $vgpr4_vgpr5
	v_cmpx_ge_i32_e64 v10, v14
	s_xor_b32 s49, exec_lo, s49
; %bb.38:                               ;   in Loop: Header=BB45_9 Depth=3
	v_lshlrev_b64 v[4:5], 4, v[14:15]
	s_mov_b32 s48, exec_lo
                                        ; implicit-def: $vgpr18
                                        ; implicit-def: $vgpr35
                                        ; implicit-def: $vgpr16
	s_delay_alu instid0(VALU_DEP_1) | instskip(NEXT) | instid1(VALU_DEP_2)
	v_add_co_u32 v4, vcc_lo, s38, v4
	v_add_co_ci_u32_e32 v5, vcc_lo, s39, v5, vcc_lo
; %bb.39:                               ;   in Loop: Header=BB45_9 Depth=3
	s_and_not1_saveexec_b32 s49, s49
	s_cbranch_execz .LBB45_49
; %bb.40:                               ;   in Loop: Header=BB45_9 Depth=3
	s_mov_b32 s51, s48
	s_mov_b32 s50, exec_lo
                                        ; implicit-def: $vgpr4_vgpr5
	v_cmpx_lt_i32_e64 v18, v35
	s_cbranch_execz .LBB45_48
; %bb.41:                               ;   in Loop: Header=BB45_9 Depth=3
	s_mov_b32 s52, 0
                                        ; implicit-def: $sgpr51
                                        ; implicit-def: $sgpr54
                                        ; implicit-def: $sgpr53
	s_set_inst_prefetch_distance 0x1
	s_branch .LBB45_43
	.p2align	6
.LBB45_42:                              ;   in Loop: Header=BB45_43 Depth=4
	s_or_b32 exec_lo, exec_lo, s55
	s_delay_alu instid0(SALU_CYCLE_1) | instskip(NEXT) | instid1(SALU_CYCLE_1)
	s_and_b32 s55, exec_lo, s54
	s_or_b32 s52, s55, s52
	s_and_not1_b32 s51, s51, exec_lo
	s_and_b32 s55, s53, exec_lo
	s_delay_alu instid0(SALU_CYCLE_1)
	s_or_b32 s51, s51, s55
	s_and_not1_b32 exec_lo, exec_lo, s52
	s_cbranch_execz .LBB45_45
.LBB45_43:                              ;   Parent Loop BB45_3 Depth=1
                                        ;     Parent Loop BB45_5 Depth=2
                                        ;       Parent Loop BB45_9 Depth=3
                                        ; =>      This Inner Loop Header: Depth=4
	v_add_nc_u32_e32 v6, v16, v18
	s_or_b32 s53, s53, exec_lo
	s_or_b32 s54, s54, exec_lo
	s_mov_b32 s55, exec_lo
	s_delay_alu instid0(VALU_DEP_1) | instskip(NEXT) | instid1(VALU_DEP_1)
	v_ashrrev_i32_e32 v7, 31, v6
	v_lshlrev_b64 v[4:5], 2, v[6:7]
	s_delay_alu instid0(VALU_DEP_1) | instskip(NEXT) | instid1(VALU_DEP_2)
	v_add_co_u32 v4, vcc_lo, s12, v4
	v_add_co_ci_u32_e32 v5, vcc_lo, s13, v5, vcc_lo
	global_load_b32 v4, v[4:5], off
	s_waitcnt vmcnt(0)
	v_subrev_nc_u32_e32 v4, s43, v4
	s_delay_alu instid0(VALU_DEP_1)
	v_cmpx_ne_u32_e64 v4, v10
	s_cbranch_execz .LBB45_42
; %bb.44:                               ;   in Loop: Header=BB45_43 Depth=4
	v_add_nc_u32_e32 v18, 1, v18
	s_and_not1_b32 s54, s54, exec_lo
	s_and_not1_b32 s53, s53, exec_lo
	s_delay_alu instid0(VALU_DEP_1) | instskip(SKIP_1) | instid1(SALU_CYCLE_1)
	v_cmp_ge_i32_e32 vcc_lo, v18, v35
	s_and_b32 s56, vcc_lo, exec_lo
	s_or_b32 s54, s54, s56
	s_branch .LBB45_42
.LBB45_45:                              ;   in Loop: Header=BB45_9 Depth=3
	s_set_inst_prefetch_distance 0x2
	s_or_b32 exec_lo, exec_lo, s52
	s_mov_b32 s52, s48
                                        ; implicit-def: $vgpr4_vgpr5
	s_and_saveexec_b32 s53, s51
	s_delay_alu instid0(SALU_CYCLE_1)
	s_xor_b32 s51, exec_lo, s53
; %bb.46:                               ;   in Loop: Header=BB45_9 Depth=3
	v_lshlrev_b64 v[4:5], 4, v[6:7]
	s_or_b32 s52, s48, exec_lo
	s_delay_alu instid0(VALU_DEP_1) | instskip(NEXT) | instid1(VALU_DEP_2)
	v_add_co_u32 v4, vcc_lo, s34, v4
	v_add_co_ci_u32_e32 v5, vcc_lo, s35, v5, vcc_lo
; %bb.47:                               ;   in Loop: Header=BB45_9 Depth=3
	s_or_b32 exec_lo, exec_lo, s51
	s_delay_alu instid0(SALU_CYCLE_1) | instskip(SKIP_1) | instid1(SALU_CYCLE_1)
	s_and_not1_b32 s51, s48, exec_lo
	s_and_b32 s52, s52, exec_lo
	s_or_b32 s51, s51, s52
.LBB45_48:                              ;   in Loop: Header=BB45_9 Depth=3
	s_or_b32 exec_lo, exec_lo, s50
	s_delay_alu instid0(SALU_CYCLE_1) | instskip(SKIP_1) | instid1(SALU_CYCLE_1)
	s_and_not1_b32 s48, s48, exec_lo
	s_and_b32 s50, s51, exec_lo
	s_or_b32 s48, s48, s50
.LBB45_49:                              ;   in Loop: Header=BB45_9 Depth=3
	s_or_b32 exec_lo, exec_lo, s49
	s_delay_alu instid0(SALU_CYCLE_1)
	s_and_b32 s48, s48, exec_lo
                                        ; implicit-def: $vgpr14_vgpr15
	s_and_not1_saveexec_b32 s3, s3
	s_cbranch_execz .LBB45_36
.LBB45_50:                              ;   in Loop: Header=BB45_9 Depth=3
	s_mov_b32 s50, s48
	s_mov_b32 s49, exec_lo
                                        ; implicit-def: $vgpr4_vgpr5
	v_cmpx_lt_i32_e64 v8, v30
	s_cbranch_execz .LBB45_58
; %bb.51:                               ;   in Loop: Header=BB45_9 Depth=3
	s_mov_b32 s51, 0
                                        ; implicit-def: $sgpr50
                                        ; implicit-def: $sgpr53
                                        ; implicit-def: $sgpr52
	s_set_inst_prefetch_distance 0x1
	s_branch .LBB45_53
	.p2align	6
.LBB45_52:                              ;   in Loop: Header=BB45_53 Depth=4
	s_or_b32 exec_lo, exec_lo, s54
	s_delay_alu instid0(SALU_CYCLE_1) | instskip(NEXT) | instid1(SALU_CYCLE_1)
	s_and_b32 s54, exec_lo, s53
	s_or_b32 s51, s54, s51
	s_and_not1_b32 s50, s50, exec_lo
	s_and_b32 s54, s52, exec_lo
	s_delay_alu instid0(SALU_CYCLE_1)
	s_or_b32 s50, s50, s54
	s_and_not1_b32 exec_lo, exec_lo, s51
	s_cbranch_execz .LBB45_55
.LBB45_53:                              ;   Parent Loop BB45_3 Depth=1
                                        ;     Parent Loop BB45_5 Depth=2
                                        ;       Parent Loop BB45_9 Depth=3
                                        ; =>      This Inner Loop Header: Depth=4
	v_add_nc_u32_e32 v6, v13, v8
	s_or_b32 s52, s52, exec_lo
	s_or_b32 s53, s53, exec_lo
	s_mov_b32 s54, exec_lo
	s_delay_alu instid0(VALU_DEP_1) | instskip(NEXT) | instid1(VALU_DEP_1)
	v_ashrrev_i32_e32 v7, 31, v6
	v_lshlrev_b64 v[4:5], 2, v[6:7]
	s_delay_alu instid0(VALU_DEP_1) | instskip(NEXT) | instid1(VALU_DEP_2)
	v_add_co_u32 v4, vcc_lo, s20, v4
	v_add_co_ci_u32_e32 v5, vcc_lo, s21, v5, vcc_lo
	global_load_b32 v4, v[4:5], off
	s_waitcnt vmcnt(0)
	v_subrev_nc_u32_e32 v4, s42, v4
	s_delay_alu instid0(VALU_DEP_1)
	v_cmpx_ne_u32_e64 v4, v14
	s_cbranch_execz .LBB45_52
; %bb.54:                               ;   in Loop: Header=BB45_53 Depth=4
	v_add_nc_u32_e32 v8, 1, v8
	s_and_not1_b32 s53, s53, exec_lo
	s_and_not1_b32 s52, s52, exec_lo
	s_delay_alu instid0(VALU_DEP_1) | instskip(SKIP_1) | instid1(SALU_CYCLE_1)
	v_cmp_ge_i32_e32 vcc_lo, v8, v30
	s_and_b32 s55, vcc_lo, exec_lo
	s_or_b32 s53, s53, s55
	s_branch .LBB45_52
.LBB45_55:                              ;   in Loop: Header=BB45_9 Depth=3
	s_set_inst_prefetch_distance 0x2
	s_or_b32 exec_lo, exec_lo, s51
	s_mov_b32 s51, s48
                                        ; implicit-def: $vgpr4_vgpr5
	s_and_saveexec_b32 s52, s50
	s_delay_alu instid0(SALU_CYCLE_1)
	s_xor_b32 s50, exec_lo, s52
; %bb.56:                               ;   in Loop: Header=BB45_9 Depth=3
	v_lshlrev_b64 v[4:5], 4, v[6:7]
	s_or_b32 s51, s48, exec_lo
	s_delay_alu instid0(VALU_DEP_1) | instskip(NEXT) | instid1(VALU_DEP_2)
	v_add_co_u32 v4, vcc_lo, s40, v4
	v_add_co_ci_u32_e32 v5, vcc_lo, s41, v5, vcc_lo
; %bb.57:                               ;   in Loop: Header=BB45_9 Depth=3
	s_or_b32 exec_lo, exec_lo, s50
	s_delay_alu instid0(SALU_CYCLE_1) | instskip(SKIP_1) | instid1(SALU_CYCLE_1)
	s_and_not1_b32 s50, s48, exec_lo
	s_and_b32 s51, s51, exec_lo
	s_or_b32 s50, s50, s51
.LBB45_58:                              ;   in Loop: Header=BB45_9 Depth=3
	s_or_b32 exec_lo, exec_lo, s49
	s_delay_alu instid0(SALU_CYCLE_1) | instskip(SKIP_1) | instid1(SALU_CYCLE_1)
	s_and_not1_b32 s48, s48, exec_lo
	s_and_b32 s49, s50, exec_lo
	s_or_b32 s48, s48, s49
	s_or_b32 exec_lo, exec_lo, s3
	s_delay_alu instid0(SALU_CYCLE_1)
	s_and_b32 exec_lo, exec_lo, s48
	s_cbranch_execz .LBB45_8
.LBB45_59:                              ;   in Loop: Header=BB45_9 Depth=3
	global_store_b128 v[4:5], v[0:3], off
	s_branch .LBB45_8
.LBB45_60:                              ;   in Loop: Header=BB45_3 Depth=1
	s_and_saveexec_b32 s3, s0
	s_cbranch_execz .LBB45_2
; %bb.61:                               ;   in Loop: Header=BB45_3 Depth=1
	v_mov_b32_e32 v0, v25
	s_mov_b32 s4, 0
	s_branch .LBB45_63
.LBB45_62:                              ;   in Loop: Header=BB45_63 Depth=2
	s_or_b32 exec_lo, exec_lo, s45
	v_add_nc_u32_e32 v0, 0x80, v0
	s_delay_alu instid0(VALU_DEP_1) | instskip(SKIP_1) | instid1(SALU_CYCLE_1)
	v_cmp_le_u32_e32 vcc_lo, s44, v0
	s_or_b32 s4, vcc_lo, s4
	s_and_not1_b32 exec_lo, exec_lo, s4
	s_cbranch_execz .LBB45_2
.LBB45_63:                              ;   Parent Loop BB45_3 Depth=1
                                        ; =>  This Loop Header: Depth=2
                                        ;       Child Loop BB45_66 Depth 3
                                        ;       Child Loop BB45_69 Depth 3
	s_mov_b32 s45, exec_lo
	s_delay_alu instid0(VALU_DEP_1)
	v_cmpx_gt_i32_e64 s7, v0
	s_cbranch_execz .LBB45_62
; %bb.64:                               ;   in Loop: Header=BB45_63 Depth=2
	v_ashrrev_i32_e32 v1, 31, v0
	s_mov_b32 s46, exec_lo
	s_delay_alu instid0(VALU_DEP_1) | instskip(NEXT) | instid1(VALU_DEP_1)
	v_lshlrev_b64 v[2:3], 2, v[0:1]
	v_add_co_u32 v4, vcc_lo, s16, v2
	s_delay_alu instid0(VALU_DEP_2)
	v_add_co_ci_u32_e32 v5, vcc_lo, s17, v3, vcc_lo
	v_add_co_u32 v6, vcc_lo, s18, v2
	v_add_co_ci_u32_e32 v7, vcc_lo, s19, v3, vcc_lo
	global_load_b32 v4, v[4:5], off
	global_load_b32 v5, v[6:7], off
	s_waitcnt vmcnt(1)
	v_add_nc_u32_e32 v4, v27, v4
	s_waitcnt vmcnt(0)
	v_subrev_nc_u32_e32 v10, s42, v5
	s_delay_alu instid0(VALU_DEP_1)
	v_cmpx_lt_i32_e64 v4, v10
	s_cbranch_execz .LBB45_67
; %bb.65:                               ;   in Loop: Header=BB45_63 Depth=2
	v_ashrrev_i32_e32 v5, 31, v4
	s_mov_b32 s47, 0
	s_delay_alu instid0(VALU_DEP_1) | instskip(NEXT) | instid1(VALU_DEP_1)
	v_lshlrev_b64 v[7:8], 4, v[4:5]
	v_add_co_u32 v5, vcc_lo, s22, v7
	s_delay_alu instid0(VALU_DEP_2)
	v_add_co_ci_u32_e32 v6, vcc_lo, s23, v8, vcc_lo
	v_add_co_u32 v7, vcc_lo, s40, v7
	v_add_co_ci_u32_e32 v8, vcc_lo, s41, v8, vcc_lo
	.p2align	6
.LBB45_66:                              ;   Parent Loop BB45_3 Depth=1
                                        ;     Parent Loop BB45_63 Depth=2
                                        ; =>    This Inner Loop Header: Depth=3
	global_load_b128 v[11:14], v[7:8], off
	v_add_nc_u32_e32 v4, 8, v4
	v_add_co_u32 v7, vcc_lo, 0x80, v7
	v_add_co_ci_u32_e32 v8, vcc_lo, 0, v8, vcc_lo
	s_delay_alu instid0(VALU_DEP_3) | instskip(SKIP_4) | instid1(VALU_DEP_1)
	v_cmp_ge_i32_e32 vcc_lo, v4, v10
	s_or_b32 s47, vcc_lo, s47
	s_waitcnt vmcnt(0)
	global_store_b128 v[5:6], v[11:14], off
	v_add_co_u32 v5, s2, 0x80, v5
	v_add_co_ci_u32_e64 v6, s2, 0, v6, s2
	s_and_not1_b32 exec_lo, exec_lo, s47
	s_cbranch_execnz .LBB45_66
.LBB45_67:                              ;   in Loop: Header=BB45_63 Depth=2
	s_or_b32 exec_lo, exec_lo, s46
	v_add_co_u32 v4, vcc_lo, s8, v2
	v_add_co_ci_u32_e32 v5, vcc_lo, s9, v3, vcc_lo
	v_add_co_u32 v2, vcc_lo, s10, v2
	v_add_co_ci_u32_e32 v3, vcc_lo, s11, v3, vcc_lo
	s_mov_b32 s46, exec_lo
	global_load_b32 v4, v[4:5], off
	global_load_b32 v3, v[2:3], off
	s_waitcnt vmcnt(1)
	v_add_nc_u32_e32 v2, v28, v4
	s_waitcnt vmcnt(0)
	v_subrev_nc_u32_e32 v7, s43, v3
	s_delay_alu instid0(VALU_DEP_1)
	v_cmpx_lt_i32_e64 v2, v7
	s_cbranch_execz .LBB45_70
; %bb.68:                               ;   in Loop: Header=BB45_63 Depth=2
	v_ashrrev_i32_e32 v3, 31, v2
	s_mov_b32 s47, 0
	s_delay_alu instid0(VALU_DEP_1) | instskip(NEXT) | instid1(VALU_DEP_1)
	v_lshlrev_b64 v[5:6], 4, v[2:3]
	v_add_co_u32 v3, vcc_lo, s14, v5
	s_delay_alu instid0(VALU_DEP_2)
	v_add_co_ci_u32_e32 v4, vcc_lo, s15, v6, vcc_lo
	v_add_co_u32 v5, vcc_lo, s34, v5
	v_add_co_ci_u32_e32 v6, vcc_lo, s35, v6, vcc_lo
	.p2align	6
.LBB45_69:                              ;   Parent Loop BB45_3 Depth=1
                                        ;     Parent Loop BB45_63 Depth=2
                                        ; =>    This Inner Loop Header: Depth=3
	global_load_b128 v[10:13], v[5:6], off
	v_add_nc_u32_e32 v2, 8, v2
	v_add_co_u32 v5, vcc_lo, 0x80, v5
	v_add_co_ci_u32_e32 v6, vcc_lo, 0, v6, vcc_lo
	s_delay_alu instid0(VALU_DEP_3) | instskip(SKIP_4) | instid1(VALU_DEP_1)
	v_cmp_ge_i32_e32 vcc_lo, v2, v7
	s_or_b32 s47, vcc_lo, s47
	s_waitcnt vmcnt(0)
	global_store_b128 v[3:4], v[10:13], off
	v_add_co_u32 v3, s2, 0x80, v3
	v_add_co_ci_u32_e64 v4, s2, 0, v4, s2
	s_and_not1_b32 exec_lo, exec_lo, s47
	s_cbranch_execnz .LBB45_69
.LBB45_70:                              ;   in Loop: Header=BB45_63 Depth=2
	s_or_b32 exec_lo, exec_lo, s46
	s_delay_alu instid0(SALU_CYCLE_1)
	s_and_b32 exec_lo, exec_lo, s1
	s_cbranch_execz .LBB45_62
; %bb.71:                               ;   in Loop: Header=BB45_63 Depth=2
	v_lshlrev_b64 v[5:6], 4, v[0:1]
	s_delay_alu instid0(VALU_DEP_1) | instskip(NEXT) | instid1(VALU_DEP_2)
	v_add_co_u32 v1, vcc_lo, s38, v5
	v_add_co_ci_u32_e32 v2, vcc_lo, s39, v6, vcc_lo
	v_add_co_u32 v5, vcc_lo, s36, v5
	v_add_co_ci_u32_e32 v6, vcc_lo, s37, v6, vcc_lo
	global_load_b128 v[1:4], v[1:2], off
	s_waitcnt vmcnt(0)
	global_store_b128 v[5:6], v[1:4], off
	s_branch .LBB45_62
.LBB45_72:
	s_nop 0
	s_sendmsg sendmsg(MSG_DEALLOC_VGPRS)
	s_endpgm
	.section	.rodata,"a",@progbits
	.p2align	6, 0x0
	.amdhsa_kernel _ZN9rocsparseL14kernel_freerunILi1024ELi8E21rocsparse_complex_numIdEiiEEvT3_S3_T2_PKS4_S6_PKS3_PKT1_21rocsparse_index_base_S6_S6_S8_PS9_SD_SC_S6_S6_S8_SD_SD_SC_SD_SD_
		.amdhsa_group_segment_fixed_size 0
		.amdhsa_private_segment_fixed_size 0
		.amdhsa_kernarg_size 168
		.amdhsa_user_sgpr_count 15
		.amdhsa_user_sgpr_dispatch_ptr 0
		.amdhsa_user_sgpr_queue_ptr 0
		.amdhsa_user_sgpr_kernarg_segment_ptr 1
		.amdhsa_user_sgpr_dispatch_id 0
		.amdhsa_user_sgpr_private_segment_size 0
		.amdhsa_wavefront_size32 1
		.amdhsa_uses_dynamic_stack 0
		.amdhsa_enable_private_segment 0
		.amdhsa_system_sgpr_workgroup_id_x 1
		.amdhsa_system_sgpr_workgroup_id_y 0
		.amdhsa_system_sgpr_workgroup_id_z 0
		.amdhsa_system_sgpr_workgroup_info 0
		.amdhsa_system_vgpr_workitem_id 0
		.amdhsa_next_free_vgpr 42
		.amdhsa_next_free_sgpr 57
		.amdhsa_reserve_vcc 1
		.amdhsa_float_round_mode_32 0
		.amdhsa_float_round_mode_16_64 0
		.amdhsa_float_denorm_mode_32 3
		.amdhsa_float_denorm_mode_16_64 3
		.amdhsa_dx10_clamp 1
		.amdhsa_ieee_mode 1
		.amdhsa_fp16_overflow 0
		.amdhsa_workgroup_processor_mode 1
		.amdhsa_memory_ordered 1
		.amdhsa_forward_progress 0
		.amdhsa_shared_vgpr_count 0
		.amdhsa_exception_fp_ieee_invalid_op 0
		.amdhsa_exception_fp_denorm_src 0
		.amdhsa_exception_fp_ieee_div_zero 0
		.amdhsa_exception_fp_ieee_overflow 0
		.amdhsa_exception_fp_ieee_underflow 0
		.amdhsa_exception_fp_ieee_inexact 0
		.amdhsa_exception_int_div_zero 0
	.end_amdhsa_kernel
	.section	.text._ZN9rocsparseL14kernel_freerunILi1024ELi8E21rocsparse_complex_numIdEiiEEvT3_S3_T2_PKS4_S6_PKS3_PKT1_21rocsparse_index_base_S6_S6_S8_PS9_SD_SC_S6_S6_S8_SD_SD_SC_SD_SD_,"axG",@progbits,_ZN9rocsparseL14kernel_freerunILi1024ELi8E21rocsparse_complex_numIdEiiEEvT3_S3_T2_PKS4_S6_PKS3_PKT1_21rocsparse_index_base_S6_S6_S8_PS9_SD_SC_S6_S6_S8_SD_SD_SC_SD_SD_,comdat
.Lfunc_end45:
	.size	_ZN9rocsparseL14kernel_freerunILi1024ELi8E21rocsparse_complex_numIdEiiEEvT3_S3_T2_PKS4_S6_PKS3_PKT1_21rocsparse_index_base_S6_S6_S8_PS9_SD_SC_S6_S6_S8_SD_SD_SC_SD_SD_, .Lfunc_end45-_ZN9rocsparseL14kernel_freerunILi1024ELi8E21rocsparse_complex_numIdEiiEEvT3_S3_T2_PKS4_S6_PKS3_PKT1_21rocsparse_index_base_S6_S6_S8_PS9_SD_SC_S6_S6_S8_SD_SD_SC_SD_SD_
                                        ; -- End function
	.section	.AMDGPU.csdata,"",@progbits
; Kernel info:
; codeLenInByte = 4196
; NumSgprs: 59
; NumVgprs: 42
; ScratchSize: 0
; MemoryBound: 1
; FloatMode: 240
; IeeeMode: 1
; LDSByteSize: 0 bytes/workgroup (compile time only)
; SGPRBlocks: 7
; VGPRBlocks: 5
; NumSGPRsForWavesPerEU: 59
; NumVGPRsForWavesPerEU: 42
; Occupancy: 16
; WaveLimiterHint : 1
; COMPUTE_PGM_RSRC2:SCRATCH_EN: 0
; COMPUTE_PGM_RSRC2:USER_SGPR: 15
; COMPUTE_PGM_RSRC2:TRAP_HANDLER: 0
; COMPUTE_PGM_RSRC2:TGID_X_EN: 1
; COMPUTE_PGM_RSRC2:TGID_Y_EN: 0
; COMPUTE_PGM_RSRC2:TGID_Z_EN: 0
; COMPUTE_PGM_RSRC2:TIDIG_COMP_CNT: 0
	.section	.text._ZN9rocsparseL14kernel_freerunILi1024ELi16E21rocsparse_complex_numIdEiiEEvT3_S3_T2_PKS4_S6_PKS3_PKT1_21rocsparse_index_base_S6_S6_S8_PS9_SD_SC_S6_S6_S8_SD_SD_SC_SD_SD_,"axG",@progbits,_ZN9rocsparseL14kernel_freerunILi1024ELi16E21rocsparse_complex_numIdEiiEEvT3_S3_T2_PKS4_S6_PKS3_PKT1_21rocsparse_index_base_S6_S6_S8_PS9_SD_SC_S6_S6_S8_SD_SD_SC_SD_SD_,comdat
	.globl	_ZN9rocsparseL14kernel_freerunILi1024ELi16E21rocsparse_complex_numIdEiiEEvT3_S3_T2_PKS4_S6_PKS3_PKT1_21rocsparse_index_base_S6_S6_S8_PS9_SD_SC_S6_S6_S8_SD_SD_SC_SD_SD_ ; -- Begin function _ZN9rocsparseL14kernel_freerunILi1024ELi16E21rocsparse_complex_numIdEiiEEvT3_S3_T2_PKS4_S6_PKS3_PKT1_21rocsparse_index_base_S6_S6_S8_PS9_SD_SC_S6_S6_S8_SD_SD_SC_SD_SD_
	.p2align	8
	.type	_ZN9rocsparseL14kernel_freerunILi1024ELi16E21rocsparse_complex_numIdEiiEEvT3_S3_T2_PKS4_S6_PKS3_PKT1_21rocsparse_index_base_S6_S6_S8_PS9_SD_SC_S6_S6_S8_SD_SD_SC_SD_SD_,@function
_ZN9rocsparseL14kernel_freerunILi1024ELi16E21rocsparse_complex_numIdEiiEEvT3_S3_T2_PKS4_S6_PKS3_PKT1_21rocsparse_index_base_S6_S6_S8_PS9_SD_SC_S6_S6_S8_SD_SD_SC_SD_SD_: ; @_ZN9rocsparseL14kernel_freerunILi1024ELi16E21rocsparse_complex_numIdEiiEEvT3_S3_T2_PKS4_S6_PKS3_PKT1_21rocsparse_index_base_S6_S6_S8_PS9_SD_SC_S6_S6_S8_SD_SD_SC_SD_SD_
; %bb.0:
	s_load_b64 s[6:7], s[0:1], 0x0
	v_lshrrev_b32_e32 v1, 4, v0
	s_lshl_b32 s44, s15, 10
	s_mov_b32 s5, 0
	s_delay_alu instid0(VALU_DEP_1) | instskip(SKIP_1) | instid1(VALU_DEP_1)
	v_or_b32_e32 v25, s44, v1
	s_waitcnt lgkmcnt(0)
	v_cmp_gt_i32_e32 vcc_lo, s7, v25
	s_cmp_gt_i32 s6, 0
	s_cselect_b32 s2, -1, 0
	s_delay_alu instid0(SALU_CYCLE_1) | instskip(NEXT) | instid1(SALU_CYCLE_1)
	s_and_b32 s2, vcc_lo, s2
	s_and_saveexec_b32 s3, s2
	s_cbranch_execz .LBB46_72
; %bb.1:
	s_clause 0x8
	s_load_b32 s33, s[0:1], 0x30
	s_load_b32 s42, s[0:1], 0x60
	;; [unrolled: 1-line block ×3, first 2 shown]
	s_load_b64 s[34:35], s[0:1], 0x88
	s_load_b64 s[40:41], s[0:1], 0x58
	s_load_b128 s[36:39], s[0:1], 0x98
	s_load_b256 s[8:15], s[0:1], 0x68
	s_load_b256 s[16:23], s[0:1], 0x38
	;; [unrolled: 1-line block ×3, first 2 shown]
	v_dual_mov_b32 v9, 0 :: v_dual_and_b32 v0, 15, v0
	s_addk_i32 s44, 0x400
	s_delay_alu instid0(SALU_CYCLE_1) | instskip(NEXT) | instid1(VALU_DEP_2)
	v_cmp_gt_u32_e64 s0, s44, v25
	v_cmp_eq_u32_e64 s1, 0, v0
	s_waitcnt lgkmcnt(0)
	v_subrev_nc_u32_e32 v26, s33, v0
	v_subrev_nc_u32_e32 v27, s42, v0
	;; [unrolled: 1-line block ×3, first 2 shown]
	s_branch .LBB46_3
.LBB46_2:                               ;   in Loop: Header=BB46_3 Depth=1
	s_or_b32 exec_lo, exec_lo, s3
	s_add_i32 s5, s5, 1
	s_delay_alu instid0(SALU_CYCLE_1)
	s_cmp_eq_u32 s5, s6
	s_cbranch_scc1 .LBB46_72
.LBB46_3:                               ; =>This Loop Header: Depth=1
                                        ;     Child Loop BB46_5 Depth 2
                                        ;       Child Loop BB46_9 Depth 3
                                        ;         Child Loop BB46_13 Depth 4
                                        ;         Child Loop BB46_43 Depth 4
	;; [unrolled: 1-line block ×3, first 2 shown]
                                        ;     Child Loop BB46_63 Depth 2
                                        ;       Child Loop BB46_66 Depth 3
                                        ;       Child Loop BB46_69 Depth 3
	s_mov_b32 s45, 0
	s_branch .LBB46_5
.LBB46_4:                               ;   in Loop: Header=BB46_5 Depth=2
	s_or_b32 exec_lo, exec_lo, s46
	s_add_i32 s45, s45, 1
	s_delay_alu instid0(SALU_CYCLE_1)
	s_cmp_eq_u32 s45, 16
	s_cbranch_scc1 .LBB46_60
.LBB46_5:                               ;   Parent Loop BB46_3 Depth=1
                                        ; =>  This Loop Header: Depth=2
                                        ;       Child Loop BB46_9 Depth 3
                                        ;         Child Loop BB46_13 Depth 4
                                        ;         Child Loop BB46_43 Depth 4
                                        ;         Child Loop BB46_53 Depth 4
	v_lshl_add_u32 v10, s45, 6, v25
	s_mov_b32 s46, exec_lo
	s_delay_alu instid0(VALU_DEP_1)
	v_cmpx_gt_i32_e64 s7, v10
	s_cbranch_execz .LBB46_4
; %bb.6:                                ;   in Loop: Header=BB46_5 Depth=2
	v_ashrrev_i32_e32 v11, 31, v10
	s_delay_alu instid0(VALU_DEP_1) | instskip(NEXT) | instid1(VALU_DEP_1)
	v_lshlrev_b64 v[0:1], 2, v[10:11]
	v_add_co_u32 v2, vcc_lo, s24, v0
	s_delay_alu instid0(VALU_DEP_2)
	v_add_co_ci_u32_e32 v3, vcc_lo, s25, v1, vcc_lo
	v_add_co_u32 v4, vcc_lo, s26, v0
	v_add_co_ci_u32_e32 v5, vcc_lo, s27, v1, vcc_lo
	global_load_b32 v2, v[2:3], off
	global_load_b32 v3, v[4:5], off
	s_waitcnt vmcnt(1)
	v_add_nc_u32_e32 v11, v26, v2
	s_waitcnt vmcnt(0)
	v_subrev_nc_u32_e32 v29, s33, v3
	s_delay_alu instid0(VALU_DEP_1)
	v_cmp_lt_i32_e32 vcc_lo, v11, v29
	s_and_b32 exec_lo, exec_lo, vcc_lo
	s_cbranch_execz .LBB46_4
; %bb.7:                                ;   in Loop: Header=BB46_5 Depth=2
	v_add_co_u32 v2, vcc_lo, s16, v0
	v_add_co_ci_u32_e32 v3, vcc_lo, s17, v1, vcc_lo
	v_add_co_u32 v0, vcc_lo, s18, v0
	v_add_co_ci_u32_e32 v1, vcc_lo, s19, v1, vcc_lo
	global_load_b32 v2, v[2:3], off
	s_mov_b32 s47, 0
	global_load_b32 v3, v[0:1], off
	s_waitcnt vmcnt(1)
	v_subrev_nc_u32_e32 v13, s42, v2
	s_waitcnt vmcnt(0)
	v_sub_nc_u32_e32 v30, v3, v2
	s_delay_alu instid0(VALU_DEP_2) | instskip(NEXT) | instid1(VALU_DEP_2)
	v_ashrrev_i32_e32 v14, 31, v13
	v_cmp_lt_i32_e64 s2, 0, v30
	s_delay_alu instid0(VALU_DEP_2) | instskip(SKIP_1) | instid1(VALU_DEP_2)
	v_lshlrev_b64 v[0:1], 2, v[13:14]
	v_lshlrev_b64 v[2:3], 4, v[13:14]
	v_add_co_u32 v31, vcc_lo, s20, v0
	s_delay_alu instid0(VALU_DEP_3) | instskip(NEXT) | instid1(VALU_DEP_3)
	v_add_co_ci_u32_e32 v32, vcc_lo, s21, v1, vcc_lo
	v_add_co_u32 v33, vcc_lo, s22, v2
	s_delay_alu instid0(VALU_DEP_4)
	v_add_co_ci_u32_e32 v34, vcc_lo, s23, v3, vcc_lo
	s_branch .LBB46_9
.LBB46_8:                               ;   in Loop: Header=BB46_9 Depth=3
	s_or_b32 exec_lo, exec_lo, s4
	v_add_nc_u32_e32 v11, 16, v11
	s_delay_alu instid0(VALU_DEP_1) | instskip(SKIP_1) | instid1(SALU_CYCLE_1)
	v_cmp_ge_i32_e32 vcc_lo, v11, v29
	s_or_b32 s47, vcc_lo, s47
	s_and_not1_b32 exec_lo, exec_lo, s47
	s_cbranch_execz .LBB46_4
.LBB46_9:                               ;   Parent Loop BB46_3 Depth=1
                                        ;     Parent Loop BB46_5 Depth=2
                                        ; =>    This Loop Header: Depth=3
                                        ;         Child Loop BB46_13 Depth 4
                                        ;         Child Loop BB46_43 Depth 4
	;; [unrolled: 1-line block ×3, first 2 shown]
	v_ashrrev_i32_e32 v12, 31, v11
	v_mov_b32_e32 v18, 0
	v_mov_b32_e32 v8, 0
	s_delay_alu instid0(VALU_DEP_3) | instskip(NEXT) | instid1(VALU_DEP_1)
	v_lshlrev_b64 v[0:1], 2, v[11:12]
	v_add_co_u32 v0, vcc_lo, s28, v0
	s_delay_alu instid0(VALU_DEP_2) | instskip(SKIP_3) | instid1(VALU_DEP_1)
	v_add_co_ci_u32_e32 v1, vcc_lo, s29, v1, vcc_lo
	global_load_b32 v0, v[0:1], off
	s_waitcnt vmcnt(0)
	v_subrev_nc_u32_e32 v14, s33, v0
	v_ashrrev_i32_e32 v15, 31, v14
	s_delay_alu instid0(VALU_DEP_1) | instskip(NEXT) | instid1(VALU_DEP_1)
	v_lshlrev_b64 v[0:1], 2, v[14:15]
	v_add_co_u32 v2, vcc_lo, s8, v0
	s_delay_alu instid0(VALU_DEP_2)
	v_add_co_ci_u32_e32 v3, vcc_lo, s9, v1, vcc_lo
	v_add_co_u32 v0, vcc_lo, s10, v0
	v_add_co_ci_u32_e32 v1, vcc_lo, s11, v1, vcc_lo
	global_load_b32 v4, v[2:3], off
	global_load_b32 v5, v[0:1], off
	v_mov_b32_e32 v0, 0
	v_mov_b32_e32 v1, 0
	s_delay_alu instid0(VALU_DEP_1)
	v_dual_mov_b32 v3, v1 :: v_dual_mov_b32 v2, v0
	s_waitcnt vmcnt(1)
	v_subrev_nc_u32_e32 v16, s43, v4
	s_waitcnt vmcnt(0)
	v_sub_nc_u32_e32 v35, v5, v4
	s_and_saveexec_b32 s4, s2
	s_cbranch_execz .LBB46_17
; %bb.10:                               ;   in Loop: Header=BB46_9 Depth=3
	v_ashrrev_i32_e32 v17, 31, v16
	v_mov_b32_e32 v0, 0
	v_dual_mov_b32 v18, 0 :: v_dual_mov_b32 v1, 0
	s_mov_b32 s48, 0
	s_delay_alu instid0(VALU_DEP_3) | instskip(SKIP_1) | instid1(VALU_DEP_3)
	v_lshlrev_b64 v[2:3], 2, v[16:17]
	v_lshlrev_b64 v[6:7], 4, v[16:17]
	v_mov_b32_e32 v8, v18
                                        ; implicit-def: $sgpr49
	s_delay_alu instid0(VALU_DEP_3) | instskip(NEXT) | instid1(VALU_DEP_4)
	v_add_co_u32 v4, vcc_lo, s12, v2
	v_add_co_ci_u32_e32 v5, vcc_lo, s13, v3, vcc_lo
	v_mov_b32_e32 v3, v1
	v_add_co_u32 v6, vcc_lo, s14, v6
	v_add_co_ci_u32_e32 v7, vcc_lo, s15, v7, vcc_lo
	v_mov_b32_e32 v2, v0
	s_branch .LBB46_13
.LBB46_11:                              ;   in Loop: Header=BB46_13 Depth=4
	s_or_b32 exec_lo, exec_lo, s3
	v_cmp_le_i32_e32 vcc_lo, v17, v20
	v_cmp_ge_i32_e64 s3, v17, v20
	v_add_co_ci_u32_e32 v8, vcc_lo, 0, v8, vcc_lo
	s_delay_alu instid0(VALU_DEP_2) | instskip(SKIP_1) | instid1(VALU_DEP_2)
	v_add_co_ci_u32_e64 v18, s3, 0, v18, s3
	s_and_not1_b32 s3, s49, exec_lo
	v_cmp_ge_i32_e32 vcc_lo, v8, v30
	s_and_b32 s49, vcc_lo, exec_lo
	s_delay_alu instid0(SALU_CYCLE_1)
	s_or_b32 s49, s3, s49
.LBB46_12:                              ;   in Loop: Header=BB46_13 Depth=4
	s_or_b32 exec_lo, exec_lo, s50
	s_delay_alu instid0(SALU_CYCLE_1) | instskip(NEXT) | instid1(SALU_CYCLE_1)
	s_and_b32 s3, exec_lo, s49
	s_or_b32 s48, s3, s48
	s_delay_alu instid0(SALU_CYCLE_1)
	s_and_not1_b32 exec_lo, exec_lo, s48
	s_cbranch_execz .LBB46_16
.LBB46_13:                              ;   Parent Loop BB46_3 Depth=1
                                        ;     Parent Loop BB46_5 Depth=2
                                        ;       Parent Loop BB46_9 Depth=3
                                        ; =>      This Inner Loop Header: Depth=4
	s_or_b32 s49, s49, exec_lo
	s_mov_b32 s50, exec_lo
	v_cmpx_lt_i32_e64 v18, v35
	s_cbranch_execz .LBB46_12
; %bb.14:                               ;   in Loop: Header=BB46_13 Depth=4
	v_mov_b32_e32 v19, v9
	v_lshlrev_b64 v[20:21], 2, v[8:9]
	s_mov_b32 s3, exec_lo
	s_delay_alu instid0(VALU_DEP_2) | instskip(NEXT) | instid1(VALU_DEP_2)
	v_lshlrev_b64 v[22:23], 2, v[18:19]
	v_add_co_u32 v20, vcc_lo, v31, v20
	s_delay_alu instid0(VALU_DEP_3) | instskip(NEXT) | instid1(VALU_DEP_3)
	v_add_co_ci_u32_e32 v21, vcc_lo, v32, v21, vcc_lo
	v_add_co_u32 v22, vcc_lo, v4, v22
	s_delay_alu instid0(VALU_DEP_4)
	v_add_co_ci_u32_e32 v23, vcc_lo, v5, v23, vcc_lo
	global_load_b32 v17, v[20:21], off
	global_load_b32 v20, v[22:23], off
	s_waitcnt vmcnt(1)
	v_subrev_nc_u32_e32 v17, s42, v17
	s_waitcnt vmcnt(0)
	v_subrev_nc_u32_e32 v20, s43, v20
	s_delay_alu instid0(VALU_DEP_1)
	v_cmpx_eq_u32_e64 v17, v20
	s_cbranch_execz .LBB46_11
; %bb.15:                               ;   in Loop: Header=BB46_13 Depth=4
	v_lshlrev_b64 v[21:22], 4, v[8:9]
	v_lshlrev_b64 v[23:24], 4, v[18:19]
	s_delay_alu instid0(VALU_DEP_2) | instskip(NEXT) | instid1(VALU_DEP_3)
	v_add_co_u32 v21, vcc_lo, v33, v21
	v_add_co_ci_u32_e32 v22, vcc_lo, v34, v22, vcc_lo
	s_delay_alu instid0(VALU_DEP_3) | instskip(NEXT) | instid1(VALU_DEP_4)
	v_add_co_u32 v36, vcc_lo, v6, v23
	v_add_co_ci_u32_e32 v37, vcc_lo, v7, v24, vcc_lo
	global_load_b128 v[21:24], v[21:22], off
	global_load_b128 v[36:39], v[36:37], off
	s_waitcnt vmcnt(0)
	v_fma_f64 v[0:1], v[21:22], v[36:37], v[0:1]
	v_fma_f64 v[2:3], v[23:24], v[36:37], v[2:3]
	s_delay_alu instid0(VALU_DEP_2) | instskip(NEXT) | instid1(VALU_DEP_2)
	v_fma_f64 v[0:1], -v[23:24], v[38:39], v[0:1]
	v_fma_f64 v[2:3], v[21:22], v[38:39], v[2:3]
	s_branch .LBB46_11
.LBB46_16:                              ;   in Loop: Header=BB46_9 Depth=3
	s_or_b32 exec_lo, exec_lo, s48
.LBB46_17:                              ;   in Loop: Header=BB46_9 Depth=3
	s_delay_alu instid0(SALU_CYCLE_1) | instskip(SKIP_3) | instid1(VALU_DEP_2)
	s_or_b32 exec_lo, exec_lo, s4
	v_lshlrev_b64 v[4:5], 4, v[11:12]
	v_cmp_le_i32_e64 s3, v10, v14
	s_mov_b32 s4, exec_lo
	v_add_co_u32 v4, vcc_lo, s30, v4
	s_delay_alu instid0(VALU_DEP_3)
	v_add_co_ci_u32_e32 v5, vcc_lo, s31, v5, vcc_lo
	global_load_b128 v[4:7], v[4:5], off
	s_waitcnt vmcnt(0)
	v_add_f64 v[0:1], v[4:5], -v[0:1]
	v_add_f64 v[2:3], v[6:7], -v[2:3]
	v_cmpx_gt_i32_e64 v10, v14
	s_cbranch_execz .LBB46_27
; %bb.18:                               ;   in Loop: Header=BB46_9 Depth=3
	v_lshlrev_b64 v[4:5], 4, v[14:15]
	s_mov_b32 s48, exec_lo
                                        ; implicit-def: $vgpr23_vgpr24
	s_delay_alu instid0(VALU_DEP_1) | instskip(NEXT) | instid1(VALU_DEP_2)
	v_add_co_u32 v4, vcc_lo, s36, v4
	v_add_co_ci_u32_e32 v5, vcc_lo, s37, v5, vcc_lo
	global_load_b128 v[4:7], v[4:5], off
	s_waitcnt vmcnt(0)
	v_cmp_gt_f64_e32 vcc_lo, 0, v[4:5]
	v_xor_b32_e32 v12, 0x80000000, v5
	v_mov_b32_e32 v19, v4
	v_xor_b32_e32 v17, 0x80000000, v7
	s_delay_alu instid0(VALU_DEP_3) | instskip(SKIP_1) | instid1(VALU_DEP_3)
	v_dual_mov_b32 v21, v6 :: v_dual_cndmask_b32 v20, v5, v12
	v_cmp_gt_f64_e32 vcc_lo, 0, v[6:7]
	v_cndmask_b32_e32 v22, v7, v17, vcc_lo
	s_delay_alu instid0(VALU_DEP_1)
	v_cmpx_ngt_f64_e32 v[19:20], v[21:22]
	s_xor_b32 s48, exec_lo, s48
	s_cbranch_execz .LBB46_22
; %bb.19:                               ;   in Loop: Header=BB46_9 Depth=3
	v_mov_b32_e32 v23, 0
	v_mov_b32_e32 v24, 0
	s_mov_b32 s49, exec_lo
	v_cmpx_neq_f64_e32 0, v[6:7]
	s_cbranch_execz .LBB46_21
; %bb.20:                               ;   in Loop: Header=BB46_9 Depth=3
	v_div_scale_f64 v[23:24], null, v[21:22], v[21:22], v[19:20]
	v_div_scale_f64 v[40:41], vcc_lo, v[19:20], v[21:22], v[19:20]
	s_delay_alu instid0(VALU_DEP_2) | instskip(SKIP_2) | instid1(VALU_DEP_1)
	v_rcp_f64_e32 v[36:37], v[23:24]
	s_waitcnt_depctr 0xfff
	v_fma_f64 v[38:39], -v[23:24], v[36:37], 1.0
	v_fma_f64 v[36:37], v[36:37], v[38:39], v[36:37]
	s_delay_alu instid0(VALU_DEP_1) | instskip(NEXT) | instid1(VALU_DEP_1)
	v_fma_f64 v[38:39], -v[23:24], v[36:37], 1.0
	v_fma_f64 v[36:37], v[36:37], v[38:39], v[36:37]
	s_delay_alu instid0(VALU_DEP_1) | instskip(NEXT) | instid1(VALU_DEP_1)
	v_mul_f64 v[38:39], v[40:41], v[36:37]
	v_fma_f64 v[23:24], -v[23:24], v[38:39], v[40:41]
	s_delay_alu instid0(VALU_DEP_1) | instskip(NEXT) | instid1(VALU_DEP_1)
	v_div_fmas_f64 v[23:24], v[23:24], v[36:37], v[38:39]
	v_div_fixup_f64 v[19:20], v[23:24], v[21:22], v[19:20]
	s_delay_alu instid0(VALU_DEP_1) | instskip(NEXT) | instid1(VALU_DEP_1)
	v_fma_f64 v[19:20], v[19:20], v[19:20], 1.0
	v_cmp_gt_f64_e32 vcc_lo, 0x10000000, v[19:20]
	v_cndmask_b32_e64 v12, 0, 1, vcc_lo
	s_delay_alu instid0(VALU_DEP_1) | instskip(NEXT) | instid1(VALU_DEP_1)
	v_lshlrev_b32_e32 v12, 8, v12
	v_ldexp_f64 v[19:20], v[19:20], v12
	v_cndmask_b32_e64 v12, 0, 0xffffff80, vcc_lo
	s_delay_alu instid0(VALU_DEP_2) | instskip(SKIP_4) | instid1(VALU_DEP_1)
	v_rsq_f64_e32 v[23:24], v[19:20]
	v_cmp_class_f64_e64 vcc_lo, v[19:20], 0x260
	s_waitcnt_depctr 0xfff
	v_mul_f64 v[36:37], v[19:20], v[23:24]
	v_mul_f64 v[23:24], v[23:24], 0.5
	v_fma_f64 v[38:39], -v[23:24], v[36:37], 0.5
	s_delay_alu instid0(VALU_DEP_1) | instskip(SKIP_1) | instid1(VALU_DEP_2)
	v_fma_f64 v[36:37], v[36:37], v[38:39], v[36:37]
	v_fma_f64 v[23:24], v[23:24], v[38:39], v[23:24]
	v_fma_f64 v[38:39], -v[36:37], v[36:37], v[19:20]
	s_delay_alu instid0(VALU_DEP_1) | instskip(NEXT) | instid1(VALU_DEP_1)
	v_fma_f64 v[36:37], v[38:39], v[23:24], v[36:37]
	v_fma_f64 v[38:39], -v[36:37], v[36:37], v[19:20]
	s_delay_alu instid0(VALU_DEP_1) | instskip(NEXT) | instid1(VALU_DEP_1)
	v_fma_f64 v[23:24], v[38:39], v[23:24], v[36:37]
	v_ldexp_f64 v[23:24], v[23:24], v12
	s_delay_alu instid0(VALU_DEP_1) | instskip(NEXT) | instid1(VALU_DEP_1)
	v_dual_cndmask_b32 v19, v23, v19 :: v_dual_cndmask_b32 v20, v24, v20
	v_mul_f64 v[23:24], v[21:22], v[19:20]
.LBB46_21:                              ;   in Loop: Header=BB46_9 Depth=3
	s_or_b32 exec_lo, exec_lo, s49
                                        ; implicit-def: $vgpr19_vgpr20
                                        ; implicit-def: $vgpr21_vgpr22
.LBB46_22:                              ;   in Loop: Header=BB46_9 Depth=3
	s_and_not1_saveexec_b32 s48, s48
	s_cbranch_execz .LBB46_24
; %bb.23:                               ;   in Loop: Header=BB46_9 Depth=3
	v_div_scale_f64 v[23:24], null, v[19:20], v[19:20], v[21:22]
	v_div_scale_f64 v[40:41], vcc_lo, v[21:22], v[19:20], v[21:22]
	s_delay_alu instid0(VALU_DEP_2) | instskip(SKIP_2) | instid1(VALU_DEP_1)
	v_rcp_f64_e32 v[36:37], v[23:24]
	s_waitcnt_depctr 0xfff
	v_fma_f64 v[38:39], -v[23:24], v[36:37], 1.0
	v_fma_f64 v[36:37], v[36:37], v[38:39], v[36:37]
	s_delay_alu instid0(VALU_DEP_1) | instskip(NEXT) | instid1(VALU_DEP_1)
	v_fma_f64 v[38:39], -v[23:24], v[36:37], 1.0
	v_fma_f64 v[36:37], v[36:37], v[38:39], v[36:37]
	s_delay_alu instid0(VALU_DEP_1) | instskip(NEXT) | instid1(VALU_DEP_1)
	v_mul_f64 v[38:39], v[40:41], v[36:37]
	v_fma_f64 v[23:24], -v[23:24], v[38:39], v[40:41]
	s_delay_alu instid0(VALU_DEP_1) | instskip(NEXT) | instid1(VALU_DEP_1)
	v_div_fmas_f64 v[23:24], v[23:24], v[36:37], v[38:39]
	v_div_fixup_f64 v[21:22], v[23:24], v[19:20], v[21:22]
	s_delay_alu instid0(VALU_DEP_1) | instskip(NEXT) | instid1(VALU_DEP_1)
	v_fma_f64 v[21:22], v[21:22], v[21:22], 1.0
	v_cmp_gt_f64_e32 vcc_lo, 0x10000000, v[21:22]
	v_cndmask_b32_e64 v12, 0, 1, vcc_lo
	s_delay_alu instid0(VALU_DEP_1) | instskip(NEXT) | instid1(VALU_DEP_1)
	v_lshlrev_b32_e32 v12, 8, v12
	v_ldexp_f64 v[21:22], v[21:22], v12
	v_cndmask_b32_e64 v12, 0, 0xffffff80, vcc_lo
	s_delay_alu instid0(VALU_DEP_2) | instskip(SKIP_4) | instid1(VALU_DEP_1)
	v_rsq_f64_e32 v[23:24], v[21:22]
	v_cmp_class_f64_e64 vcc_lo, v[21:22], 0x260
	s_waitcnt_depctr 0xfff
	v_mul_f64 v[36:37], v[21:22], v[23:24]
	v_mul_f64 v[23:24], v[23:24], 0.5
	v_fma_f64 v[38:39], -v[23:24], v[36:37], 0.5
	s_delay_alu instid0(VALU_DEP_1) | instskip(SKIP_1) | instid1(VALU_DEP_2)
	v_fma_f64 v[36:37], v[36:37], v[38:39], v[36:37]
	v_fma_f64 v[23:24], v[23:24], v[38:39], v[23:24]
	v_fma_f64 v[38:39], -v[36:37], v[36:37], v[21:22]
	s_delay_alu instid0(VALU_DEP_1) | instskip(NEXT) | instid1(VALU_DEP_1)
	v_fma_f64 v[36:37], v[38:39], v[23:24], v[36:37]
	v_fma_f64 v[38:39], -v[36:37], v[36:37], v[21:22]
	s_delay_alu instid0(VALU_DEP_1) | instskip(NEXT) | instid1(VALU_DEP_1)
	v_fma_f64 v[23:24], v[38:39], v[23:24], v[36:37]
	v_ldexp_f64 v[23:24], v[23:24], v12
	s_delay_alu instid0(VALU_DEP_1) | instskip(NEXT) | instid1(VALU_DEP_1)
	v_dual_cndmask_b32 v21, v23, v21 :: v_dual_cndmask_b32 v22, v24, v22
	v_mul_f64 v[23:24], v[19:20], v[21:22]
.LBB46_24:                              ;   in Loop: Header=BB46_9 Depth=3
	s_or_b32 exec_lo, exec_lo, s48
	v_mov_b32_e32 v19, 0
	v_mov_b32_e32 v20, 0
	s_mov_b32 s48, exec_lo
	s_delay_alu instid0(VALU_DEP_1) | instskip(NEXT) | instid1(VALU_DEP_4)
	v_dual_mov_b32 v22, v20 :: v_dual_mov_b32 v21, v19
	v_cmpx_lt_f64_e32 0, v[23:24]
	s_cbranch_execz .LBB46_26
; %bb.25:                               ;   in Loop: Header=BB46_9 Depth=3
	v_mul_f64 v[19:20], v[6:7], v[6:7]
	s_delay_alu instid0(VALU_DEP_1) | instskip(NEXT) | instid1(VALU_DEP_1)
	v_fma_f64 v[19:20], v[4:5], v[4:5], v[19:20]
	v_div_scale_f64 v[21:22], null, v[19:20], v[19:20], 1.0
	v_div_scale_f64 v[38:39], vcc_lo, 1.0, v[19:20], 1.0
	s_delay_alu instid0(VALU_DEP_2) | instskip(SKIP_2) | instid1(VALU_DEP_1)
	v_rcp_f64_e32 v[23:24], v[21:22]
	s_waitcnt_depctr 0xfff
	v_fma_f64 v[36:37], -v[21:22], v[23:24], 1.0
	v_fma_f64 v[23:24], v[23:24], v[36:37], v[23:24]
	s_delay_alu instid0(VALU_DEP_1) | instskip(NEXT) | instid1(VALU_DEP_1)
	v_fma_f64 v[36:37], -v[21:22], v[23:24], 1.0
	v_fma_f64 v[23:24], v[23:24], v[36:37], v[23:24]
	s_delay_alu instid0(VALU_DEP_1) | instskip(NEXT) | instid1(VALU_DEP_1)
	v_mul_f64 v[36:37], v[38:39], v[23:24]
	v_fma_f64 v[21:22], -v[21:22], v[36:37], v[38:39]
	v_mul_f64 v[38:39], v[2:3], v[6:7]
	v_mul_f64 v[6:7], v[6:7], -v[0:1]
	s_delay_alu instid0(VALU_DEP_3) | instskip(NEXT) | instid1(VALU_DEP_3)
	v_div_fmas_f64 v[21:22], v[21:22], v[23:24], v[36:37]
	v_fma_f64 v[0:1], v[0:1], v[4:5], v[38:39]
	s_delay_alu instid0(VALU_DEP_3) | instskip(NEXT) | instid1(VALU_DEP_3)
	v_fma_f64 v[2:3], v[2:3], v[4:5], v[6:7]
	v_div_fixup_f64 v[21:22], v[21:22], v[19:20], 1.0
	s_delay_alu instid0(VALU_DEP_1) | instskip(NEXT) | instid1(VALU_DEP_3)
	v_mul_f64 v[19:20], v[0:1], v[21:22]
	v_mul_f64 v[21:22], v[2:3], v[21:22]
.LBB46_26:                              ;   in Loop: Header=BB46_9 Depth=3
	s_or_b32 exec_lo, exec_lo, s48
	s_delay_alu instid0(VALU_DEP_2) | instskip(NEXT) | instid1(VALU_DEP_2)
	v_dual_mov_b32 v0, v19 :: v_dual_mov_b32 v1, v20
	v_dual_mov_b32 v2, v21 :: v_dual_mov_b32 v3, v22
.LBB46_27:                              ;   in Loop: Header=BB46_9 Depth=3
	s_or_b32 exec_lo, exec_lo, s4
	s_delay_alu instid0(VALU_DEP_2) | instskip(NEXT) | instid1(VALU_DEP_2)
	v_cmp_gt_f64_e32 vcc_lo, 0, v[0:1]
	v_cmp_gt_f64_e64 s4, 0, v[2:3]
	v_xor_b32_e32 v4, 0x80000000, v1
	v_xor_b32_e32 v6, 0x80000000, v3
                                        ; implicit-def: $vgpr19_vgpr20
	s_delay_alu instid0(VALU_DEP_2) | instskip(NEXT) | instid1(VALU_DEP_2)
	v_cndmask_b32_e32 v5, v1, v4, vcc_lo
	v_cndmask_b32_e64 v7, v3, v6, s4
	v_cndmask_b32_e32 v4, v0, v0, vcc_lo
	v_cndmask_b32_e64 v6, v2, v2, s4
	s_mov_b32 s4, exec_lo
	s_delay_alu instid0(VALU_DEP_1)
	v_cmpx_ngt_f64_e32 v[4:5], v[6:7]
	s_xor_b32 s4, exec_lo, s4
	s_cbranch_execnz .LBB46_30
; %bb.28:                               ;   in Loop: Header=BB46_9 Depth=3
	s_and_not1_saveexec_b32 s4, s4
	s_cbranch_execnz .LBB46_33
.LBB46_29:                              ;   in Loop: Header=BB46_9 Depth=3
	s_or_b32 exec_lo, exec_lo, s4
	s_delay_alu instid0(VALU_DEP_1) | instskip(NEXT) | instid1(VALU_DEP_1)
	v_cmp_class_f64_e64 s48, v[19:20], 0x1f8
	s_and_saveexec_b32 s4, s48
	s_cbranch_execz .LBB46_8
	s_branch .LBB46_34
.LBB46_30:                              ;   in Loop: Header=BB46_9 Depth=3
	v_mov_b32_e32 v19, 0
	v_mov_b32_e32 v20, 0
	s_mov_b32 s48, exec_lo
	v_cmpx_neq_f64_e32 0, v[2:3]
	s_cbranch_execz .LBB46_32
; %bb.31:                               ;   in Loop: Header=BB46_9 Depth=3
	v_div_scale_f64 v[19:20], null, v[6:7], v[6:7], v[4:5]
	v_div_scale_f64 v[36:37], vcc_lo, v[4:5], v[6:7], v[4:5]
	s_delay_alu instid0(VALU_DEP_2) | instskip(SKIP_2) | instid1(VALU_DEP_1)
	v_rcp_f64_e32 v[21:22], v[19:20]
	s_waitcnt_depctr 0xfff
	v_fma_f64 v[23:24], -v[19:20], v[21:22], 1.0
	v_fma_f64 v[21:22], v[21:22], v[23:24], v[21:22]
	s_delay_alu instid0(VALU_DEP_1) | instskip(NEXT) | instid1(VALU_DEP_1)
	v_fma_f64 v[23:24], -v[19:20], v[21:22], 1.0
	v_fma_f64 v[21:22], v[21:22], v[23:24], v[21:22]
	s_delay_alu instid0(VALU_DEP_1) | instskip(NEXT) | instid1(VALU_DEP_1)
	v_mul_f64 v[23:24], v[36:37], v[21:22]
	v_fma_f64 v[19:20], -v[19:20], v[23:24], v[36:37]
	s_delay_alu instid0(VALU_DEP_1) | instskip(NEXT) | instid1(VALU_DEP_1)
	v_div_fmas_f64 v[19:20], v[19:20], v[21:22], v[23:24]
	v_div_fixup_f64 v[4:5], v[19:20], v[6:7], v[4:5]
	s_delay_alu instid0(VALU_DEP_1) | instskip(NEXT) | instid1(VALU_DEP_1)
	v_fma_f64 v[4:5], v[4:5], v[4:5], 1.0
	v_cmp_gt_f64_e32 vcc_lo, 0x10000000, v[4:5]
	v_cndmask_b32_e64 v12, 0, 1, vcc_lo
	s_delay_alu instid0(VALU_DEP_1) | instskip(NEXT) | instid1(VALU_DEP_1)
	v_lshlrev_b32_e32 v12, 8, v12
	v_ldexp_f64 v[4:5], v[4:5], v12
	v_cndmask_b32_e64 v12, 0, 0xffffff80, vcc_lo
	s_delay_alu instid0(VALU_DEP_2) | instskip(SKIP_4) | instid1(VALU_DEP_1)
	v_rsq_f64_e32 v[19:20], v[4:5]
	v_cmp_class_f64_e64 vcc_lo, v[4:5], 0x260
	s_waitcnt_depctr 0xfff
	v_mul_f64 v[21:22], v[4:5], v[19:20]
	v_mul_f64 v[19:20], v[19:20], 0.5
	v_fma_f64 v[23:24], -v[19:20], v[21:22], 0.5
	s_delay_alu instid0(VALU_DEP_1) | instskip(SKIP_1) | instid1(VALU_DEP_2)
	v_fma_f64 v[21:22], v[21:22], v[23:24], v[21:22]
	v_fma_f64 v[19:20], v[19:20], v[23:24], v[19:20]
	v_fma_f64 v[23:24], -v[21:22], v[21:22], v[4:5]
	s_delay_alu instid0(VALU_DEP_1) | instskip(NEXT) | instid1(VALU_DEP_1)
	v_fma_f64 v[21:22], v[23:24], v[19:20], v[21:22]
	v_fma_f64 v[23:24], -v[21:22], v[21:22], v[4:5]
	s_delay_alu instid0(VALU_DEP_1) | instskip(NEXT) | instid1(VALU_DEP_1)
	v_fma_f64 v[19:20], v[23:24], v[19:20], v[21:22]
	v_ldexp_f64 v[19:20], v[19:20], v12
	s_delay_alu instid0(VALU_DEP_1) | instskip(NEXT) | instid1(VALU_DEP_1)
	v_dual_cndmask_b32 v5, v20, v5 :: v_dual_cndmask_b32 v4, v19, v4
	v_mul_f64 v[19:20], v[6:7], v[4:5]
.LBB46_32:                              ;   in Loop: Header=BB46_9 Depth=3
	s_or_b32 exec_lo, exec_lo, s48
                                        ; implicit-def: $vgpr4_vgpr5
                                        ; implicit-def: $vgpr6_vgpr7
	s_and_not1_saveexec_b32 s4, s4
	s_cbranch_execz .LBB46_29
.LBB46_33:                              ;   in Loop: Header=BB46_9 Depth=3
	v_div_scale_f64 v[19:20], null, v[4:5], v[4:5], v[6:7]
	v_div_scale_f64 v[36:37], vcc_lo, v[6:7], v[4:5], v[6:7]
	s_delay_alu instid0(VALU_DEP_2) | instskip(SKIP_2) | instid1(VALU_DEP_1)
	v_rcp_f64_e32 v[21:22], v[19:20]
	s_waitcnt_depctr 0xfff
	v_fma_f64 v[23:24], -v[19:20], v[21:22], 1.0
	v_fma_f64 v[21:22], v[21:22], v[23:24], v[21:22]
	s_delay_alu instid0(VALU_DEP_1) | instskip(NEXT) | instid1(VALU_DEP_1)
	v_fma_f64 v[23:24], -v[19:20], v[21:22], 1.0
	v_fma_f64 v[21:22], v[21:22], v[23:24], v[21:22]
	s_delay_alu instid0(VALU_DEP_1) | instskip(NEXT) | instid1(VALU_DEP_1)
	v_mul_f64 v[23:24], v[36:37], v[21:22]
	v_fma_f64 v[19:20], -v[19:20], v[23:24], v[36:37]
	s_delay_alu instid0(VALU_DEP_1) | instskip(NEXT) | instid1(VALU_DEP_1)
	v_div_fmas_f64 v[19:20], v[19:20], v[21:22], v[23:24]
	v_div_fixup_f64 v[6:7], v[19:20], v[4:5], v[6:7]
	s_delay_alu instid0(VALU_DEP_1) | instskip(NEXT) | instid1(VALU_DEP_1)
	v_fma_f64 v[6:7], v[6:7], v[6:7], 1.0
	v_cmp_gt_f64_e32 vcc_lo, 0x10000000, v[6:7]
	v_cndmask_b32_e64 v12, 0, 1, vcc_lo
	s_delay_alu instid0(VALU_DEP_1) | instskip(NEXT) | instid1(VALU_DEP_1)
	v_lshlrev_b32_e32 v12, 8, v12
	v_ldexp_f64 v[6:7], v[6:7], v12
	v_cndmask_b32_e64 v12, 0, 0xffffff80, vcc_lo
	s_delay_alu instid0(VALU_DEP_2) | instskip(SKIP_4) | instid1(VALU_DEP_1)
	v_rsq_f64_e32 v[19:20], v[6:7]
	v_cmp_class_f64_e64 vcc_lo, v[6:7], 0x260
	s_waitcnt_depctr 0xfff
	v_mul_f64 v[21:22], v[6:7], v[19:20]
	v_mul_f64 v[19:20], v[19:20], 0.5
	v_fma_f64 v[23:24], -v[19:20], v[21:22], 0.5
	s_delay_alu instid0(VALU_DEP_1) | instskip(SKIP_1) | instid1(VALU_DEP_2)
	v_fma_f64 v[21:22], v[21:22], v[23:24], v[21:22]
	v_fma_f64 v[19:20], v[19:20], v[23:24], v[19:20]
	v_fma_f64 v[23:24], -v[21:22], v[21:22], v[6:7]
	s_delay_alu instid0(VALU_DEP_1) | instskip(NEXT) | instid1(VALU_DEP_1)
	v_fma_f64 v[21:22], v[23:24], v[19:20], v[21:22]
	v_fma_f64 v[23:24], -v[21:22], v[21:22], v[6:7]
	s_delay_alu instid0(VALU_DEP_1) | instskip(NEXT) | instid1(VALU_DEP_1)
	v_fma_f64 v[19:20], v[23:24], v[19:20], v[21:22]
	v_ldexp_f64 v[19:20], v[19:20], v12
	s_delay_alu instid0(VALU_DEP_1) | instskip(NEXT) | instid1(VALU_DEP_1)
	v_dual_cndmask_b32 v7, v20, v7 :: v_dual_cndmask_b32 v6, v19, v6
	v_mul_f64 v[19:20], v[4:5], v[6:7]
	s_or_b32 exec_lo, exec_lo, s4
	s_delay_alu instid0(VALU_DEP_1) | instskip(NEXT) | instid1(VALU_DEP_1)
	v_cmp_class_f64_e64 s48, v[19:20], 0x1f8
	s_and_saveexec_b32 s4, s48
	s_cbranch_execz .LBB46_8
.LBB46_34:                              ;   in Loop: Header=BB46_9 Depth=3
	s_mov_b32 s48, 0
                                        ; implicit-def: $vgpr4_vgpr5
	s_and_saveexec_b32 s49, s3
	s_delay_alu instid0(SALU_CYCLE_1)
	s_xor_b32 s3, exec_lo, s49
	s_cbranch_execnz .LBB46_37
; %bb.35:                               ;   in Loop: Header=BB46_9 Depth=3
	s_and_not1_saveexec_b32 s3, s3
	s_cbranch_execnz .LBB46_50
.LBB46_36:                              ;   in Loop: Header=BB46_9 Depth=3
	s_or_b32 exec_lo, exec_lo, s3
	s_delay_alu instid0(SALU_CYCLE_1)
	s_and_b32 exec_lo, exec_lo, s48
	s_cbranch_execz .LBB46_8
	s_branch .LBB46_59
.LBB46_37:                              ;   in Loop: Header=BB46_9 Depth=3
	s_mov_b32 s49, exec_lo
                                        ; implicit-def: $vgpr4_vgpr5
	v_cmpx_ge_i32_e64 v10, v14
	s_xor_b32 s49, exec_lo, s49
; %bb.38:                               ;   in Loop: Header=BB46_9 Depth=3
	v_lshlrev_b64 v[4:5], 4, v[14:15]
	s_mov_b32 s48, exec_lo
                                        ; implicit-def: $vgpr18
                                        ; implicit-def: $vgpr35
                                        ; implicit-def: $vgpr16
	s_delay_alu instid0(VALU_DEP_1) | instskip(NEXT) | instid1(VALU_DEP_2)
	v_add_co_u32 v4, vcc_lo, s38, v4
	v_add_co_ci_u32_e32 v5, vcc_lo, s39, v5, vcc_lo
; %bb.39:                               ;   in Loop: Header=BB46_9 Depth=3
	s_and_not1_saveexec_b32 s49, s49
	s_cbranch_execz .LBB46_49
; %bb.40:                               ;   in Loop: Header=BB46_9 Depth=3
	s_mov_b32 s51, s48
	s_mov_b32 s50, exec_lo
                                        ; implicit-def: $vgpr4_vgpr5
	v_cmpx_lt_i32_e64 v18, v35
	s_cbranch_execz .LBB46_48
; %bb.41:                               ;   in Loop: Header=BB46_9 Depth=3
	s_mov_b32 s52, 0
                                        ; implicit-def: $sgpr51
                                        ; implicit-def: $sgpr54
                                        ; implicit-def: $sgpr53
	s_set_inst_prefetch_distance 0x1
	s_branch .LBB46_43
	.p2align	6
.LBB46_42:                              ;   in Loop: Header=BB46_43 Depth=4
	s_or_b32 exec_lo, exec_lo, s55
	s_delay_alu instid0(SALU_CYCLE_1) | instskip(NEXT) | instid1(SALU_CYCLE_1)
	s_and_b32 s55, exec_lo, s54
	s_or_b32 s52, s55, s52
	s_and_not1_b32 s51, s51, exec_lo
	s_and_b32 s55, s53, exec_lo
	s_delay_alu instid0(SALU_CYCLE_1)
	s_or_b32 s51, s51, s55
	s_and_not1_b32 exec_lo, exec_lo, s52
	s_cbranch_execz .LBB46_45
.LBB46_43:                              ;   Parent Loop BB46_3 Depth=1
                                        ;     Parent Loop BB46_5 Depth=2
                                        ;       Parent Loop BB46_9 Depth=3
                                        ; =>      This Inner Loop Header: Depth=4
	v_add_nc_u32_e32 v6, v16, v18
	s_or_b32 s53, s53, exec_lo
	s_or_b32 s54, s54, exec_lo
	s_mov_b32 s55, exec_lo
	s_delay_alu instid0(VALU_DEP_1) | instskip(NEXT) | instid1(VALU_DEP_1)
	v_ashrrev_i32_e32 v7, 31, v6
	v_lshlrev_b64 v[4:5], 2, v[6:7]
	s_delay_alu instid0(VALU_DEP_1) | instskip(NEXT) | instid1(VALU_DEP_2)
	v_add_co_u32 v4, vcc_lo, s12, v4
	v_add_co_ci_u32_e32 v5, vcc_lo, s13, v5, vcc_lo
	global_load_b32 v4, v[4:5], off
	s_waitcnt vmcnt(0)
	v_subrev_nc_u32_e32 v4, s43, v4
	s_delay_alu instid0(VALU_DEP_1)
	v_cmpx_ne_u32_e64 v4, v10
	s_cbranch_execz .LBB46_42
; %bb.44:                               ;   in Loop: Header=BB46_43 Depth=4
	v_add_nc_u32_e32 v18, 1, v18
	s_and_not1_b32 s54, s54, exec_lo
	s_and_not1_b32 s53, s53, exec_lo
	s_delay_alu instid0(VALU_DEP_1) | instskip(SKIP_1) | instid1(SALU_CYCLE_1)
	v_cmp_ge_i32_e32 vcc_lo, v18, v35
	s_and_b32 s56, vcc_lo, exec_lo
	s_or_b32 s54, s54, s56
	s_branch .LBB46_42
.LBB46_45:                              ;   in Loop: Header=BB46_9 Depth=3
	s_set_inst_prefetch_distance 0x2
	s_or_b32 exec_lo, exec_lo, s52
	s_mov_b32 s52, s48
                                        ; implicit-def: $vgpr4_vgpr5
	s_and_saveexec_b32 s53, s51
	s_delay_alu instid0(SALU_CYCLE_1)
	s_xor_b32 s51, exec_lo, s53
; %bb.46:                               ;   in Loop: Header=BB46_9 Depth=3
	v_lshlrev_b64 v[4:5], 4, v[6:7]
	s_or_b32 s52, s48, exec_lo
	s_delay_alu instid0(VALU_DEP_1) | instskip(NEXT) | instid1(VALU_DEP_2)
	v_add_co_u32 v4, vcc_lo, s34, v4
	v_add_co_ci_u32_e32 v5, vcc_lo, s35, v5, vcc_lo
; %bb.47:                               ;   in Loop: Header=BB46_9 Depth=3
	s_or_b32 exec_lo, exec_lo, s51
	s_delay_alu instid0(SALU_CYCLE_1) | instskip(SKIP_1) | instid1(SALU_CYCLE_1)
	s_and_not1_b32 s51, s48, exec_lo
	s_and_b32 s52, s52, exec_lo
	s_or_b32 s51, s51, s52
.LBB46_48:                              ;   in Loop: Header=BB46_9 Depth=3
	s_or_b32 exec_lo, exec_lo, s50
	s_delay_alu instid0(SALU_CYCLE_1) | instskip(SKIP_1) | instid1(SALU_CYCLE_1)
	s_and_not1_b32 s48, s48, exec_lo
	s_and_b32 s50, s51, exec_lo
	s_or_b32 s48, s48, s50
.LBB46_49:                              ;   in Loop: Header=BB46_9 Depth=3
	s_or_b32 exec_lo, exec_lo, s49
	s_delay_alu instid0(SALU_CYCLE_1)
	s_and_b32 s48, s48, exec_lo
                                        ; implicit-def: $vgpr14_vgpr15
	s_and_not1_saveexec_b32 s3, s3
	s_cbranch_execz .LBB46_36
.LBB46_50:                              ;   in Loop: Header=BB46_9 Depth=3
	s_mov_b32 s50, s48
	s_mov_b32 s49, exec_lo
                                        ; implicit-def: $vgpr4_vgpr5
	v_cmpx_lt_i32_e64 v8, v30
	s_cbranch_execz .LBB46_58
; %bb.51:                               ;   in Loop: Header=BB46_9 Depth=3
	s_mov_b32 s51, 0
                                        ; implicit-def: $sgpr50
                                        ; implicit-def: $sgpr53
                                        ; implicit-def: $sgpr52
	s_set_inst_prefetch_distance 0x1
	s_branch .LBB46_53
	.p2align	6
.LBB46_52:                              ;   in Loop: Header=BB46_53 Depth=4
	s_or_b32 exec_lo, exec_lo, s54
	s_delay_alu instid0(SALU_CYCLE_1) | instskip(NEXT) | instid1(SALU_CYCLE_1)
	s_and_b32 s54, exec_lo, s53
	s_or_b32 s51, s54, s51
	s_and_not1_b32 s50, s50, exec_lo
	s_and_b32 s54, s52, exec_lo
	s_delay_alu instid0(SALU_CYCLE_1)
	s_or_b32 s50, s50, s54
	s_and_not1_b32 exec_lo, exec_lo, s51
	s_cbranch_execz .LBB46_55
.LBB46_53:                              ;   Parent Loop BB46_3 Depth=1
                                        ;     Parent Loop BB46_5 Depth=2
                                        ;       Parent Loop BB46_9 Depth=3
                                        ; =>      This Inner Loop Header: Depth=4
	v_add_nc_u32_e32 v6, v13, v8
	s_or_b32 s52, s52, exec_lo
	s_or_b32 s53, s53, exec_lo
	s_mov_b32 s54, exec_lo
	s_delay_alu instid0(VALU_DEP_1) | instskip(NEXT) | instid1(VALU_DEP_1)
	v_ashrrev_i32_e32 v7, 31, v6
	v_lshlrev_b64 v[4:5], 2, v[6:7]
	s_delay_alu instid0(VALU_DEP_1) | instskip(NEXT) | instid1(VALU_DEP_2)
	v_add_co_u32 v4, vcc_lo, s20, v4
	v_add_co_ci_u32_e32 v5, vcc_lo, s21, v5, vcc_lo
	global_load_b32 v4, v[4:5], off
	s_waitcnt vmcnt(0)
	v_subrev_nc_u32_e32 v4, s42, v4
	s_delay_alu instid0(VALU_DEP_1)
	v_cmpx_ne_u32_e64 v4, v14
	s_cbranch_execz .LBB46_52
; %bb.54:                               ;   in Loop: Header=BB46_53 Depth=4
	v_add_nc_u32_e32 v8, 1, v8
	s_and_not1_b32 s53, s53, exec_lo
	s_and_not1_b32 s52, s52, exec_lo
	s_delay_alu instid0(VALU_DEP_1) | instskip(SKIP_1) | instid1(SALU_CYCLE_1)
	v_cmp_ge_i32_e32 vcc_lo, v8, v30
	s_and_b32 s55, vcc_lo, exec_lo
	s_or_b32 s53, s53, s55
	s_branch .LBB46_52
.LBB46_55:                              ;   in Loop: Header=BB46_9 Depth=3
	s_set_inst_prefetch_distance 0x2
	s_or_b32 exec_lo, exec_lo, s51
	s_mov_b32 s51, s48
                                        ; implicit-def: $vgpr4_vgpr5
	s_and_saveexec_b32 s52, s50
	s_delay_alu instid0(SALU_CYCLE_1)
	s_xor_b32 s50, exec_lo, s52
; %bb.56:                               ;   in Loop: Header=BB46_9 Depth=3
	v_lshlrev_b64 v[4:5], 4, v[6:7]
	s_or_b32 s51, s48, exec_lo
	s_delay_alu instid0(VALU_DEP_1) | instskip(NEXT) | instid1(VALU_DEP_2)
	v_add_co_u32 v4, vcc_lo, s40, v4
	v_add_co_ci_u32_e32 v5, vcc_lo, s41, v5, vcc_lo
; %bb.57:                               ;   in Loop: Header=BB46_9 Depth=3
	s_or_b32 exec_lo, exec_lo, s50
	s_delay_alu instid0(SALU_CYCLE_1) | instskip(SKIP_1) | instid1(SALU_CYCLE_1)
	s_and_not1_b32 s50, s48, exec_lo
	s_and_b32 s51, s51, exec_lo
	s_or_b32 s50, s50, s51
.LBB46_58:                              ;   in Loop: Header=BB46_9 Depth=3
	s_or_b32 exec_lo, exec_lo, s49
	s_delay_alu instid0(SALU_CYCLE_1) | instskip(SKIP_1) | instid1(SALU_CYCLE_1)
	s_and_not1_b32 s48, s48, exec_lo
	s_and_b32 s49, s50, exec_lo
	s_or_b32 s48, s48, s49
	s_or_b32 exec_lo, exec_lo, s3
	s_delay_alu instid0(SALU_CYCLE_1)
	s_and_b32 exec_lo, exec_lo, s48
	s_cbranch_execz .LBB46_8
.LBB46_59:                              ;   in Loop: Header=BB46_9 Depth=3
	global_store_b128 v[4:5], v[0:3], off
	s_branch .LBB46_8
.LBB46_60:                              ;   in Loop: Header=BB46_3 Depth=1
	s_and_saveexec_b32 s3, s0
	s_cbranch_execz .LBB46_2
; %bb.61:                               ;   in Loop: Header=BB46_3 Depth=1
	v_mov_b32_e32 v0, v25
	s_mov_b32 s4, 0
	s_branch .LBB46_63
.LBB46_62:                              ;   in Loop: Header=BB46_63 Depth=2
	s_or_b32 exec_lo, exec_lo, s45
	v_add_nc_u32_e32 v0, 64, v0
	s_delay_alu instid0(VALU_DEP_1) | instskip(SKIP_1) | instid1(SALU_CYCLE_1)
	v_cmp_le_u32_e32 vcc_lo, s44, v0
	s_or_b32 s4, vcc_lo, s4
	s_and_not1_b32 exec_lo, exec_lo, s4
	s_cbranch_execz .LBB46_2
.LBB46_63:                              ;   Parent Loop BB46_3 Depth=1
                                        ; =>  This Loop Header: Depth=2
                                        ;       Child Loop BB46_66 Depth 3
                                        ;       Child Loop BB46_69 Depth 3
	s_mov_b32 s45, exec_lo
	s_delay_alu instid0(VALU_DEP_1)
	v_cmpx_gt_i32_e64 s7, v0
	s_cbranch_execz .LBB46_62
; %bb.64:                               ;   in Loop: Header=BB46_63 Depth=2
	v_ashrrev_i32_e32 v1, 31, v0
	s_mov_b32 s46, exec_lo
	s_delay_alu instid0(VALU_DEP_1) | instskip(NEXT) | instid1(VALU_DEP_1)
	v_lshlrev_b64 v[2:3], 2, v[0:1]
	v_add_co_u32 v4, vcc_lo, s16, v2
	s_delay_alu instid0(VALU_DEP_2)
	v_add_co_ci_u32_e32 v5, vcc_lo, s17, v3, vcc_lo
	v_add_co_u32 v6, vcc_lo, s18, v2
	v_add_co_ci_u32_e32 v7, vcc_lo, s19, v3, vcc_lo
	global_load_b32 v4, v[4:5], off
	global_load_b32 v5, v[6:7], off
	s_waitcnt vmcnt(1)
	v_add_nc_u32_e32 v4, v27, v4
	s_waitcnt vmcnt(0)
	v_subrev_nc_u32_e32 v10, s42, v5
	s_delay_alu instid0(VALU_DEP_1)
	v_cmpx_lt_i32_e64 v4, v10
	s_cbranch_execz .LBB46_67
; %bb.65:                               ;   in Loop: Header=BB46_63 Depth=2
	v_ashrrev_i32_e32 v5, 31, v4
	s_mov_b32 s47, 0
	s_delay_alu instid0(VALU_DEP_1) | instskip(NEXT) | instid1(VALU_DEP_1)
	v_lshlrev_b64 v[7:8], 4, v[4:5]
	v_add_co_u32 v5, vcc_lo, s22, v7
	s_delay_alu instid0(VALU_DEP_2)
	v_add_co_ci_u32_e32 v6, vcc_lo, s23, v8, vcc_lo
	v_add_co_u32 v7, vcc_lo, s40, v7
	v_add_co_ci_u32_e32 v8, vcc_lo, s41, v8, vcc_lo
	.p2align	6
.LBB46_66:                              ;   Parent Loop BB46_3 Depth=1
                                        ;     Parent Loop BB46_63 Depth=2
                                        ; =>    This Inner Loop Header: Depth=3
	global_load_b128 v[11:14], v[7:8], off
	v_add_nc_u32_e32 v4, 16, v4
	v_add_co_u32 v7, vcc_lo, 0x100, v7
	v_add_co_ci_u32_e32 v8, vcc_lo, 0, v8, vcc_lo
	s_delay_alu instid0(VALU_DEP_3) | instskip(SKIP_4) | instid1(VALU_DEP_1)
	v_cmp_ge_i32_e32 vcc_lo, v4, v10
	s_or_b32 s47, vcc_lo, s47
	s_waitcnt vmcnt(0)
	global_store_b128 v[5:6], v[11:14], off
	v_add_co_u32 v5, s2, 0x100, v5
	v_add_co_ci_u32_e64 v6, s2, 0, v6, s2
	s_and_not1_b32 exec_lo, exec_lo, s47
	s_cbranch_execnz .LBB46_66
.LBB46_67:                              ;   in Loop: Header=BB46_63 Depth=2
	s_or_b32 exec_lo, exec_lo, s46
	v_add_co_u32 v4, vcc_lo, s8, v2
	v_add_co_ci_u32_e32 v5, vcc_lo, s9, v3, vcc_lo
	v_add_co_u32 v2, vcc_lo, s10, v2
	v_add_co_ci_u32_e32 v3, vcc_lo, s11, v3, vcc_lo
	s_mov_b32 s46, exec_lo
	global_load_b32 v4, v[4:5], off
	global_load_b32 v3, v[2:3], off
	s_waitcnt vmcnt(1)
	v_add_nc_u32_e32 v2, v28, v4
	s_waitcnt vmcnt(0)
	v_subrev_nc_u32_e32 v7, s43, v3
	s_delay_alu instid0(VALU_DEP_1)
	v_cmpx_lt_i32_e64 v2, v7
	s_cbranch_execz .LBB46_70
; %bb.68:                               ;   in Loop: Header=BB46_63 Depth=2
	v_ashrrev_i32_e32 v3, 31, v2
	s_mov_b32 s47, 0
	s_delay_alu instid0(VALU_DEP_1) | instskip(NEXT) | instid1(VALU_DEP_1)
	v_lshlrev_b64 v[5:6], 4, v[2:3]
	v_add_co_u32 v3, vcc_lo, s14, v5
	s_delay_alu instid0(VALU_DEP_2)
	v_add_co_ci_u32_e32 v4, vcc_lo, s15, v6, vcc_lo
	v_add_co_u32 v5, vcc_lo, s34, v5
	v_add_co_ci_u32_e32 v6, vcc_lo, s35, v6, vcc_lo
	.p2align	6
.LBB46_69:                              ;   Parent Loop BB46_3 Depth=1
                                        ;     Parent Loop BB46_63 Depth=2
                                        ; =>    This Inner Loop Header: Depth=3
	global_load_b128 v[10:13], v[5:6], off
	v_add_nc_u32_e32 v2, 16, v2
	v_add_co_u32 v5, vcc_lo, 0x100, v5
	v_add_co_ci_u32_e32 v6, vcc_lo, 0, v6, vcc_lo
	s_delay_alu instid0(VALU_DEP_3) | instskip(SKIP_4) | instid1(VALU_DEP_1)
	v_cmp_ge_i32_e32 vcc_lo, v2, v7
	s_or_b32 s47, vcc_lo, s47
	s_waitcnt vmcnt(0)
	global_store_b128 v[3:4], v[10:13], off
	v_add_co_u32 v3, s2, 0x100, v3
	v_add_co_ci_u32_e64 v4, s2, 0, v4, s2
	s_and_not1_b32 exec_lo, exec_lo, s47
	s_cbranch_execnz .LBB46_69
.LBB46_70:                              ;   in Loop: Header=BB46_63 Depth=2
	s_or_b32 exec_lo, exec_lo, s46
	s_delay_alu instid0(SALU_CYCLE_1)
	s_and_b32 exec_lo, exec_lo, s1
	s_cbranch_execz .LBB46_62
; %bb.71:                               ;   in Loop: Header=BB46_63 Depth=2
	v_lshlrev_b64 v[5:6], 4, v[0:1]
	s_delay_alu instid0(VALU_DEP_1) | instskip(NEXT) | instid1(VALU_DEP_2)
	v_add_co_u32 v1, vcc_lo, s38, v5
	v_add_co_ci_u32_e32 v2, vcc_lo, s39, v6, vcc_lo
	v_add_co_u32 v5, vcc_lo, s36, v5
	v_add_co_ci_u32_e32 v6, vcc_lo, s37, v6, vcc_lo
	global_load_b128 v[1:4], v[1:2], off
	s_waitcnt vmcnt(0)
	global_store_b128 v[5:6], v[1:4], off
	s_branch .LBB46_62
.LBB46_72:
	s_nop 0
	s_sendmsg sendmsg(MSG_DEALLOC_VGPRS)
	s_endpgm
	.section	.rodata,"a",@progbits
	.p2align	6, 0x0
	.amdhsa_kernel _ZN9rocsparseL14kernel_freerunILi1024ELi16E21rocsparse_complex_numIdEiiEEvT3_S3_T2_PKS4_S6_PKS3_PKT1_21rocsparse_index_base_S6_S6_S8_PS9_SD_SC_S6_S6_S8_SD_SD_SC_SD_SD_
		.amdhsa_group_segment_fixed_size 0
		.amdhsa_private_segment_fixed_size 0
		.amdhsa_kernarg_size 168
		.amdhsa_user_sgpr_count 15
		.amdhsa_user_sgpr_dispatch_ptr 0
		.amdhsa_user_sgpr_queue_ptr 0
		.amdhsa_user_sgpr_kernarg_segment_ptr 1
		.amdhsa_user_sgpr_dispatch_id 0
		.amdhsa_user_sgpr_private_segment_size 0
		.amdhsa_wavefront_size32 1
		.amdhsa_uses_dynamic_stack 0
		.amdhsa_enable_private_segment 0
		.amdhsa_system_sgpr_workgroup_id_x 1
		.amdhsa_system_sgpr_workgroup_id_y 0
		.amdhsa_system_sgpr_workgroup_id_z 0
		.amdhsa_system_sgpr_workgroup_info 0
		.amdhsa_system_vgpr_workitem_id 0
		.amdhsa_next_free_vgpr 42
		.amdhsa_next_free_sgpr 57
		.amdhsa_reserve_vcc 1
		.amdhsa_float_round_mode_32 0
		.amdhsa_float_round_mode_16_64 0
		.amdhsa_float_denorm_mode_32 3
		.amdhsa_float_denorm_mode_16_64 3
		.amdhsa_dx10_clamp 1
		.amdhsa_ieee_mode 1
		.amdhsa_fp16_overflow 0
		.amdhsa_workgroup_processor_mode 1
		.amdhsa_memory_ordered 1
		.amdhsa_forward_progress 0
		.amdhsa_shared_vgpr_count 0
		.amdhsa_exception_fp_ieee_invalid_op 0
		.amdhsa_exception_fp_denorm_src 0
		.amdhsa_exception_fp_ieee_div_zero 0
		.amdhsa_exception_fp_ieee_overflow 0
		.amdhsa_exception_fp_ieee_underflow 0
		.amdhsa_exception_fp_ieee_inexact 0
		.amdhsa_exception_int_div_zero 0
	.end_amdhsa_kernel
	.section	.text._ZN9rocsparseL14kernel_freerunILi1024ELi16E21rocsparse_complex_numIdEiiEEvT3_S3_T2_PKS4_S6_PKS3_PKT1_21rocsparse_index_base_S6_S6_S8_PS9_SD_SC_S6_S6_S8_SD_SD_SC_SD_SD_,"axG",@progbits,_ZN9rocsparseL14kernel_freerunILi1024ELi16E21rocsparse_complex_numIdEiiEEvT3_S3_T2_PKS4_S6_PKS3_PKT1_21rocsparse_index_base_S6_S6_S8_PS9_SD_SC_S6_S6_S8_SD_SD_SC_SD_SD_,comdat
.Lfunc_end46:
	.size	_ZN9rocsparseL14kernel_freerunILi1024ELi16E21rocsparse_complex_numIdEiiEEvT3_S3_T2_PKS4_S6_PKS3_PKT1_21rocsparse_index_base_S6_S6_S8_PS9_SD_SC_S6_S6_S8_SD_SD_SC_SD_SD_, .Lfunc_end46-_ZN9rocsparseL14kernel_freerunILi1024ELi16E21rocsparse_complex_numIdEiiEEvT3_S3_T2_PKS4_S6_PKS3_PKT1_21rocsparse_index_base_S6_S6_S8_PS9_SD_SC_S6_S6_S8_SD_SD_SC_SD_SD_
                                        ; -- End function
	.section	.AMDGPU.csdata,"",@progbits
; Kernel info:
; codeLenInByte = 4192
; NumSgprs: 59
; NumVgprs: 42
; ScratchSize: 0
; MemoryBound: 1
; FloatMode: 240
; IeeeMode: 1
; LDSByteSize: 0 bytes/workgroup (compile time only)
; SGPRBlocks: 7
; VGPRBlocks: 5
; NumSGPRsForWavesPerEU: 59
; NumVGPRsForWavesPerEU: 42
; Occupancy: 16
; WaveLimiterHint : 1
; COMPUTE_PGM_RSRC2:SCRATCH_EN: 0
; COMPUTE_PGM_RSRC2:USER_SGPR: 15
; COMPUTE_PGM_RSRC2:TRAP_HANDLER: 0
; COMPUTE_PGM_RSRC2:TGID_X_EN: 1
; COMPUTE_PGM_RSRC2:TGID_Y_EN: 0
; COMPUTE_PGM_RSRC2:TGID_Z_EN: 0
; COMPUTE_PGM_RSRC2:TIDIG_COMP_CNT: 0
	.section	.text._ZN9rocsparseL14kernel_freerunILi1024ELi32E21rocsparse_complex_numIdEiiEEvT3_S3_T2_PKS4_S6_PKS3_PKT1_21rocsparse_index_base_S6_S6_S8_PS9_SD_SC_S6_S6_S8_SD_SD_SC_SD_SD_,"axG",@progbits,_ZN9rocsparseL14kernel_freerunILi1024ELi32E21rocsparse_complex_numIdEiiEEvT3_S3_T2_PKS4_S6_PKS3_PKT1_21rocsparse_index_base_S6_S6_S8_PS9_SD_SC_S6_S6_S8_SD_SD_SC_SD_SD_,comdat
	.globl	_ZN9rocsparseL14kernel_freerunILi1024ELi32E21rocsparse_complex_numIdEiiEEvT3_S3_T2_PKS4_S6_PKS3_PKT1_21rocsparse_index_base_S6_S6_S8_PS9_SD_SC_S6_S6_S8_SD_SD_SC_SD_SD_ ; -- Begin function _ZN9rocsparseL14kernel_freerunILi1024ELi32E21rocsparse_complex_numIdEiiEEvT3_S3_T2_PKS4_S6_PKS3_PKT1_21rocsparse_index_base_S6_S6_S8_PS9_SD_SC_S6_S6_S8_SD_SD_SC_SD_SD_
	.p2align	8
	.type	_ZN9rocsparseL14kernel_freerunILi1024ELi32E21rocsparse_complex_numIdEiiEEvT3_S3_T2_PKS4_S6_PKS3_PKT1_21rocsparse_index_base_S6_S6_S8_PS9_SD_SC_S6_S6_S8_SD_SD_SC_SD_SD_,@function
_ZN9rocsparseL14kernel_freerunILi1024ELi32E21rocsparse_complex_numIdEiiEEvT3_S3_T2_PKS4_S6_PKS3_PKT1_21rocsparse_index_base_S6_S6_S8_PS9_SD_SC_S6_S6_S8_SD_SD_SC_SD_SD_: ; @_ZN9rocsparseL14kernel_freerunILi1024ELi32E21rocsparse_complex_numIdEiiEEvT3_S3_T2_PKS4_S6_PKS3_PKT1_21rocsparse_index_base_S6_S6_S8_PS9_SD_SC_S6_S6_S8_SD_SD_SC_SD_SD_
; %bb.0:
	s_load_b64 s[6:7], s[0:1], 0x0
	v_lshrrev_b32_e32 v1, 5, v0
	s_lshl_b32 s44, s15, 10
	s_mov_b32 s5, 0
	s_delay_alu instid0(VALU_DEP_1) | instskip(SKIP_1) | instid1(VALU_DEP_1)
	v_or_b32_e32 v25, s44, v1
	s_waitcnt lgkmcnt(0)
	v_cmp_gt_i32_e32 vcc_lo, s7, v25
	s_cmp_gt_i32 s6, 0
	s_cselect_b32 s2, -1, 0
	s_delay_alu instid0(SALU_CYCLE_1) | instskip(NEXT) | instid1(SALU_CYCLE_1)
	s_and_b32 s2, vcc_lo, s2
	s_and_saveexec_b32 s3, s2
	s_cbranch_execz .LBB47_72
; %bb.1:
	s_clause 0x8
	s_load_b32 s33, s[0:1], 0x30
	s_load_b32 s42, s[0:1], 0x60
	s_load_b32 s43, s[0:1], 0x90
	s_load_b64 s[34:35], s[0:1], 0x88
	s_load_b64 s[40:41], s[0:1], 0x58
	s_load_b128 s[36:39], s[0:1], 0x98
	s_load_b256 s[8:15], s[0:1], 0x68
	s_load_b256 s[16:23], s[0:1], 0x38
	;; [unrolled: 1-line block ×3, first 2 shown]
	v_dual_mov_b32 v9, 0 :: v_dual_and_b32 v0, 31, v0
	s_addk_i32 s44, 0x400
	s_delay_alu instid0(SALU_CYCLE_1) | instskip(NEXT) | instid1(VALU_DEP_2)
	v_cmp_gt_u32_e64 s0, s44, v25
	v_cmp_eq_u32_e64 s1, 0, v0
	s_waitcnt lgkmcnt(0)
	v_subrev_nc_u32_e32 v26, s33, v0
	v_subrev_nc_u32_e32 v27, s42, v0
	;; [unrolled: 1-line block ×3, first 2 shown]
	s_branch .LBB47_3
.LBB47_2:                               ;   in Loop: Header=BB47_3 Depth=1
	s_or_b32 exec_lo, exec_lo, s3
	s_add_i32 s5, s5, 1
	s_delay_alu instid0(SALU_CYCLE_1)
	s_cmp_eq_u32 s5, s6
	s_cbranch_scc1 .LBB47_72
.LBB47_3:                               ; =>This Loop Header: Depth=1
                                        ;     Child Loop BB47_5 Depth 2
                                        ;       Child Loop BB47_9 Depth 3
                                        ;         Child Loop BB47_13 Depth 4
                                        ;         Child Loop BB47_43 Depth 4
	;; [unrolled: 1-line block ×3, first 2 shown]
                                        ;     Child Loop BB47_63 Depth 2
                                        ;       Child Loop BB47_66 Depth 3
                                        ;       Child Loop BB47_69 Depth 3
	s_mov_b32 s45, 0
	s_branch .LBB47_5
.LBB47_4:                               ;   in Loop: Header=BB47_5 Depth=2
	s_or_b32 exec_lo, exec_lo, s46
	s_add_i32 s45, s45, 1
	s_delay_alu instid0(SALU_CYCLE_1)
	s_cmp_eq_u32 s45, 32
	s_cbranch_scc1 .LBB47_60
.LBB47_5:                               ;   Parent Loop BB47_3 Depth=1
                                        ; =>  This Loop Header: Depth=2
                                        ;       Child Loop BB47_9 Depth 3
                                        ;         Child Loop BB47_13 Depth 4
                                        ;         Child Loop BB47_43 Depth 4
	;; [unrolled: 1-line block ×3, first 2 shown]
	v_lshl_add_u32 v10, s45, 5, v25
	s_mov_b32 s46, exec_lo
	s_delay_alu instid0(VALU_DEP_1)
	v_cmpx_gt_i32_e64 s7, v10
	s_cbranch_execz .LBB47_4
; %bb.6:                                ;   in Loop: Header=BB47_5 Depth=2
	v_ashrrev_i32_e32 v11, 31, v10
	s_delay_alu instid0(VALU_DEP_1) | instskip(NEXT) | instid1(VALU_DEP_1)
	v_lshlrev_b64 v[0:1], 2, v[10:11]
	v_add_co_u32 v2, vcc_lo, s24, v0
	s_delay_alu instid0(VALU_DEP_2)
	v_add_co_ci_u32_e32 v3, vcc_lo, s25, v1, vcc_lo
	v_add_co_u32 v4, vcc_lo, s26, v0
	v_add_co_ci_u32_e32 v5, vcc_lo, s27, v1, vcc_lo
	global_load_b32 v2, v[2:3], off
	global_load_b32 v3, v[4:5], off
	s_waitcnt vmcnt(1)
	v_add_nc_u32_e32 v11, v26, v2
	s_waitcnt vmcnt(0)
	v_subrev_nc_u32_e32 v29, s33, v3
	s_delay_alu instid0(VALU_DEP_1)
	v_cmp_lt_i32_e32 vcc_lo, v11, v29
	s_and_b32 exec_lo, exec_lo, vcc_lo
	s_cbranch_execz .LBB47_4
; %bb.7:                                ;   in Loop: Header=BB47_5 Depth=2
	v_add_co_u32 v2, vcc_lo, s16, v0
	v_add_co_ci_u32_e32 v3, vcc_lo, s17, v1, vcc_lo
	v_add_co_u32 v0, vcc_lo, s18, v0
	v_add_co_ci_u32_e32 v1, vcc_lo, s19, v1, vcc_lo
	global_load_b32 v2, v[2:3], off
	s_mov_b32 s47, 0
	global_load_b32 v3, v[0:1], off
	s_waitcnt vmcnt(1)
	v_subrev_nc_u32_e32 v13, s42, v2
	s_waitcnt vmcnt(0)
	v_sub_nc_u32_e32 v30, v3, v2
	s_delay_alu instid0(VALU_DEP_2) | instskip(NEXT) | instid1(VALU_DEP_2)
	v_ashrrev_i32_e32 v14, 31, v13
	v_cmp_lt_i32_e64 s2, 0, v30
	s_delay_alu instid0(VALU_DEP_2) | instskip(SKIP_1) | instid1(VALU_DEP_2)
	v_lshlrev_b64 v[0:1], 2, v[13:14]
	v_lshlrev_b64 v[2:3], 4, v[13:14]
	v_add_co_u32 v31, vcc_lo, s20, v0
	s_delay_alu instid0(VALU_DEP_3) | instskip(NEXT) | instid1(VALU_DEP_3)
	v_add_co_ci_u32_e32 v32, vcc_lo, s21, v1, vcc_lo
	v_add_co_u32 v33, vcc_lo, s22, v2
	s_delay_alu instid0(VALU_DEP_4)
	v_add_co_ci_u32_e32 v34, vcc_lo, s23, v3, vcc_lo
	s_branch .LBB47_9
.LBB47_8:                               ;   in Loop: Header=BB47_9 Depth=3
	s_or_b32 exec_lo, exec_lo, s4
	v_add_nc_u32_e32 v11, 32, v11
	s_delay_alu instid0(VALU_DEP_1) | instskip(SKIP_1) | instid1(SALU_CYCLE_1)
	v_cmp_ge_i32_e32 vcc_lo, v11, v29
	s_or_b32 s47, vcc_lo, s47
	s_and_not1_b32 exec_lo, exec_lo, s47
	s_cbranch_execz .LBB47_4
.LBB47_9:                               ;   Parent Loop BB47_3 Depth=1
                                        ;     Parent Loop BB47_5 Depth=2
                                        ; =>    This Loop Header: Depth=3
                                        ;         Child Loop BB47_13 Depth 4
                                        ;         Child Loop BB47_43 Depth 4
	;; [unrolled: 1-line block ×3, first 2 shown]
	v_ashrrev_i32_e32 v12, 31, v11
	v_mov_b32_e32 v18, 0
	v_mov_b32_e32 v8, 0
	s_delay_alu instid0(VALU_DEP_3) | instskip(NEXT) | instid1(VALU_DEP_1)
	v_lshlrev_b64 v[0:1], 2, v[11:12]
	v_add_co_u32 v0, vcc_lo, s28, v0
	s_delay_alu instid0(VALU_DEP_2) | instskip(SKIP_3) | instid1(VALU_DEP_1)
	v_add_co_ci_u32_e32 v1, vcc_lo, s29, v1, vcc_lo
	global_load_b32 v0, v[0:1], off
	s_waitcnt vmcnt(0)
	v_subrev_nc_u32_e32 v14, s33, v0
	v_ashrrev_i32_e32 v15, 31, v14
	s_delay_alu instid0(VALU_DEP_1) | instskip(NEXT) | instid1(VALU_DEP_1)
	v_lshlrev_b64 v[0:1], 2, v[14:15]
	v_add_co_u32 v2, vcc_lo, s8, v0
	s_delay_alu instid0(VALU_DEP_2)
	v_add_co_ci_u32_e32 v3, vcc_lo, s9, v1, vcc_lo
	v_add_co_u32 v0, vcc_lo, s10, v0
	v_add_co_ci_u32_e32 v1, vcc_lo, s11, v1, vcc_lo
	global_load_b32 v4, v[2:3], off
	global_load_b32 v5, v[0:1], off
	v_mov_b32_e32 v0, 0
	v_mov_b32_e32 v1, 0
	s_delay_alu instid0(VALU_DEP_1)
	v_dual_mov_b32 v3, v1 :: v_dual_mov_b32 v2, v0
	s_waitcnt vmcnt(1)
	v_subrev_nc_u32_e32 v16, s43, v4
	s_waitcnt vmcnt(0)
	v_sub_nc_u32_e32 v35, v5, v4
	s_and_saveexec_b32 s4, s2
	s_cbranch_execz .LBB47_17
; %bb.10:                               ;   in Loop: Header=BB47_9 Depth=3
	v_ashrrev_i32_e32 v17, 31, v16
	v_mov_b32_e32 v0, 0
	v_dual_mov_b32 v18, 0 :: v_dual_mov_b32 v1, 0
	s_mov_b32 s48, 0
	s_delay_alu instid0(VALU_DEP_3) | instskip(SKIP_1) | instid1(VALU_DEP_3)
	v_lshlrev_b64 v[2:3], 2, v[16:17]
	v_lshlrev_b64 v[6:7], 4, v[16:17]
	v_mov_b32_e32 v8, v18
                                        ; implicit-def: $sgpr49
	s_delay_alu instid0(VALU_DEP_3) | instskip(NEXT) | instid1(VALU_DEP_4)
	v_add_co_u32 v4, vcc_lo, s12, v2
	v_add_co_ci_u32_e32 v5, vcc_lo, s13, v3, vcc_lo
	v_mov_b32_e32 v3, v1
	v_add_co_u32 v6, vcc_lo, s14, v6
	v_add_co_ci_u32_e32 v7, vcc_lo, s15, v7, vcc_lo
	v_mov_b32_e32 v2, v0
	s_branch .LBB47_13
.LBB47_11:                              ;   in Loop: Header=BB47_13 Depth=4
	s_or_b32 exec_lo, exec_lo, s3
	v_cmp_le_i32_e32 vcc_lo, v17, v20
	v_cmp_ge_i32_e64 s3, v17, v20
	v_add_co_ci_u32_e32 v8, vcc_lo, 0, v8, vcc_lo
	s_delay_alu instid0(VALU_DEP_2) | instskip(SKIP_1) | instid1(VALU_DEP_2)
	v_add_co_ci_u32_e64 v18, s3, 0, v18, s3
	s_and_not1_b32 s3, s49, exec_lo
	v_cmp_ge_i32_e32 vcc_lo, v8, v30
	s_and_b32 s49, vcc_lo, exec_lo
	s_delay_alu instid0(SALU_CYCLE_1)
	s_or_b32 s49, s3, s49
.LBB47_12:                              ;   in Loop: Header=BB47_13 Depth=4
	s_or_b32 exec_lo, exec_lo, s50
	s_delay_alu instid0(SALU_CYCLE_1) | instskip(NEXT) | instid1(SALU_CYCLE_1)
	s_and_b32 s3, exec_lo, s49
	s_or_b32 s48, s3, s48
	s_delay_alu instid0(SALU_CYCLE_1)
	s_and_not1_b32 exec_lo, exec_lo, s48
	s_cbranch_execz .LBB47_16
.LBB47_13:                              ;   Parent Loop BB47_3 Depth=1
                                        ;     Parent Loop BB47_5 Depth=2
                                        ;       Parent Loop BB47_9 Depth=3
                                        ; =>      This Inner Loop Header: Depth=4
	s_or_b32 s49, s49, exec_lo
	s_mov_b32 s50, exec_lo
	v_cmpx_lt_i32_e64 v18, v35
	s_cbranch_execz .LBB47_12
; %bb.14:                               ;   in Loop: Header=BB47_13 Depth=4
	v_mov_b32_e32 v19, v9
	v_lshlrev_b64 v[20:21], 2, v[8:9]
	s_mov_b32 s3, exec_lo
	s_delay_alu instid0(VALU_DEP_2) | instskip(NEXT) | instid1(VALU_DEP_2)
	v_lshlrev_b64 v[22:23], 2, v[18:19]
	v_add_co_u32 v20, vcc_lo, v31, v20
	s_delay_alu instid0(VALU_DEP_3) | instskip(NEXT) | instid1(VALU_DEP_3)
	v_add_co_ci_u32_e32 v21, vcc_lo, v32, v21, vcc_lo
	v_add_co_u32 v22, vcc_lo, v4, v22
	s_delay_alu instid0(VALU_DEP_4)
	v_add_co_ci_u32_e32 v23, vcc_lo, v5, v23, vcc_lo
	global_load_b32 v17, v[20:21], off
	global_load_b32 v20, v[22:23], off
	s_waitcnt vmcnt(1)
	v_subrev_nc_u32_e32 v17, s42, v17
	s_waitcnt vmcnt(0)
	v_subrev_nc_u32_e32 v20, s43, v20
	s_delay_alu instid0(VALU_DEP_1)
	v_cmpx_eq_u32_e64 v17, v20
	s_cbranch_execz .LBB47_11
; %bb.15:                               ;   in Loop: Header=BB47_13 Depth=4
	v_lshlrev_b64 v[21:22], 4, v[8:9]
	v_lshlrev_b64 v[23:24], 4, v[18:19]
	s_delay_alu instid0(VALU_DEP_2) | instskip(NEXT) | instid1(VALU_DEP_3)
	v_add_co_u32 v21, vcc_lo, v33, v21
	v_add_co_ci_u32_e32 v22, vcc_lo, v34, v22, vcc_lo
	s_delay_alu instid0(VALU_DEP_3) | instskip(NEXT) | instid1(VALU_DEP_4)
	v_add_co_u32 v36, vcc_lo, v6, v23
	v_add_co_ci_u32_e32 v37, vcc_lo, v7, v24, vcc_lo
	global_load_b128 v[21:24], v[21:22], off
	global_load_b128 v[36:39], v[36:37], off
	s_waitcnt vmcnt(0)
	v_fma_f64 v[0:1], v[21:22], v[36:37], v[0:1]
	v_fma_f64 v[2:3], v[23:24], v[36:37], v[2:3]
	s_delay_alu instid0(VALU_DEP_2) | instskip(NEXT) | instid1(VALU_DEP_2)
	v_fma_f64 v[0:1], -v[23:24], v[38:39], v[0:1]
	v_fma_f64 v[2:3], v[21:22], v[38:39], v[2:3]
	s_branch .LBB47_11
.LBB47_16:                              ;   in Loop: Header=BB47_9 Depth=3
	s_or_b32 exec_lo, exec_lo, s48
.LBB47_17:                              ;   in Loop: Header=BB47_9 Depth=3
	s_delay_alu instid0(SALU_CYCLE_1) | instskip(SKIP_3) | instid1(VALU_DEP_2)
	s_or_b32 exec_lo, exec_lo, s4
	v_lshlrev_b64 v[4:5], 4, v[11:12]
	v_cmp_le_i32_e64 s3, v10, v14
	s_mov_b32 s4, exec_lo
	v_add_co_u32 v4, vcc_lo, s30, v4
	s_delay_alu instid0(VALU_DEP_3)
	v_add_co_ci_u32_e32 v5, vcc_lo, s31, v5, vcc_lo
	global_load_b128 v[4:7], v[4:5], off
	s_waitcnt vmcnt(0)
	v_add_f64 v[0:1], v[4:5], -v[0:1]
	v_add_f64 v[2:3], v[6:7], -v[2:3]
	v_cmpx_gt_i32_e64 v10, v14
	s_cbranch_execz .LBB47_27
; %bb.18:                               ;   in Loop: Header=BB47_9 Depth=3
	v_lshlrev_b64 v[4:5], 4, v[14:15]
	s_mov_b32 s48, exec_lo
                                        ; implicit-def: $vgpr23_vgpr24
	s_delay_alu instid0(VALU_DEP_1) | instskip(NEXT) | instid1(VALU_DEP_2)
	v_add_co_u32 v4, vcc_lo, s36, v4
	v_add_co_ci_u32_e32 v5, vcc_lo, s37, v5, vcc_lo
	global_load_b128 v[4:7], v[4:5], off
	s_waitcnt vmcnt(0)
	v_cmp_gt_f64_e32 vcc_lo, 0, v[4:5]
	v_xor_b32_e32 v12, 0x80000000, v5
	v_mov_b32_e32 v19, v4
	v_xor_b32_e32 v17, 0x80000000, v7
	s_delay_alu instid0(VALU_DEP_3) | instskip(SKIP_1) | instid1(VALU_DEP_3)
	v_dual_mov_b32 v21, v6 :: v_dual_cndmask_b32 v20, v5, v12
	v_cmp_gt_f64_e32 vcc_lo, 0, v[6:7]
	v_cndmask_b32_e32 v22, v7, v17, vcc_lo
	s_delay_alu instid0(VALU_DEP_1)
	v_cmpx_ngt_f64_e32 v[19:20], v[21:22]
	s_xor_b32 s48, exec_lo, s48
	s_cbranch_execz .LBB47_22
; %bb.19:                               ;   in Loop: Header=BB47_9 Depth=3
	v_mov_b32_e32 v23, 0
	v_mov_b32_e32 v24, 0
	s_mov_b32 s49, exec_lo
	v_cmpx_neq_f64_e32 0, v[6:7]
	s_cbranch_execz .LBB47_21
; %bb.20:                               ;   in Loop: Header=BB47_9 Depth=3
	v_div_scale_f64 v[23:24], null, v[21:22], v[21:22], v[19:20]
	v_div_scale_f64 v[40:41], vcc_lo, v[19:20], v[21:22], v[19:20]
	s_delay_alu instid0(VALU_DEP_2) | instskip(SKIP_2) | instid1(VALU_DEP_1)
	v_rcp_f64_e32 v[36:37], v[23:24]
	s_waitcnt_depctr 0xfff
	v_fma_f64 v[38:39], -v[23:24], v[36:37], 1.0
	v_fma_f64 v[36:37], v[36:37], v[38:39], v[36:37]
	s_delay_alu instid0(VALU_DEP_1) | instskip(NEXT) | instid1(VALU_DEP_1)
	v_fma_f64 v[38:39], -v[23:24], v[36:37], 1.0
	v_fma_f64 v[36:37], v[36:37], v[38:39], v[36:37]
	s_delay_alu instid0(VALU_DEP_1) | instskip(NEXT) | instid1(VALU_DEP_1)
	v_mul_f64 v[38:39], v[40:41], v[36:37]
	v_fma_f64 v[23:24], -v[23:24], v[38:39], v[40:41]
	s_delay_alu instid0(VALU_DEP_1) | instskip(NEXT) | instid1(VALU_DEP_1)
	v_div_fmas_f64 v[23:24], v[23:24], v[36:37], v[38:39]
	v_div_fixup_f64 v[19:20], v[23:24], v[21:22], v[19:20]
	s_delay_alu instid0(VALU_DEP_1) | instskip(NEXT) | instid1(VALU_DEP_1)
	v_fma_f64 v[19:20], v[19:20], v[19:20], 1.0
	v_cmp_gt_f64_e32 vcc_lo, 0x10000000, v[19:20]
	v_cndmask_b32_e64 v12, 0, 1, vcc_lo
	s_delay_alu instid0(VALU_DEP_1) | instskip(NEXT) | instid1(VALU_DEP_1)
	v_lshlrev_b32_e32 v12, 8, v12
	v_ldexp_f64 v[19:20], v[19:20], v12
	v_cndmask_b32_e64 v12, 0, 0xffffff80, vcc_lo
	s_delay_alu instid0(VALU_DEP_2) | instskip(SKIP_4) | instid1(VALU_DEP_1)
	v_rsq_f64_e32 v[23:24], v[19:20]
	v_cmp_class_f64_e64 vcc_lo, v[19:20], 0x260
	s_waitcnt_depctr 0xfff
	v_mul_f64 v[36:37], v[19:20], v[23:24]
	v_mul_f64 v[23:24], v[23:24], 0.5
	v_fma_f64 v[38:39], -v[23:24], v[36:37], 0.5
	s_delay_alu instid0(VALU_DEP_1) | instskip(SKIP_1) | instid1(VALU_DEP_2)
	v_fma_f64 v[36:37], v[36:37], v[38:39], v[36:37]
	v_fma_f64 v[23:24], v[23:24], v[38:39], v[23:24]
	v_fma_f64 v[38:39], -v[36:37], v[36:37], v[19:20]
	s_delay_alu instid0(VALU_DEP_1) | instskip(NEXT) | instid1(VALU_DEP_1)
	v_fma_f64 v[36:37], v[38:39], v[23:24], v[36:37]
	v_fma_f64 v[38:39], -v[36:37], v[36:37], v[19:20]
	s_delay_alu instid0(VALU_DEP_1) | instskip(NEXT) | instid1(VALU_DEP_1)
	v_fma_f64 v[23:24], v[38:39], v[23:24], v[36:37]
	v_ldexp_f64 v[23:24], v[23:24], v12
	s_delay_alu instid0(VALU_DEP_1) | instskip(NEXT) | instid1(VALU_DEP_1)
	v_dual_cndmask_b32 v19, v23, v19 :: v_dual_cndmask_b32 v20, v24, v20
	v_mul_f64 v[23:24], v[21:22], v[19:20]
.LBB47_21:                              ;   in Loop: Header=BB47_9 Depth=3
	s_or_b32 exec_lo, exec_lo, s49
                                        ; implicit-def: $vgpr19_vgpr20
                                        ; implicit-def: $vgpr21_vgpr22
.LBB47_22:                              ;   in Loop: Header=BB47_9 Depth=3
	s_and_not1_saveexec_b32 s48, s48
	s_cbranch_execz .LBB47_24
; %bb.23:                               ;   in Loop: Header=BB47_9 Depth=3
	v_div_scale_f64 v[23:24], null, v[19:20], v[19:20], v[21:22]
	v_div_scale_f64 v[40:41], vcc_lo, v[21:22], v[19:20], v[21:22]
	s_delay_alu instid0(VALU_DEP_2) | instskip(SKIP_2) | instid1(VALU_DEP_1)
	v_rcp_f64_e32 v[36:37], v[23:24]
	s_waitcnt_depctr 0xfff
	v_fma_f64 v[38:39], -v[23:24], v[36:37], 1.0
	v_fma_f64 v[36:37], v[36:37], v[38:39], v[36:37]
	s_delay_alu instid0(VALU_DEP_1) | instskip(NEXT) | instid1(VALU_DEP_1)
	v_fma_f64 v[38:39], -v[23:24], v[36:37], 1.0
	v_fma_f64 v[36:37], v[36:37], v[38:39], v[36:37]
	s_delay_alu instid0(VALU_DEP_1) | instskip(NEXT) | instid1(VALU_DEP_1)
	v_mul_f64 v[38:39], v[40:41], v[36:37]
	v_fma_f64 v[23:24], -v[23:24], v[38:39], v[40:41]
	s_delay_alu instid0(VALU_DEP_1) | instskip(NEXT) | instid1(VALU_DEP_1)
	v_div_fmas_f64 v[23:24], v[23:24], v[36:37], v[38:39]
	v_div_fixup_f64 v[21:22], v[23:24], v[19:20], v[21:22]
	s_delay_alu instid0(VALU_DEP_1) | instskip(NEXT) | instid1(VALU_DEP_1)
	v_fma_f64 v[21:22], v[21:22], v[21:22], 1.0
	v_cmp_gt_f64_e32 vcc_lo, 0x10000000, v[21:22]
	v_cndmask_b32_e64 v12, 0, 1, vcc_lo
	s_delay_alu instid0(VALU_DEP_1) | instskip(NEXT) | instid1(VALU_DEP_1)
	v_lshlrev_b32_e32 v12, 8, v12
	v_ldexp_f64 v[21:22], v[21:22], v12
	v_cndmask_b32_e64 v12, 0, 0xffffff80, vcc_lo
	s_delay_alu instid0(VALU_DEP_2) | instskip(SKIP_4) | instid1(VALU_DEP_1)
	v_rsq_f64_e32 v[23:24], v[21:22]
	v_cmp_class_f64_e64 vcc_lo, v[21:22], 0x260
	s_waitcnt_depctr 0xfff
	v_mul_f64 v[36:37], v[21:22], v[23:24]
	v_mul_f64 v[23:24], v[23:24], 0.5
	v_fma_f64 v[38:39], -v[23:24], v[36:37], 0.5
	s_delay_alu instid0(VALU_DEP_1) | instskip(SKIP_1) | instid1(VALU_DEP_2)
	v_fma_f64 v[36:37], v[36:37], v[38:39], v[36:37]
	v_fma_f64 v[23:24], v[23:24], v[38:39], v[23:24]
	v_fma_f64 v[38:39], -v[36:37], v[36:37], v[21:22]
	s_delay_alu instid0(VALU_DEP_1) | instskip(NEXT) | instid1(VALU_DEP_1)
	v_fma_f64 v[36:37], v[38:39], v[23:24], v[36:37]
	v_fma_f64 v[38:39], -v[36:37], v[36:37], v[21:22]
	s_delay_alu instid0(VALU_DEP_1) | instskip(NEXT) | instid1(VALU_DEP_1)
	v_fma_f64 v[23:24], v[38:39], v[23:24], v[36:37]
	v_ldexp_f64 v[23:24], v[23:24], v12
	s_delay_alu instid0(VALU_DEP_1) | instskip(NEXT) | instid1(VALU_DEP_1)
	v_dual_cndmask_b32 v21, v23, v21 :: v_dual_cndmask_b32 v22, v24, v22
	v_mul_f64 v[23:24], v[19:20], v[21:22]
.LBB47_24:                              ;   in Loop: Header=BB47_9 Depth=3
	s_or_b32 exec_lo, exec_lo, s48
	v_mov_b32_e32 v19, 0
	v_mov_b32_e32 v20, 0
	s_mov_b32 s48, exec_lo
	s_delay_alu instid0(VALU_DEP_1) | instskip(NEXT) | instid1(VALU_DEP_4)
	v_dual_mov_b32 v22, v20 :: v_dual_mov_b32 v21, v19
	v_cmpx_lt_f64_e32 0, v[23:24]
	s_cbranch_execz .LBB47_26
; %bb.25:                               ;   in Loop: Header=BB47_9 Depth=3
	v_mul_f64 v[19:20], v[6:7], v[6:7]
	s_delay_alu instid0(VALU_DEP_1) | instskip(NEXT) | instid1(VALU_DEP_1)
	v_fma_f64 v[19:20], v[4:5], v[4:5], v[19:20]
	v_div_scale_f64 v[21:22], null, v[19:20], v[19:20], 1.0
	v_div_scale_f64 v[38:39], vcc_lo, 1.0, v[19:20], 1.0
	s_delay_alu instid0(VALU_DEP_2) | instskip(SKIP_2) | instid1(VALU_DEP_1)
	v_rcp_f64_e32 v[23:24], v[21:22]
	s_waitcnt_depctr 0xfff
	v_fma_f64 v[36:37], -v[21:22], v[23:24], 1.0
	v_fma_f64 v[23:24], v[23:24], v[36:37], v[23:24]
	s_delay_alu instid0(VALU_DEP_1) | instskip(NEXT) | instid1(VALU_DEP_1)
	v_fma_f64 v[36:37], -v[21:22], v[23:24], 1.0
	v_fma_f64 v[23:24], v[23:24], v[36:37], v[23:24]
	s_delay_alu instid0(VALU_DEP_1) | instskip(NEXT) | instid1(VALU_DEP_1)
	v_mul_f64 v[36:37], v[38:39], v[23:24]
	v_fma_f64 v[21:22], -v[21:22], v[36:37], v[38:39]
	v_mul_f64 v[38:39], v[2:3], v[6:7]
	v_mul_f64 v[6:7], v[6:7], -v[0:1]
	s_delay_alu instid0(VALU_DEP_3) | instskip(NEXT) | instid1(VALU_DEP_3)
	v_div_fmas_f64 v[21:22], v[21:22], v[23:24], v[36:37]
	v_fma_f64 v[0:1], v[0:1], v[4:5], v[38:39]
	s_delay_alu instid0(VALU_DEP_3) | instskip(NEXT) | instid1(VALU_DEP_3)
	v_fma_f64 v[2:3], v[2:3], v[4:5], v[6:7]
	v_div_fixup_f64 v[21:22], v[21:22], v[19:20], 1.0
	s_delay_alu instid0(VALU_DEP_1) | instskip(NEXT) | instid1(VALU_DEP_3)
	v_mul_f64 v[19:20], v[0:1], v[21:22]
	v_mul_f64 v[21:22], v[2:3], v[21:22]
.LBB47_26:                              ;   in Loop: Header=BB47_9 Depth=3
	s_or_b32 exec_lo, exec_lo, s48
	s_delay_alu instid0(VALU_DEP_2) | instskip(NEXT) | instid1(VALU_DEP_2)
	v_dual_mov_b32 v0, v19 :: v_dual_mov_b32 v1, v20
	v_dual_mov_b32 v2, v21 :: v_dual_mov_b32 v3, v22
.LBB47_27:                              ;   in Loop: Header=BB47_9 Depth=3
	s_or_b32 exec_lo, exec_lo, s4
	s_delay_alu instid0(VALU_DEP_2) | instskip(NEXT) | instid1(VALU_DEP_2)
	v_cmp_gt_f64_e32 vcc_lo, 0, v[0:1]
	v_cmp_gt_f64_e64 s4, 0, v[2:3]
	v_xor_b32_e32 v4, 0x80000000, v1
	v_xor_b32_e32 v6, 0x80000000, v3
                                        ; implicit-def: $vgpr19_vgpr20
	s_delay_alu instid0(VALU_DEP_2) | instskip(NEXT) | instid1(VALU_DEP_2)
	v_cndmask_b32_e32 v5, v1, v4, vcc_lo
	v_cndmask_b32_e64 v7, v3, v6, s4
	v_cndmask_b32_e32 v4, v0, v0, vcc_lo
	v_cndmask_b32_e64 v6, v2, v2, s4
	s_mov_b32 s4, exec_lo
	s_delay_alu instid0(VALU_DEP_1)
	v_cmpx_ngt_f64_e32 v[4:5], v[6:7]
	s_xor_b32 s4, exec_lo, s4
	s_cbranch_execnz .LBB47_30
; %bb.28:                               ;   in Loop: Header=BB47_9 Depth=3
	s_and_not1_saveexec_b32 s4, s4
	s_cbranch_execnz .LBB47_33
.LBB47_29:                              ;   in Loop: Header=BB47_9 Depth=3
	s_or_b32 exec_lo, exec_lo, s4
	s_delay_alu instid0(VALU_DEP_1) | instskip(NEXT) | instid1(VALU_DEP_1)
	v_cmp_class_f64_e64 s48, v[19:20], 0x1f8
	s_and_saveexec_b32 s4, s48
	s_cbranch_execz .LBB47_8
	s_branch .LBB47_34
.LBB47_30:                              ;   in Loop: Header=BB47_9 Depth=3
	v_mov_b32_e32 v19, 0
	v_mov_b32_e32 v20, 0
	s_mov_b32 s48, exec_lo
	v_cmpx_neq_f64_e32 0, v[2:3]
	s_cbranch_execz .LBB47_32
; %bb.31:                               ;   in Loop: Header=BB47_9 Depth=3
	v_div_scale_f64 v[19:20], null, v[6:7], v[6:7], v[4:5]
	v_div_scale_f64 v[36:37], vcc_lo, v[4:5], v[6:7], v[4:5]
	s_delay_alu instid0(VALU_DEP_2) | instskip(SKIP_2) | instid1(VALU_DEP_1)
	v_rcp_f64_e32 v[21:22], v[19:20]
	s_waitcnt_depctr 0xfff
	v_fma_f64 v[23:24], -v[19:20], v[21:22], 1.0
	v_fma_f64 v[21:22], v[21:22], v[23:24], v[21:22]
	s_delay_alu instid0(VALU_DEP_1) | instskip(NEXT) | instid1(VALU_DEP_1)
	v_fma_f64 v[23:24], -v[19:20], v[21:22], 1.0
	v_fma_f64 v[21:22], v[21:22], v[23:24], v[21:22]
	s_delay_alu instid0(VALU_DEP_1) | instskip(NEXT) | instid1(VALU_DEP_1)
	v_mul_f64 v[23:24], v[36:37], v[21:22]
	v_fma_f64 v[19:20], -v[19:20], v[23:24], v[36:37]
	s_delay_alu instid0(VALU_DEP_1) | instskip(NEXT) | instid1(VALU_DEP_1)
	v_div_fmas_f64 v[19:20], v[19:20], v[21:22], v[23:24]
	v_div_fixup_f64 v[4:5], v[19:20], v[6:7], v[4:5]
	s_delay_alu instid0(VALU_DEP_1) | instskip(NEXT) | instid1(VALU_DEP_1)
	v_fma_f64 v[4:5], v[4:5], v[4:5], 1.0
	v_cmp_gt_f64_e32 vcc_lo, 0x10000000, v[4:5]
	v_cndmask_b32_e64 v12, 0, 1, vcc_lo
	s_delay_alu instid0(VALU_DEP_1) | instskip(NEXT) | instid1(VALU_DEP_1)
	v_lshlrev_b32_e32 v12, 8, v12
	v_ldexp_f64 v[4:5], v[4:5], v12
	v_cndmask_b32_e64 v12, 0, 0xffffff80, vcc_lo
	s_delay_alu instid0(VALU_DEP_2) | instskip(SKIP_4) | instid1(VALU_DEP_1)
	v_rsq_f64_e32 v[19:20], v[4:5]
	v_cmp_class_f64_e64 vcc_lo, v[4:5], 0x260
	s_waitcnt_depctr 0xfff
	v_mul_f64 v[21:22], v[4:5], v[19:20]
	v_mul_f64 v[19:20], v[19:20], 0.5
	v_fma_f64 v[23:24], -v[19:20], v[21:22], 0.5
	s_delay_alu instid0(VALU_DEP_1) | instskip(SKIP_1) | instid1(VALU_DEP_2)
	v_fma_f64 v[21:22], v[21:22], v[23:24], v[21:22]
	v_fma_f64 v[19:20], v[19:20], v[23:24], v[19:20]
	v_fma_f64 v[23:24], -v[21:22], v[21:22], v[4:5]
	s_delay_alu instid0(VALU_DEP_1) | instskip(NEXT) | instid1(VALU_DEP_1)
	v_fma_f64 v[21:22], v[23:24], v[19:20], v[21:22]
	v_fma_f64 v[23:24], -v[21:22], v[21:22], v[4:5]
	s_delay_alu instid0(VALU_DEP_1) | instskip(NEXT) | instid1(VALU_DEP_1)
	v_fma_f64 v[19:20], v[23:24], v[19:20], v[21:22]
	v_ldexp_f64 v[19:20], v[19:20], v12
	s_delay_alu instid0(VALU_DEP_1) | instskip(NEXT) | instid1(VALU_DEP_1)
	v_dual_cndmask_b32 v5, v20, v5 :: v_dual_cndmask_b32 v4, v19, v4
	v_mul_f64 v[19:20], v[6:7], v[4:5]
.LBB47_32:                              ;   in Loop: Header=BB47_9 Depth=3
	s_or_b32 exec_lo, exec_lo, s48
                                        ; implicit-def: $vgpr4_vgpr5
                                        ; implicit-def: $vgpr6_vgpr7
	s_and_not1_saveexec_b32 s4, s4
	s_cbranch_execz .LBB47_29
.LBB47_33:                              ;   in Loop: Header=BB47_9 Depth=3
	v_div_scale_f64 v[19:20], null, v[4:5], v[4:5], v[6:7]
	v_div_scale_f64 v[36:37], vcc_lo, v[6:7], v[4:5], v[6:7]
	s_delay_alu instid0(VALU_DEP_2) | instskip(SKIP_2) | instid1(VALU_DEP_1)
	v_rcp_f64_e32 v[21:22], v[19:20]
	s_waitcnt_depctr 0xfff
	v_fma_f64 v[23:24], -v[19:20], v[21:22], 1.0
	v_fma_f64 v[21:22], v[21:22], v[23:24], v[21:22]
	s_delay_alu instid0(VALU_DEP_1) | instskip(NEXT) | instid1(VALU_DEP_1)
	v_fma_f64 v[23:24], -v[19:20], v[21:22], 1.0
	v_fma_f64 v[21:22], v[21:22], v[23:24], v[21:22]
	s_delay_alu instid0(VALU_DEP_1) | instskip(NEXT) | instid1(VALU_DEP_1)
	v_mul_f64 v[23:24], v[36:37], v[21:22]
	v_fma_f64 v[19:20], -v[19:20], v[23:24], v[36:37]
	s_delay_alu instid0(VALU_DEP_1) | instskip(NEXT) | instid1(VALU_DEP_1)
	v_div_fmas_f64 v[19:20], v[19:20], v[21:22], v[23:24]
	v_div_fixup_f64 v[6:7], v[19:20], v[4:5], v[6:7]
	s_delay_alu instid0(VALU_DEP_1) | instskip(NEXT) | instid1(VALU_DEP_1)
	v_fma_f64 v[6:7], v[6:7], v[6:7], 1.0
	v_cmp_gt_f64_e32 vcc_lo, 0x10000000, v[6:7]
	v_cndmask_b32_e64 v12, 0, 1, vcc_lo
	s_delay_alu instid0(VALU_DEP_1) | instskip(NEXT) | instid1(VALU_DEP_1)
	v_lshlrev_b32_e32 v12, 8, v12
	v_ldexp_f64 v[6:7], v[6:7], v12
	v_cndmask_b32_e64 v12, 0, 0xffffff80, vcc_lo
	s_delay_alu instid0(VALU_DEP_2) | instskip(SKIP_4) | instid1(VALU_DEP_1)
	v_rsq_f64_e32 v[19:20], v[6:7]
	v_cmp_class_f64_e64 vcc_lo, v[6:7], 0x260
	s_waitcnt_depctr 0xfff
	v_mul_f64 v[21:22], v[6:7], v[19:20]
	v_mul_f64 v[19:20], v[19:20], 0.5
	v_fma_f64 v[23:24], -v[19:20], v[21:22], 0.5
	s_delay_alu instid0(VALU_DEP_1) | instskip(SKIP_1) | instid1(VALU_DEP_2)
	v_fma_f64 v[21:22], v[21:22], v[23:24], v[21:22]
	v_fma_f64 v[19:20], v[19:20], v[23:24], v[19:20]
	v_fma_f64 v[23:24], -v[21:22], v[21:22], v[6:7]
	s_delay_alu instid0(VALU_DEP_1) | instskip(NEXT) | instid1(VALU_DEP_1)
	v_fma_f64 v[21:22], v[23:24], v[19:20], v[21:22]
	v_fma_f64 v[23:24], -v[21:22], v[21:22], v[6:7]
	s_delay_alu instid0(VALU_DEP_1) | instskip(NEXT) | instid1(VALU_DEP_1)
	v_fma_f64 v[19:20], v[23:24], v[19:20], v[21:22]
	v_ldexp_f64 v[19:20], v[19:20], v12
	s_delay_alu instid0(VALU_DEP_1) | instskip(NEXT) | instid1(VALU_DEP_1)
	v_dual_cndmask_b32 v7, v20, v7 :: v_dual_cndmask_b32 v6, v19, v6
	v_mul_f64 v[19:20], v[4:5], v[6:7]
	s_or_b32 exec_lo, exec_lo, s4
	s_delay_alu instid0(VALU_DEP_1) | instskip(NEXT) | instid1(VALU_DEP_1)
	v_cmp_class_f64_e64 s48, v[19:20], 0x1f8
	s_and_saveexec_b32 s4, s48
	s_cbranch_execz .LBB47_8
.LBB47_34:                              ;   in Loop: Header=BB47_9 Depth=3
	s_mov_b32 s48, 0
                                        ; implicit-def: $vgpr4_vgpr5
	s_and_saveexec_b32 s49, s3
	s_delay_alu instid0(SALU_CYCLE_1)
	s_xor_b32 s3, exec_lo, s49
	s_cbranch_execnz .LBB47_37
; %bb.35:                               ;   in Loop: Header=BB47_9 Depth=3
	s_and_not1_saveexec_b32 s3, s3
	s_cbranch_execnz .LBB47_50
.LBB47_36:                              ;   in Loop: Header=BB47_9 Depth=3
	s_or_b32 exec_lo, exec_lo, s3
	s_delay_alu instid0(SALU_CYCLE_1)
	s_and_b32 exec_lo, exec_lo, s48
	s_cbranch_execz .LBB47_8
	s_branch .LBB47_59
.LBB47_37:                              ;   in Loop: Header=BB47_9 Depth=3
	s_mov_b32 s49, exec_lo
                                        ; implicit-def: $vgpr4_vgpr5
	v_cmpx_ge_i32_e64 v10, v14
	s_xor_b32 s49, exec_lo, s49
; %bb.38:                               ;   in Loop: Header=BB47_9 Depth=3
	v_lshlrev_b64 v[4:5], 4, v[14:15]
	s_mov_b32 s48, exec_lo
                                        ; implicit-def: $vgpr18
                                        ; implicit-def: $vgpr35
                                        ; implicit-def: $vgpr16
	s_delay_alu instid0(VALU_DEP_1) | instskip(NEXT) | instid1(VALU_DEP_2)
	v_add_co_u32 v4, vcc_lo, s38, v4
	v_add_co_ci_u32_e32 v5, vcc_lo, s39, v5, vcc_lo
; %bb.39:                               ;   in Loop: Header=BB47_9 Depth=3
	s_and_not1_saveexec_b32 s49, s49
	s_cbranch_execz .LBB47_49
; %bb.40:                               ;   in Loop: Header=BB47_9 Depth=3
	s_mov_b32 s51, s48
	s_mov_b32 s50, exec_lo
                                        ; implicit-def: $vgpr4_vgpr5
	v_cmpx_lt_i32_e64 v18, v35
	s_cbranch_execz .LBB47_48
; %bb.41:                               ;   in Loop: Header=BB47_9 Depth=3
	s_mov_b32 s52, 0
                                        ; implicit-def: $sgpr51
                                        ; implicit-def: $sgpr54
                                        ; implicit-def: $sgpr53
	s_set_inst_prefetch_distance 0x1
	s_branch .LBB47_43
	.p2align	6
.LBB47_42:                              ;   in Loop: Header=BB47_43 Depth=4
	s_or_b32 exec_lo, exec_lo, s55
	s_delay_alu instid0(SALU_CYCLE_1) | instskip(NEXT) | instid1(SALU_CYCLE_1)
	s_and_b32 s55, exec_lo, s54
	s_or_b32 s52, s55, s52
	s_and_not1_b32 s51, s51, exec_lo
	s_and_b32 s55, s53, exec_lo
	s_delay_alu instid0(SALU_CYCLE_1)
	s_or_b32 s51, s51, s55
	s_and_not1_b32 exec_lo, exec_lo, s52
	s_cbranch_execz .LBB47_45
.LBB47_43:                              ;   Parent Loop BB47_3 Depth=1
                                        ;     Parent Loop BB47_5 Depth=2
                                        ;       Parent Loop BB47_9 Depth=3
                                        ; =>      This Inner Loop Header: Depth=4
	v_add_nc_u32_e32 v6, v16, v18
	s_or_b32 s53, s53, exec_lo
	s_or_b32 s54, s54, exec_lo
	s_mov_b32 s55, exec_lo
	s_delay_alu instid0(VALU_DEP_1) | instskip(NEXT) | instid1(VALU_DEP_1)
	v_ashrrev_i32_e32 v7, 31, v6
	v_lshlrev_b64 v[4:5], 2, v[6:7]
	s_delay_alu instid0(VALU_DEP_1) | instskip(NEXT) | instid1(VALU_DEP_2)
	v_add_co_u32 v4, vcc_lo, s12, v4
	v_add_co_ci_u32_e32 v5, vcc_lo, s13, v5, vcc_lo
	global_load_b32 v4, v[4:5], off
	s_waitcnt vmcnt(0)
	v_subrev_nc_u32_e32 v4, s43, v4
	s_delay_alu instid0(VALU_DEP_1)
	v_cmpx_ne_u32_e64 v4, v10
	s_cbranch_execz .LBB47_42
; %bb.44:                               ;   in Loop: Header=BB47_43 Depth=4
	v_add_nc_u32_e32 v18, 1, v18
	s_and_not1_b32 s54, s54, exec_lo
	s_and_not1_b32 s53, s53, exec_lo
	s_delay_alu instid0(VALU_DEP_1) | instskip(SKIP_1) | instid1(SALU_CYCLE_1)
	v_cmp_ge_i32_e32 vcc_lo, v18, v35
	s_and_b32 s56, vcc_lo, exec_lo
	s_or_b32 s54, s54, s56
	s_branch .LBB47_42
.LBB47_45:                              ;   in Loop: Header=BB47_9 Depth=3
	s_set_inst_prefetch_distance 0x2
	s_or_b32 exec_lo, exec_lo, s52
	s_mov_b32 s52, s48
                                        ; implicit-def: $vgpr4_vgpr5
	s_and_saveexec_b32 s53, s51
	s_delay_alu instid0(SALU_CYCLE_1)
	s_xor_b32 s51, exec_lo, s53
; %bb.46:                               ;   in Loop: Header=BB47_9 Depth=3
	v_lshlrev_b64 v[4:5], 4, v[6:7]
	s_or_b32 s52, s48, exec_lo
	s_delay_alu instid0(VALU_DEP_1) | instskip(NEXT) | instid1(VALU_DEP_2)
	v_add_co_u32 v4, vcc_lo, s34, v4
	v_add_co_ci_u32_e32 v5, vcc_lo, s35, v5, vcc_lo
; %bb.47:                               ;   in Loop: Header=BB47_9 Depth=3
	s_or_b32 exec_lo, exec_lo, s51
	s_delay_alu instid0(SALU_CYCLE_1) | instskip(SKIP_1) | instid1(SALU_CYCLE_1)
	s_and_not1_b32 s51, s48, exec_lo
	s_and_b32 s52, s52, exec_lo
	s_or_b32 s51, s51, s52
.LBB47_48:                              ;   in Loop: Header=BB47_9 Depth=3
	s_or_b32 exec_lo, exec_lo, s50
	s_delay_alu instid0(SALU_CYCLE_1) | instskip(SKIP_1) | instid1(SALU_CYCLE_1)
	s_and_not1_b32 s48, s48, exec_lo
	s_and_b32 s50, s51, exec_lo
	s_or_b32 s48, s48, s50
.LBB47_49:                              ;   in Loop: Header=BB47_9 Depth=3
	s_or_b32 exec_lo, exec_lo, s49
	s_delay_alu instid0(SALU_CYCLE_1)
	s_and_b32 s48, s48, exec_lo
                                        ; implicit-def: $vgpr14_vgpr15
	s_and_not1_saveexec_b32 s3, s3
	s_cbranch_execz .LBB47_36
.LBB47_50:                              ;   in Loop: Header=BB47_9 Depth=3
	s_mov_b32 s50, s48
	s_mov_b32 s49, exec_lo
                                        ; implicit-def: $vgpr4_vgpr5
	v_cmpx_lt_i32_e64 v8, v30
	s_cbranch_execz .LBB47_58
; %bb.51:                               ;   in Loop: Header=BB47_9 Depth=3
	s_mov_b32 s51, 0
                                        ; implicit-def: $sgpr50
                                        ; implicit-def: $sgpr53
                                        ; implicit-def: $sgpr52
	s_set_inst_prefetch_distance 0x1
	s_branch .LBB47_53
	.p2align	6
.LBB47_52:                              ;   in Loop: Header=BB47_53 Depth=4
	s_or_b32 exec_lo, exec_lo, s54
	s_delay_alu instid0(SALU_CYCLE_1) | instskip(NEXT) | instid1(SALU_CYCLE_1)
	s_and_b32 s54, exec_lo, s53
	s_or_b32 s51, s54, s51
	s_and_not1_b32 s50, s50, exec_lo
	s_and_b32 s54, s52, exec_lo
	s_delay_alu instid0(SALU_CYCLE_1)
	s_or_b32 s50, s50, s54
	s_and_not1_b32 exec_lo, exec_lo, s51
	s_cbranch_execz .LBB47_55
.LBB47_53:                              ;   Parent Loop BB47_3 Depth=1
                                        ;     Parent Loop BB47_5 Depth=2
                                        ;       Parent Loop BB47_9 Depth=3
                                        ; =>      This Inner Loop Header: Depth=4
	v_add_nc_u32_e32 v6, v13, v8
	s_or_b32 s52, s52, exec_lo
	s_or_b32 s53, s53, exec_lo
	s_mov_b32 s54, exec_lo
	s_delay_alu instid0(VALU_DEP_1) | instskip(NEXT) | instid1(VALU_DEP_1)
	v_ashrrev_i32_e32 v7, 31, v6
	v_lshlrev_b64 v[4:5], 2, v[6:7]
	s_delay_alu instid0(VALU_DEP_1) | instskip(NEXT) | instid1(VALU_DEP_2)
	v_add_co_u32 v4, vcc_lo, s20, v4
	v_add_co_ci_u32_e32 v5, vcc_lo, s21, v5, vcc_lo
	global_load_b32 v4, v[4:5], off
	s_waitcnt vmcnt(0)
	v_subrev_nc_u32_e32 v4, s42, v4
	s_delay_alu instid0(VALU_DEP_1)
	v_cmpx_ne_u32_e64 v4, v14
	s_cbranch_execz .LBB47_52
; %bb.54:                               ;   in Loop: Header=BB47_53 Depth=4
	v_add_nc_u32_e32 v8, 1, v8
	s_and_not1_b32 s53, s53, exec_lo
	s_and_not1_b32 s52, s52, exec_lo
	s_delay_alu instid0(VALU_DEP_1) | instskip(SKIP_1) | instid1(SALU_CYCLE_1)
	v_cmp_ge_i32_e32 vcc_lo, v8, v30
	s_and_b32 s55, vcc_lo, exec_lo
	s_or_b32 s53, s53, s55
	s_branch .LBB47_52
.LBB47_55:                              ;   in Loop: Header=BB47_9 Depth=3
	s_set_inst_prefetch_distance 0x2
	s_or_b32 exec_lo, exec_lo, s51
	s_mov_b32 s51, s48
                                        ; implicit-def: $vgpr4_vgpr5
	s_and_saveexec_b32 s52, s50
	s_delay_alu instid0(SALU_CYCLE_1)
	s_xor_b32 s50, exec_lo, s52
; %bb.56:                               ;   in Loop: Header=BB47_9 Depth=3
	v_lshlrev_b64 v[4:5], 4, v[6:7]
	s_or_b32 s51, s48, exec_lo
	s_delay_alu instid0(VALU_DEP_1) | instskip(NEXT) | instid1(VALU_DEP_2)
	v_add_co_u32 v4, vcc_lo, s40, v4
	v_add_co_ci_u32_e32 v5, vcc_lo, s41, v5, vcc_lo
; %bb.57:                               ;   in Loop: Header=BB47_9 Depth=3
	s_or_b32 exec_lo, exec_lo, s50
	s_delay_alu instid0(SALU_CYCLE_1) | instskip(SKIP_1) | instid1(SALU_CYCLE_1)
	s_and_not1_b32 s50, s48, exec_lo
	s_and_b32 s51, s51, exec_lo
	s_or_b32 s50, s50, s51
.LBB47_58:                              ;   in Loop: Header=BB47_9 Depth=3
	s_or_b32 exec_lo, exec_lo, s49
	s_delay_alu instid0(SALU_CYCLE_1) | instskip(SKIP_1) | instid1(SALU_CYCLE_1)
	s_and_not1_b32 s48, s48, exec_lo
	s_and_b32 s49, s50, exec_lo
	s_or_b32 s48, s48, s49
	s_or_b32 exec_lo, exec_lo, s3
	s_delay_alu instid0(SALU_CYCLE_1)
	s_and_b32 exec_lo, exec_lo, s48
	s_cbranch_execz .LBB47_8
.LBB47_59:                              ;   in Loop: Header=BB47_9 Depth=3
	global_store_b128 v[4:5], v[0:3], off
	s_branch .LBB47_8
.LBB47_60:                              ;   in Loop: Header=BB47_3 Depth=1
	s_and_saveexec_b32 s3, s0
	s_cbranch_execz .LBB47_2
; %bb.61:                               ;   in Loop: Header=BB47_3 Depth=1
	v_mov_b32_e32 v0, v25
	s_mov_b32 s4, 0
	s_branch .LBB47_63
.LBB47_62:                              ;   in Loop: Header=BB47_63 Depth=2
	s_or_b32 exec_lo, exec_lo, s45
	v_add_nc_u32_e32 v0, 32, v0
	s_delay_alu instid0(VALU_DEP_1) | instskip(SKIP_1) | instid1(SALU_CYCLE_1)
	v_cmp_le_u32_e32 vcc_lo, s44, v0
	s_or_b32 s4, vcc_lo, s4
	s_and_not1_b32 exec_lo, exec_lo, s4
	s_cbranch_execz .LBB47_2
.LBB47_63:                              ;   Parent Loop BB47_3 Depth=1
                                        ; =>  This Loop Header: Depth=2
                                        ;       Child Loop BB47_66 Depth 3
                                        ;       Child Loop BB47_69 Depth 3
	s_mov_b32 s45, exec_lo
	s_delay_alu instid0(VALU_DEP_1)
	v_cmpx_gt_i32_e64 s7, v0
	s_cbranch_execz .LBB47_62
; %bb.64:                               ;   in Loop: Header=BB47_63 Depth=2
	v_ashrrev_i32_e32 v1, 31, v0
	s_mov_b32 s46, exec_lo
	s_delay_alu instid0(VALU_DEP_1) | instskip(NEXT) | instid1(VALU_DEP_1)
	v_lshlrev_b64 v[2:3], 2, v[0:1]
	v_add_co_u32 v4, vcc_lo, s16, v2
	s_delay_alu instid0(VALU_DEP_2)
	v_add_co_ci_u32_e32 v5, vcc_lo, s17, v3, vcc_lo
	v_add_co_u32 v6, vcc_lo, s18, v2
	v_add_co_ci_u32_e32 v7, vcc_lo, s19, v3, vcc_lo
	global_load_b32 v4, v[4:5], off
	global_load_b32 v5, v[6:7], off
	s_waitcnt vmcnt(1)
	v_add_nc_u32_e32 v4, v27, v4
	s_waitcnt vmcnt(0)
	v_subrev_nc_u32_e32 v10, s42, v5
	s_delay_alu instid0(VALU_DEP_1)
	v_cmpx_lt_i32_e64 v4, v10
	s_cbranch_execz .LBB47_67
; %bb.65:                               ;   in Loop: Header=BB47_63 Depth=2
	v_ashrrev_i32_e32 v5, 31, v4
	s_mov_b32 s47, 0
	s_delay_alu instid0(VALU_DEP_1) | instskip(NEXT) | instid1(VALU_DEP_1)
	v_lshlrev_b64 v[7:8], 4, v[4:5]
	v_add_co_u32 v5, vcc_lo, s22, v7
	s_delay_alu instid0(VALU_DEP_2)
	v_add_co_ci_u32_e32 v6, vcc_lo, s23, v8, vcc_lo
	v_add_co_u32 v7, vcc_lo, s40, v7
	v_add_co_ci_u32_e32 v8, vcc_lo, s41, v8, vcc_lo
	.p2align	6
.LBB47_66:                              ;   Parent Loop BB47_3 Depth=1
                                        ;     Parent Loop BB47_63 Depth=2
                                        ; =>    This Inner Loop Header: Depth=3
	global_load_b128 v[11:14], v[7:8], off
	v_add_nc_u32_e32 v4, 32, v4
	v_add_co_u32 v7, vcc_lo, 0x200, v7
	v_add_co_ci_u32_e32 v8, vcc_lo, 0, v8, vcc_lo
	s_delay_alu instid0(VALU_DEP_3) | instskip(SKIP_4) | instid1(VALU_DEP_1)
	v_cmp_ge_i32_e32 vcc_lo, v4, v10
	s_or_b32 s47, vcc_lo, s47
	s_waitcnt vmcnt(0)
	global_store_b128 v[5:6], v[11:14], off
	v_add_co_u32 v5, s2, 0x200, v5
	v_add_co_ci_u32_e64 v6, s2, 0, v6, s2
	s_and_not1_b32 exec_lo, exec_lo, s47
	s_cbranch_execnz .LBB47_66
.LBB47_67:                              ;   in Loop: Header=BB47_63 Depth=2
	s_or_b32 exec_lo, exec_lo, s46
	v_add_co_u32 v4, vcc_lo, s8, v2
	v_add_co_ci_u32_e32 v5, vcc_lo, s9, v3, vcc_lo
	v_add_co_u32 v2, vcc_lo, s10, v2
	v_add_co_ci_u32_e32 v3, vcc_lo, s11, v3, vcc_lo
	s_mov_b32 s46, exec_lo
	global_load_b32 v4, v[4:5], off
	global_load_b32 v3, v[2:3], off
	s_waitcnt vmcnt(1)
	v_add_nc_u32_e32 v2, v28, v4
	s_waitcnt vmcnt(0)
	v_subrev_nc_u32_e32 v7, s43, v3
	s_delay_alu instid0(VALU_DEP_1)
	v_cmpx_lt_i32_e64 v2, v7
	s_cbranch_execz .LBB47_70
; %bb.68:                               ;   in Loop: Header=BB47_63 Depth=2
	v_ashrrev_i32_e32 v3, 31, v2
	s_mov_b32 s47, 0
	s_delay_alu instid0(VALU_DEP_1) | instskip(NEXT) | instid1(VALU_DEP_1)
	v_lshlrev_b64 v[5:6], 4, v[2:3]
	v_add_co_u32 v3, vcc_lo, s14, v5
	s_delay_alu instid0(VALU_DEP_2)
	v_add_co_ci_u32_e32 v4, vcc_lo, s15, v6, vcc_lo
	v_add_co_u32 v5, vcc_lo, s34, v5
	v_add_co_ci_u32_e32 v6, vcc_lo, s35, v6, vcc_lo
	.p2align	6
.LBB47_69:                              ;   Parent Loop BB47_3 Depth=1
                                        ;     Parent Loop BB47_63 Depth=2
                                        ; =>    This Inner Loop Header: Depth=3
	global_load_b128 v[10:13], v[5:6], off
	v_add_nc_u32_e32 v2, 32, v2
	v_add_co_u32 v5, vcc_lo, 0x200, v5
	v_add_co_ci_u32_e32 v6, vcc_lo, 0, v6, vcc_lo
	s_delay_alu instid0(VALU_DEP_3) | instskip(SKIP_4) | instid1(VALU_DEP_1)
	v_cmp_ge_i32_e32 vcc_lo, v2, v7
	s_or_b32 s47, vcc_lo, s47
	s_waitcnt vmcnt(0)
	global_store_b128 v[3:4], v[10:13], off
	v_add_co_u32 v3, s2, 0x200, v3
	v_add_co_ci_u32_e64 v4, s2, 0, v4, s2
	s_and_not1_b32 exec_lo, exec_lo, s47
	s_cbranch_execnz .LBB47_69
.LBB47_70:                              ;   in Loop: Header=BB47_63 Depth=2
	s_or_b32 exec_lo, exec_lo, s46
	s_delay_alu instid0(SALU_CYCLE_1)
	s_and_b32 exec_lo, exec_lo, s1
	s_cbranch_execz .LBB47_62
; %bb.71:                               ;   in Loop: Header=BB47_63 Depth=2
	v_lshlrev_b64 v[5:6], 4, v[0:1]
	s_delay_alu instid0(VALU_DEP_1) | instskip(NEXT) | instid1(VALU_DEP_2)
	v_add_co_u32 v1, vcc_lo, s38, v5
	v_add_co_ci_u32_e32 v2, vcc_lo, s39, v6, vcc_lo
	v_add_co_u32 v5, vcc_lo, s36, v5
	v_add_co_ci_u32_e32 v6, vcc_lo, s37, v6, vcc_lo
	global_load_b128 v[1:4], v[1:2], off
	s_waitcnt vmcnt(0)
	global_store_b128 v[5:6], v[1:4], off
	s_branch .LBB47_62
.LBB47_72:
	s_nop 0
	s_sendmsg sendmsg(MSG_DEALLOC_VGPRS)
	s_endpgm
	.section	.rodata,"a",@progbits
	.p2align	6, 0x0
	.amdhsa_kernel _ZN9rocsparseL14kernel_freerunILi1024ELi32E21rocsparse_complex_numIdEiiEEvT3_S3_T2_PKS4_S6_PKS3_PKT1_21rocsparse_index_base_S6_S6_S8_PS9_SD_SC_S6_S6_S8_SD_SD_SC_SD_SD_
		.amdhsa_group_segment_fixed_size 0
		.amdhsa_private_segment_fixed_size 0
		.amdhsa_kernarg_size 168
		.amdhsa_user_sgpr_count 15
		.amdhsa_user_sgpr_dispatch_ptr 0
		.amdhsa_user_sgpr_queue_ptr 0
		.amdhsa_user_sgpr_kernarg_segment_ptr 1
		.amdhsa_user_sgpr_dispatch_id 0
		.amdhsa_user_sgpr_private_segment_size 0
		.amdhsa_wavefront_size32 1
		.amdhsa_uses_dynamic_stack 0
		.amdhsa_enable_private_segment 0
		.amdhsa_system_sgpr_workgroup_id_x 1
		.amdhsa_system_sgpr_workgroup_id_y 0
		.amdhsa_system_sgpr_workgroup_id_z 0
		.amdhsa_system_sgpr_workgroup_info 0
		.amdhsa_system_vgpr_workitem_id 0
		.amdhsa_next_free_vgpr 42
		.amdhsa_next_free_sgpr 57
		.amdhsa_reserve_vcc 1
		.amdhsa_float_round_mode_32 0
		.amdhsa_float_round_mode_16_64 0
		.amdhsa_float_denorm_mode_32 3
		.amdhsa_float_denorm_mode_16_64 3
		.amdhsa_dx10_clamp 1
		.amdhsa_ieee_mode 1
		.amdhsa_fp16_overflow 0
		.amdhsa_workgroup_processor_mode 1
		.amdhsa_memory_ordered 1
		.amdhsa_forward_progress 0
		.amdhsa_shared_vgpr_count 0
		.amdhsa_exception_fp_ieee_invalid_op 0
		.amdhsa_exception_fp_denorm_src 0
		.amdhsa_exception_fp_ieee_div_zero 0
		.amdhsa_exception_fp_ieee_overflow 0
		.amdhsa_exception_fp_ieee_underflow 0
		.amdhsa_exception_fp_ieee_inexact 0
		.amdhsa_exception_int_div_zero 0
	.end_amdhsa_kernel
	.section	.text._ZN9rocsparseL14kernel_freerunILi1024ELi32E21rocsparse_complex_numIdEiiEEvT3_S3_T2_PKS4_S6_PKS3_PKT1_21rocsparse_index_base_S6_S6_S8_PS9_SD_SC_S6_S6_S8_SD_SD_SC_SD_SD_,"axG",@progbits,_ZN9rocsparseL14kernel_freerunILi1024ELi32E21rocsparse_complex_numIdEiiEEvT3_S3_T2_PKS4_S6_PKS3_PKT1_21rocsparse_index_base_S6_S6_S8_PS9_SD_SC_S6_S6_S8_SD_SD_SC_SD_SD_,comdat
.Lfunc_end47:
	.size	_ZN9rocsparseL14kernel_freerunILi1024ELi32E21rocsparse_complex_numIdEiiEEvT3_S3_T2_PKS4_S6_PKS3_PKT1_21rocsparse_index_base_S6_S6_S8_PS9_SD_SC_S6_S6_S8_SD_SD_SC_SD_SD_, .Lfunc_end47-_ZN9rocsparseL14kernel_freerunILi1024ELi32E21rocsparse_complex_numIdEiiEEvT3_S3_T2_PKS4_S6_PKS3_PKT1_21rocsparse_index_base_S6_S6_S8_PS9_SD_SC_S6_S6_S8_SD_SD_SC_SD_SD_
                                        ; -- End function
	.section	.AMDGPU.csdata,"",@progbits
; Kernel info:
; codeLenInByte = 4192
; NumSgprs: 59
; NumVgprs: 42
; ScratchSize: 0
; MemoryBound: 1
; FloatMode: 240
; IeeeMode: 1
; LDSByteSize: 0 bytes/workgroup (compile time only)
; SGPRBlocks: 7
; VGPRBlocks: 5
; NumSGPRsForWavesPerEU: 59
; NumVGPRsForWavesPerEU: 42
; Occupancy: 16
; WaveLimiterHint : 1
; COMPUTE_PGM_RSRC2:SCRATCH_EN: 0
; COMPUTE_PGM_RSRC2:USER_SGPR: 15
; COMPUTE_PGM_RSRC2:TRAP_HANDLER: 0
; COMPUTE_PGM_RSRC2:TGID_X_EN: 1
; COMPUTE_PGM_RSRC2:TGID_Y_EN: 0
; COMPUTE_PGM_RSRC2:TGID_Z_EN: 0
; COMPUTE_PGM_RSRC2:TIDIG_COMP_CNT: 0
	.section	.text._ZN9rocsparseL14kernel_freerunILi1024ELi64E21rocsparse_complex_numIdEiiEEvT3_S3_T2_PKS4_S6_PKS3_PKT1_21rocsparse_index_base_S6_S6_S8_PS9_SD_SC_S6_S6_S8_SD_SD_SC_SD_SD_,"axG",@progbits,_ZN9rocsparseL14kernel_freerunILi1024ELi64E21rocsparse_complex_numIdEiiEEvT3_S3_T2_PKS4_S6_PKS3_PKT1_21rocsparse_index_base_S6_S6_S8_PS9_SD_SC_S6_S6_S8_SD_SD_SC_SD_SD_,comdat
	.globl	_ZN9rocsparseL14kernel_freerunILi1024ELi64E21rocsparse_complex_numIdEiiEEvT3_S3_T2_PKS4_S6_PKS3_PKT1_21rocsparse_index_base_S6_S6_S8_PS9_SD_SC_S6_S6_S8_SD_SD_SC_SD_SD_ ; -- Begin function _ZN9rocsparseL14kernel_freerunILi1024ELi64E21rocsparse_complex_numIdEiiEEvT3_S3_T2_PKS4_S6_PKS3_PKT1_21rocsparse_index_base_S6_S6_S8_PS9_SD_SC_S6_S6_S8_SD_SD_SC_SD_SD_
	.p2align	8
	.type	_ZN9rocsparseL14kernel_freerunILi1024ELi64E21rocsparse_complex_numIdEiiEEvT3_S3_T2_PKS4_S6_PKS3_PKT1_21rocsparse_index_base_S6_S6_S8_PS9_SD_SC_S6_S6_S8_SD_SD_SC_SD_SD_,@function
_ZN9rocsparseL14kernel_freerunILi1024ELi64E21rocsparse_complex_numIdEiiEEvT3_S3_T2_PKS4_S6_PKS3_PKT1_21rocsparse_index_base_S6_S6_S8_PS9_SD_SC_S6_S6_S8_SD_SD_SC_SD_SD_: ; @_ZN9rocsparseL14kernel_freerunILi1024ELi64E21rocsparse_complex_numIdEiiEEvT3_S3_T2_PKS4_S6_PKS3_PKT1_21rocsparse_index_base_S6_S6_S8_PS9_SD_SC_S6_S6_S8_SD_SD_SC_SD_SD_
; %bb.0:
	s_load_b64 s[6:7], s[0:1], 0x0
	v_lshrrev_b32_e32 v1, 6, v0
	s_lshl_b32 s44, s15, 10
	s_mov_b32 s5, 0
	s_delay_alu instid0(VALU_DEP_1) | instskip(SKIP_1) | instid1(VALU_DEP_1)
	v_or_b32_e32 v25, s44, v1
	s_waitcnt lgkmcnt(0)
	v_cmp_gt_i32_e32 vcc_lo, s7, v25
	s_cmp_gt_i32 s6, 0
	s_cselect_b32 s2, -1, 0
	s_delay_alu instid0(SALU_CYCLE_1) | instskip(NEXT) | instid1(SALU_CYCLE_1)
	s_and_b32 s2, vcc_lo, s2
	s_and_saveexec_b32 s3, s2
	s_cbranch_execz .LBB48_72
; %bb.1:
	s_clause 0x8
	s_load_b32 s33, s[0:1], 0x30
	s_load_b32 s42, s[0:1], 0x60
	;; [unrolled: 1-line block ×3, first 2 shown]
	s_load_b64 s[34:35], s[0:1], 0x88
	s_load_b64 s[40:41], s[0:1], 0x58
	s_load_b128 s[36:39], s[0:1], 0x98
	s_load_b256 s[8:15], s[0:1], 0x68
	s_load_b256 s[16:23], s[0:1], 0x38
	;; [unrolled: 1-line block ×3, first 2 shown]
	v_dual_mov_b32 v9, 0 :: v_dual_and_b32 v0, 63, v0
	s_addk_i32 s44, 0x400
	s_delay_alu instid0(SALU_CYCLE_1) | instskip(NEXT) | instid1(VALU_DEP_2)
	v_cmp_gt_u32_e64 s0, s44, v25
	v_cmp_eq_u32_e64 s1, 0, v0
	s_waitcnt lgkmcnt(0)
	v_subrev_nc_u32_e32 v26, s33, v0
	v_subrev_nc_u32_e32 v27, s42, v0
	;; [unrolled: 1-line block ×3, first 2 shown]
	s_branch .LBB48_3
.LBB48_2:                               ;   in Loop: Header=BB48_3 Depth=1
	s_or_b32 exec_lo, exec_lo, s3
	s_add_i32 s5, s5, 1
	s_delay_alu instid0(SALU_CYCLE_1)
	s_cmp_eq_u32 s5, s6
	s_cbranch_scc1 .LBB48_72
.LBB48_3:                               ; =>This Loop Header: Depth=1
                                        ;     Child Loop BB48_5 Depth 2
                                        ;       Child Loop BB48_9 Depth 3
                                        ;         Child Loop BB48_13 Depth 4
                                        ;         Child Loop BB48_43 Depth 4
	;; [unrolled: 1-line block ×3, first 2 shown]
                                        ;     Child Loop BB48_63 Depth 2
                                        ;       Child Loop BB48_66 Depth 3
                                        ;       Child Loop BB48_69 Depth 3
	s_mov_b32 s45, 0
	s_branch .LBB48_5
.LBB48_4:                               ;   in Loop: Header=BB48_5 Depth=2
	s_or_b32 exec_lo, exec_lo, s46
	s_add_i32 s45, s45, 1
	s_delay_alu instid0(SALU_CYCLE_1)
	s_cmp_eq_u32 s45, 64
	s_cbranch_scc1 .LBB48_60
.LBB48_5:                               ;   Parent Loop BB48_3 Depth=1
                                        ; =>  This Loop Header: Depth=2
                                        ;       Child Loop BB48_9 Depth 3
                                        ;         Child Loop BB48_13 Depth 4
                                        ;         Child Loop BB48_43 Depth 4
                                        ;         Child Loop BB48_53 Depth 4
	v_lshl_add_u32 v10, s45, 4, v25
	s_mov_b32 s46, exec_lo
	s_delay_alu instid0(VALU_DEP_1)
	v_cmpx_gt_i32_e64 s7, v10
	s_cbranch_execz .LBB48_4
; %bb.6:                                ;   in Loop: Header=BB48_5 Depth=2
	v_ashrrev_i32_e32 v11, 31, v10
	s_delay_alu instid0(VALU_DEP_1) | instskip(NEXT) | instid1(VALU_DEP_1)
	v_lshlrev_b64 v[0:1], 2, v[10:11]
	v_add_co_u32 v2, vcc_lo, s24, v0
	s_delay_alu instid0(VALU_DEP_2)
	v_add_co_ci_u32_e32 v3, vcc_lo, s25, v1, vcc_lo
	v_add_co_u32 v4, vcc_lo, s26, v0
	v_add_co_ci_u32_e32 v5, vcc_lo, s27, v1, vcc_lo
	global_load_b32 v2, v[2:3], off
	global_load_b32 v3, v[4:5], off
	s_waitcnt vmcnt(1)
	v_add_nc_u32_e32 v11, v26, v2
	s_waitcnt vmcnt(0)
	v_subrev_nc_u32_e32 v29, s33, v3
	s_delay_alu instid0(VALU_DEP_1)
	v_cmp_lt_i32_e32 vcc_lo, v11, v29
	s_and_b32 exec_lo, exec_lo, vcc_lo
	s_cbranch_execz .LBB48_4
; %bb.7:                                ;   in Loop: Header=BB48_5 Depth=2
	v_add_co_u32 v2, vcc_lo, s16, v0
	v_add_co_ci_u32_e32 v3, vcc_lo, s17, v1, vcc_lo
	v_add_co_u32 v0, vcc_lo, s18, v0
	v_add_co_ci_u32_e32 v1, vcc_lo, s19, v1, vcc_lo
	global_load_b32 v2, v[2:3], off
	s_mov_b32 s47, 0
	global_load_b32 v3, v[0:1], off
	s_waitcnt vmcnt(1)
	v_subrev_nc_u32_e32 v13, s42, v2
	s_waitcnt vmcnt(0)
	v_sub_nc_u32_e32 v30, v3, v2
	s_delay_alu instid0(VALU_DEP_2) | instskip(NEXT) | instid1(VALU_DEP_2)
	v_ashrrev_i32_e32 v14, 31, v13
	v_cmp_lt_i32_e64 s2, 0, v30
	s_delay_alu instid0(VALU_DEP_2) | instskip(SKIP_1) | instid1(VALU_DEP_2)
	v_lshlrev_b64 v[0:1], 2, v[13:14]
	v_lshlrev_b64 v[2:3], 4, v[13:14]
	v_add_co_u32 v31, vcc_lo, s20, v0
	s_delay_alu instid0(VALU_DEP_3) | instskip(NEXT) | instid1(VALU_DEP_3)
	v_add_co_ci_u32_e32 v32, vcc_lo, s21, v1, vcc_lo
	v_add_co_u32 v33, vcc_lo, s22, v2
	s_delay_alu instid0(VALU_DEP_4)
	v_add_co_ci_u32_e32 v34, vcc_lo, s23, v3, vcc_lo
	s_branch .LBB48_9
.LBB48_8:                               ;   in Loop: Header=BB48_9 Depth=3
	s_or_b32 exec_lo, exec_lo, s4
	v_add_nc_u32_e32 v11, 64, v11
	s_delay_alu instid0(VALU_DEP_1) | instskip(SKIP_1) | instid1(SALU_CYCLE_1)
	v_cmp_ge_i32_e32 vcc_lo, v11, v29
	s_or_b32 s47, vcc_lo, s47
	s_and_not1_b32 exec_lo, exec_lo, s47
	s_cbranch_execz .LBB48_4
.LBB48_9:                               ;   Parent Loop BB48_3 Depth=1
                                        ;     Parent Loop BB48_5 Depth=2
                                        ; =>    This Loop Header: Depth=3
                                        ;         Child Loop BB48_13 Depth 4
                                        ;         Child Loop BB48_43 Depth 4
	;; [unrolled: 1-line block ×3, first 2 shown]
	v_ashrrev_i32_e32 v12, 31, v11
	v_mov_b32_e32 v18, 0
	v_mov_b32_e32 v8, 0
	s_delay_alu instid0(VALU_DEP_3) | instskip(NEXT) | instid1(VALU_DEP_1)
	v_lshlrev_b64 v[0:1], 2, v[11:12]
	v_add_co_u32 v0, vcc_lo, s28, v0
	s_delay_alu instid0(VALU_DEP_2) | instskip(SKIP_3) | instid1(VALU_DEP_1)
	v_add_co_ci_u32_e32 v1, vcc_lo, s29, v1, vcc_lo
	global_load_b32 v0, v[0:1], off
	s_waitcnt vmcnt(0)
	v_subrev_nc_u32_e32 v14, s33, v0
	v_ashrrev_i32_e32 v15, 31, v14
	s_delay_alu instid0(VALU_DEP_1) | instskip(NEXT) | instid1(VALU_DEP_1)
	v_lshlrev_b64 v[0:1], 2, v[14:15]
	v_add_co_u32 v2, vcc_lo, s8, v0
	s_delay_alu instid0(VALU_DEP_2)
	v_add_co_ci_u32_e32 v3, vcc_lo, s9, v1, vcc_lo
	v_add_co_u32 v0, vcc_lo, s10, v0
	v_add_co_ci_u32_e32 v1, vcc_lo, s11, v1, vcc_lo
	global_load_b32 v4, v[2:3], off
	global_load_b32 v5, v[0:1], off
	v_mov_b32_e32 v0, 0
	v_mov_b32_e32 v1, 0
	s_delay_alu instid0(VALU_DEP_1)
	v_dual_mov_b32 v3, v1 :: v_dual_mov_b32 v2, v0
	s_waitcnt vmcnt(1)
	v_subrev_nc_u32_e32 v16, s43, v4
	s_waitcnt vmcnt(0)
	v_sub_nc_u32_e32 v35, v5, v4
	s_and_saveexec_b32 s4, s2
	s_cbranch_execz .LBB48_17
; %bb.10:                               ;   in Loop: Header=BB48_9 Depth=3
	v_ashrrev_i32_e32 v17, 31, v16
	v_mov_b32_e32 v0, 0
	v_dual_mov_b32 v18, 0 :: v_dual_mov_b32 v1, 0
	s_mov_b32 s48, 0
	s_delay_alu instid0(VALU_DEP_3) | instskip(SKIP_1) | instid1(VALU_DEP_3)
	v_lshlrev_b64 v[2:3], 2, v[16:17]
	v_lshlrev_b64 v[6:7], 4, v[16:17]
	v_mov_b32_e32 v8, v18
                                        ; implicit-def: $sgpr49
	s_delay_alu instid0(VALU_DEP_3) | instskip(NEXT) | instid1(VALU_DEP_4)
	v_add_co_u32 v4, vcc_lo, s12, v2
	v_add_co_ci_u32_e32 v5, vcc_lo, s13, v3, vcc_lo
	v_mov_b32_e32 v3, v1
	v_add_co_u32 v6, vcc_lo, s14, v6
	v_add_co_ci_u32_e32 v7, vcc_lo, s15, v7, vcc_lo
	v_mov_b32_e32 v2, v0
	s_branch .LBB48_13
.LBB48_11:                              ;   in Loop: Header=BB48_13 Depth=4
	s_or_b32 exec_lo, exec_lo, s3
	v_cmp_le_i32_e32 vcc_lo, v17, v20
	v_cmp_ge_i32_e64 s3, v17, v20
	v_add_co_ci_u32_e32 v8, vcc_lo, 0, v8, vcc_lo
	s_delay_alu instid0(VALU_DEP_2) | instskip(SKIP_1) | instid1(VALU_DEP_2)
	v_add_co_ci_u32_e64 v18, s3, 0, v18, s3
	s_and_not1_b32 s3, s49, exec_lo
	v_cmp_ge_i32_e32 vcc_lo, v8, v30
	s_and_b32 s49, vcc_lo, exec_lo
	s_delay_alu instid0(SALU_CYCLE_1)
	s_or_b32 s49, s3, s49
.LBB48_12:                              ;   in Loop: Header=BB48_13 Depth=4
	s_or_b32 exec_lo, exec_lo, s50
	s_delay_alu instid0(SALU_CYCLE_1) | instskip(NEXT) | instid1(SALU_CYCLE_1)
	s_and_b32 s3, exec_lo, s49
	s_or_b32 s48, s3, s48
	s_delay_alu instid0(SALU_CYCLE_1)
	s_and_not1_b32 exec_lo, exec_lo, s48
	s_cbranch_execz .LBB48_16
.LBB48_13:                              ;   Parent Loop BB48_3 Depth=1
                                        ;     Parent Loop BB48_5 Depth=2
                                        ;       Parent Loop BB48_9 Depth=3
                                        ; =>      This Inner Loop Header: Depth=4
	s_or_b32 s49, s49, exec_lo
	s_mov_b32 s50, exec_lo
	v_cmpx_lt_i32_e64 v18, v35
	s_cbranch_execz .LBB48_12
; %bb.14:                               ;   in Loop: Header=BB48_13 Depth=4
	v_mov_b32_e32 v19, v9
	v_lshlrev_b64 v[20:21], 2, v[8:9]
	s_mov_b32 s3, exec_lo
	s_delay_alu instid0(VALU_DEP_2) | instskip(NEXT) | instid1(VALU_DEP_2)
	v_lshlrev_b64 v[22:23], 2, v[18:19]
	v_add_co_u32 v20, vcc_lo, v31, v20
	s_delay_alu instid0(VALU_DEP_3) | instskip(NEXT) | instid1(VALU_DEP_3)
	v_add_co_ci_u32_e32 v21, vcc_lo, v32, v21, vcc_lo
	v_add_co_u32 v22, vcc_lo, v4, v22
	s_delay_alu instid0(VALU_DEP_4)
	v_add_co_ci_u32_e32 v23, vcc_lo, v5, v23, vcc_lo
	global_load_b32 v17, v[20:21], off
	global_load_b32 v20, v[22:23], off
	s_waitcnt vmcnt(1)
	v_subrev_nc_u32_e32 v17, s42, v17
	s_waitcnt vmcnt(0)
	v_subrev_nc_u32_e32 v20, s43, v20
	s_delay_alu instid0(VALU_DEP_1)
	v_cmpx_eq_u32_e64 v17, v20
	s_cbranch_execz .LBB48_11
; %bb.15:                               ;   in Loop: Header=BB48_13 Depth=4
	v_lshlrev_b64 v[21:22], 4, v[8:9]
	v_lshlrev_b64 v[23:24], 4, v[18:19]
	s_delay_alu instid0(VALU_DEP_2) | instskip(NEXT) | instid1(VALU_DEP_3)
	v_add_co_u32 v21, vcc_lo, v33, v21
	v_add_co_ci_u32_e32 v22, vcc_lo, v34, v22, vcc_lo
	s_delay_alu instid0(VALU_DEP_3) | instskip(NEXT) | instid1(VALU_DEP_4)
	v_add_co_u32 v36, vcc_lo, v6, v23
	v_add_co_ci_u32_e32 v37, vcc_lo, v7, v24, vcc_lo
	global_load_b128 v[21:24], v[21:22], off
	global_load_b128 v[36:39], v[36:37], off
	s_waitcnt vmcnt(0)
	v_fma_f64 v[0:1], v[21:22], v[36:37], v[0:1]
	v_fma_f64 v[2:3], v[23:24], v[36:37], v[2:3]
	s_delay_alu instid0(VALU_DEP_2) | instskip(NEXT) | instid1(VALU_DEP_2)
	v_fma_f64 v[0:1], -v[23:24], v[38:39], v[0:1]
	v_fma_f64 v[2:3], v[21:22], v[38:39], v[2:3]
	s_branch .LBB48_11
.LBB48_16:                              ;   in Loop: Header=BB48_9 Depth=3
	s_or_b32 exec_lo, exec_lo, s48
.LBB48_17:                              ;   in Loop: Header=BB48_9 Depth=3
	s_delay_alu instid0(SALU_CYCLE_1) | instskip(SKIP_3) | instid1(VALU_DEP_2)
	s_or_b32 exec_lo, exec_lo, s4
	v_lshlrev_b64 v[4:5], 4, v[11:12]
	v_cmp_le_i32_e64 s3, v10, v14
	s_mov_b32 s4, exec_lo
	v_add_co_u32 v4, vcc_lo, s30, v4
	s_delay_alu instid0(VALU_DEP_3)
	v_add_co_ci_u32_e32 v5, vcc_lo, s31, v5, vcc_lo
	global_load_b128 v[4:7], v[4:5], off
	s_waitcnt vmcnt(0)
	v_add_f64 v[0:1], v[4:5], -v[0:1]
	v_add_f64 v[2:3], v[6:7], -v[2:3]
	v_cmpx_gt_i32_e64 v10, v14
	s_cbranch_execz .LBB48_27
; %bb.18:                               ;   in Loop: Header=BB48_9 Depth=3
	v_lshlrev_b64 v[4:5], 4, v[14:15]
	s_mov_b32 s48, exec_lo
                                        ; implicit-def: $vgpr23_vgpr24
	s_delay_alu instid0(VALU_DEP_1) | instskip(NEXT) | instid1(VALU_DEP_2)
	v_add_co_u32 v4, vcc_lo, s36, v4
	v_add_co_ci_u32_e32 v5, vcc_lo, s37, v5, vcc_lo
	global_load_b128 v[4:7], v[4:5], off
	s_waitcnt vmcnt(0)
	v_cmp_gt_f64_e32 vcc_lo, 0, v[4:5]
	v_xor_b32_e32 v12, 0x80000000, v5
	v_mov_b32_e32 v19, v4
	v_xor_b32_e32 v17, 0x80000000, v7
	s_delay_alu instid0(VALU_DEP_3) | instskip(SKIP_1) | instid1(VALU_DEP_3)
	v_dual_mov_b32 v21, v6 :: v_dual_cndmask_b32 v20, v5, v12
	v_cmp_gt_f64_e32 vcc_lo, 0, v[6:7]
	v_cndmask_b32_e32 v22, v7, v17, vcc_lo
	s_delay_alu instid0(VALU_DEP_1)
	v_cmpx_ngt_f64_e32 v[19:20], v[21:22]
	s_xor_b32 s48, exec_lo, s48
	s_cbranch_execz .LBB48_22
; %bb.19:                               ;   in Loop: Header=BB48_9 Depth=3
	v_mov_b32_e32 v23, 0
	v_mov_b32_e32 v24, 0
	s_mov_b32 s49, exec_lo
	v_cmpx_neq_f64_e32 0, v[6:7]
	s_cbranch_execz .LBB48_21
; %bb.20:                               ;   in Loop: Header=BB48_9 Depth=3
	v_div_scale_f64 v[23:24], null, v[21:22], v[21:22], v[19:20]
	v_div_scale_f64 v[40:41], vcc_lo, v[19:20], v[21:22], v[19:20]
	s_delay_alu instid0(VALU_DEP_2) | instskip(SKIP_2) | instid1(VALU_DEP_1)
	v_rcp_f64_e32 v[36:37], v[23:24]
	s_waitcnt_depctr 0xfff
	v_fma_f64 v[38:39], -v[23:24], v[36:37], 1.0
	v_fma_f64 v[36:37], v[36:37], v[38:39], v[36:37]
	s_delay_alu instid0(VALU_DEP_1) | instskip(NEXT) | instid1(VALU_DEP_1)
	v_fma_f64 v[38:39], -v[23:24], v[36:37], 1.0
	v_fma_f64 v[36:37], v[36:37], v[38:39], v[36:37]
	s_delay_alu instid0(VALU_DEP_1) | instskip(NEXT) | instid1(VALU_DEP_1)
	v_mul_f64 v[38:39], v[40:41], v[36:37]
	v_fma_f64 v[23:24], -v[23:24], v[38:39], v[40:41]
	s_delay_alu instid0(VALU_DEP_1) | instskip(NEXT) | instid1(VALU_DEP_1)
	v_div_fmas_f64 v[23:24], v[23:24], v[36:37], v[38:39]
	v_div_fixup_f64 v[19:20], v[23:24], v[21:22], v[19:20]
	s_delay_alu instid0(VALU_DEP_1) | instskip(NEXT) | instid1(VALU_DEP_1)
	v_fma_f64 v[19:20], v[19:20], v[19:20], 1.0
	v_cmp_gt_f64_e32 vcc_lo, 0x10000000, v[19:20]
	v_cndmask_b32_e64 v12, 0, 1, vcc_lo
	s_delay_alu instid0(VALU_DEP_1) | instskip(NEXT) | instid1(VALU_DEP_1)
	v_lshlrev_b32_e32 v12, 8, v12
	v_ldexp_f64 v[19:20], v[19:20], v12
	v_cndmask_b32_e64 v12, 0, 0xffffff80, vcc_lo
	s_delay_alu instid0(VALU_DEP_2) | instskip(SKIP_4) | instid1(VALU_DEP_1)
	v_rsq_f64_e32 v[23:24], v[19:20]
	v_cmp_class_f64_e64 vcc_lo, v[19:20], 0x260
	s_waitcnt_depctr 0xfff
	v_mul_f64 v[36:37], v[19:20], v[23:24]
	v_mul_f64 v[23:24], v[23:24], 0.5
	v_fma_f64 v[38:39], -v[23:24], v[36:37], 0.5
	s_delay_alu instid0(VALU_DEP_1) | instskip(SKIP_1) | instid1(VALU_DEP_2)
	v_fma_f64 v[36:37], v[36:37], v[38:39], v[36:37]
	v_fma_f64 v[23:24], v[23:24], v[38:39], v[23:24]
	v_fma_f64 v[38:39], -v[36:37], v[36:37], v[19:20]
	s_delay_alu instid0(VALU_DEP_1) | instskip(NEXT) | instid1(VALU_DEP_1)
	v_fma_f64 v[36:37], v[38:39], v[23:24], v[36:37]
	v_fma_f64 v[38:39], -v[36:37], v[36:37], v[19:20]
	s_delay_alu instid0(VALU_DEP_1) | instskip(NEXT) | instid1(VALU_DEP_1)
	v_fma_f64 v[23:24], v[38:39], v[23:24], v[36:37]
	v_ldexp_f64 v[23:24], v[23:24], v12
	s_delay_alu instid0(VALU_DEP_1) | instskip(NEXT) | instid1(VALU_DEP_1)
	v_dual_cndmask_b32 v19, v23, v19 :: v_dual_cndmask_b32 v20, v24, v20
	v_mul_f64 v[23:24], v[21:22], v[19:20]
.LBB48_21:                              ;   in Loop: Header=BB48_9 Depth=3
	s_or_b32 exec_lo, exec_lo, s49
                                        ; implicit-def: $vgpr19_vgpr20
                                        ; implicit-def: $vgpr21_vgpr22
.LBB48_22:                              ;   in Loop: Header=BB48_9 Depth=3
	s_and_not1_saveexec_b32 s48, s48
	s_cbranch_execz .LBB48_24
; %bb.23:                               ;   in Loop: Header=BB48_9 Depth=3
	v_div_scale_f64 v[23:24], null, v[19:20], v[19:20], v[21:22]
	v_div_scale_f64 v[40:41], vcc_lo, v[21:22], v[19:20], v[21:22]
	s_delay_alu instid0(VALU_DEP_2) | instskip(SKIP_2) | instid1(VALU_DEP_1)
	v_rcp_f64_e32 v[36:37], v[23:24]
	s_waitcnt_depctr 0xfff
	v_fma_f64 v[38:39], -v[23:24], v[36:37], 1.0
	v_fma_f64 v[36:37], v[36:37], v[38:39], v[36:37]
	s_delay_alu instid0(VALU_DEP_1) | instskip(NEXT) | instid1(VALU_DEP_1)
	v_fma_f64 v[38:39], -v[23:24], v[36:37], 1.0
	v_fma_f64 v[36:37], v[36:37], v[38:39], v[36:37]
	s_delay_alu instid0(VALU_DEP_1) | instskip(NEXT) | instid1(VALU_DEP_1)
	v_mul_f64 v[38:39], v[40:41], v[36:37]
	v_fma_f64 v[23:24], -v[23:24], v[38:39], v[40:41]
	s_delay_alu instid0(VALU_DEP_1) | instskip(NEXT) | instid1(VALU_DEP_1)
	v_div_fmas_f64 v[23:24], v[23:24], v[36:37], v[38:39]
	v_div_fixup_f64 v[21:22], v[23:24], v[19:20], v[21:22]
	s_delay_alu instid0(VALU_DEP_1) | instskip(NEXT) | instid1(VALU_DEP_1)
	v_fma_f64 v[21:22], v[21:22], v[21:22], 1.0
	v_cmp_gt_f64_e32 vcc_lo, 0x10000000, v[21:22]
	v_cndmask_b32_e64 v12, 0, 1, vcc_lo
	s_delay_alu instid0(VALU_DEP_1) | instskip(NEXT) | instid1(VALU_DEP_1)
	v_lshlrev_b32_e32 v12, 8, v12
	v_ldexp_f64 v[21:22], v[21:22], v12
	v_cndmask_b32_e64 v12, 0, 0xffffff80, vcc_lo
	s_delay_alu instid0(VALU_DEP_2) | instskip(SKIP_4) | instid1(VALU_DEP_1)
	v_rsq_f64_e32 v[23:24], v[21:22]
	v_cmp_class_f64_e64 vcc_lo, v[21:22], 0x260
	s_waitcnt_depctr 0xfff
	v_mul_f64 v[36:37], v[21:22], v[23:24]
	v_mul_f64 v[23:24], v[23:24], 0.5
	v_fma_f64 v[38:39], -v[23:24], v[36:37], 0.5
	s_delay_alu instid0(VALU_DEP_1) | instskip(SKIP_1) | instid1(VALU_DEP_2)
	v_fma_f64 v[36:37], v[36:37], v[38:39], v[36:37]
	v_fma_f64 v[23:24], v[23:24], v[38:39], v[23:24]
	v_fma_f64 v[38:39], -v[36:37], v[36:37], v[21:22]
	s_delay_alu instid0(VALU_DEP_1) | instskip(NEXT) | instid1(VALU_DEP_1)
	v_fma_f64 v[36:37], v[38:39], v[23:24], v[36:37]
	v_fma_f64 v[38:39], -v[36:37], v[36:37], v[21:22]
	s_delay_alu instid0(VALU_DEP_1) | instskip(NEXT) | instid1(VALU_DEP_1)
	v_fma_f64 v[23:24], v[38:39], v[23:24], v[36:37]
	v_ldexp_f64 v[23:24], v[23:24], v12
	s_delay_alu instid0(VALU_DEP_1) | instskip(NEXT) | instid1(VALU_DEP_1)
	v_dual_cndmask_b32 v21, v23, v21 :: v_dual_cndmask_b32 v22, v24, v22
	v_mul_f64 v[23:24], v[19:20], v[21:22]
.LBB48_24:                              ;   in Loop: Header=BB48_9 Depth=3
	s_or_b32 exec_lo, exec_lo, s48
	v_mov_b32_e32 v19, 0
	v_mov_b32_e32 v20, 0
	s_mov_b32 s48, exec_lo
	s_delay_alu instid0(VALU_DEP_1) | instskip(NEXT) | instid1(VALU_DEP_4)
	v_dual_mov_b32 v22, v20 :: v_dual_mov_b32 v21, v19
	v_cmpx_lt_f64_e32 0, v[23:24]
	s_cbranch_execz .LBB48_26
; %bb.25:                               ;   in Loop: Header=BB48_9 Depth=3
	v_mul_f64 v[19:20], v[6:7], v[6:7]
	s_delay_alu instid0(VALU_DEP_1) | instskip(NEXT) | instid1(VALU_DEP_1)
	v_fma_f64 v[19:20], v[4:5], v[4:5], v[19:20]
	v_div_scale_f64 v[21:22], null, v[19:20], v[19:20], 1.0
	v_div_scale_f64 v[38:39], vcc_lo, 1.0, v[19:20], 1.0
	s_delay_alu instid0(VALU_DEP_2) | instskip(SKIP_2) | instid1(VALU_DEP_1)
	v_rcp_f64_e32 v[23:24], v[21:22]
	s_waitcnt_depctr 0xfff
	v_fma_f64 v[36:37], -v[21:22], v[23:24], 1.0
	v_fma_f64 v[23:24], v[23:24], v[36:37], v[23:24]
	s_delay_alu instid0(VALU_DEP_1) | instskip(NEXT) | instid1(VALU_DEP_1)
	v_fma_f64 v[36:37], -v[21:22], v[23:24], 1.0
	v_fma_f64 v[23:24], v[23:24], v[36:37], v[23:24]
	s_delay_alu instid0(VALU_DEP_1) | instskip(NEXT) | instid1(VALU_DEP_1)
	v_mul_f64 v[36:37], v[38:39], v[23:24]
	v_fma_f64 v[21:22], -v[21:22], v[36:37], v[38:39]
	v_mul_f64 v[38:39], v[2:3], v[6:7]
	v_mul_f64 v[6:7], v[6:7], -v[0:1]
	s_delay_alu instid0(VALU_DEP_3) | instskip(NEXT) | instid1(VALU_DEP_3)
	v_div_fmas_f64 v[21:22], v[21:22], v[23:24], v[36:37]
	v_fma_f64 v[0:1], v[0:1], v[4:5], v[38:39]
	s_delay_alu instid0(VALU_DEP_3) | instskip(NEXT) | instid1(VALU_DEP_3)
	v_fma_f64 v[2:3], v[2:3], v[4:5], v[6:7]
	v_div_fixup_f64 v[21:22], v[21:22], v[19:20], 1.0
	s_delay_alu instid0(VALU_DEP_1) | instskip(NEXT) | instid1(VALU_DEP_3)
	v_mul_f64 v[19:20], v[0:1], v[21:22]
	v_mul_f64 v[21:22], v[2:3], v[21:22]
.LBB48_26:                              ;   in Loop: Header=BB48_9 Depth=3
	s_or_b32 exec_lo, exec_lo, s48
	s_delay_alu instid0(VALU_DEP_2) | instskip(NEXT) | instid1(VALU_DEP_2)
	v_dual_mov_b32 v0, v19 :: v_dual_mov_b32 v1, v20
	v_dual_mov_b32 v2, v21 :: v_dual_mov_b32 v3, v22
.LBB48_27:                              ;   in Loop: Header=BB48_9 Depth=3
	s_or_b32 exec_lo, exec_lo, s4
	s_delay_alu instid0(VALU_DEP_2) | instskip(NEXT) | instid1(VALU_DEP_2)
	v_cmp_gt_f64_e32 vcc_lo, 0, v[0:1]
	v_cmp_gt_f64_e64 s4, 0, v[2:3]
	v_xor_b32_e32 v4, 0x80000000, v1
	v_xor_b32_e32 v6, 0x80000000, v3
                                        ; implicit-def: $vgpr19_vgpr20
	s_delay_alu instid0(VALU_DEP_2) | instskip(NEXT) | instid1(VALU_DEP_2)
	v_cndmask_b32_e32 v5, v1, v4, vcc_lo
	v_cndmask_b32_e64 v7, v3, v6, s4
	v_cndmask_b32_e32 v4, v0, v0, vcc_lo
	v_cndmask_b32_e64 v6, v2, v2, s4
	s_mov_b32 s4, exec_lo
	s_delay_alu instid0(VALU_DEP_1)
	v_cmpx_ngt_f64_e32 v[4:5], v[6:7]
	s_xor_b32 s4, exec_lo, s4
	s_cbranch_execnz .LBB48_30
; %bb.28:                               ;   in Loop: Header=BB48_9 Depth=3
	s_and_not1_saveexec_b32 s4, s4
	s_cbranch_execnz .LBB48_33
.LBB48_29:                              ;   in Loop: Header=BB48_9 Depth=3
	s_or_b32 exec_lo, exec_lo, s4
	s_delay_alu instid0(VALU_DEP_1) | instskip(NEXT) | instid1(VALU_DEP_1)
	v_cmp_class_f64_e64 s48, v[19:20], 0x1f8
	s_and_saveexec_b32 s4, s48
	s_cbranch_execz .LBB48_8
	s_branch .LBB48_34
.LBB48_30:                              ;   in Loop: Header=BB48_9 Depth=3
	v_mov_b32_e32 v19, 0
	v_mov_b32_e32 v20, 0
	s_mov_b32 s48, exec_lo
	v_cmpx_neq_f64_e32 0, v[2:3]
	s_cbranch_execz .LBB48_32
; %bb.31:                               ;   in Loop: Header=BB48_9 Depth=3
	v_div_scale_f64 v[19:20], null, v[6:7], v[6:7], v[4:5]
	v_div_scale_f64 v[36:37], vcc_lo, v[4:5], v[6:7], v[4:5]
	s_delay_alu instid0(VALU_DEP_2) | instskip(SKIP_2) | instid1(VALU_DEP_1)
	v_rcp_f64_e32 v[21:22], v[19:20]
	s_waitcnt_depctr 0xfff
	v_fma_f64 v[23:24], -v[19:20], v[21:22], 1.0
	v_fma_f64 v[21:22], v[21:22], v[23:24], v[21:22]
	s_delay_alu instid0(VALU_DEP_1) | instskip(NEXT) | instid1(VALU_DEP_1)
	v_fma_f64 v[23:24], -v[19:20], v[21:22], 1.0
	v_fma_f64 v[21:22], v[21:22], v[23:24], v[21:22]
	s_delay_alu instid0(VALU_DEP_1) | instskip(NEXT) | instid1(VALU_DEP_1)
	v_mul_f64 v[23:24], v[36:37], v[21:22]
	v_fma_f64 v[19:20], -v[19:20], v[23:24], v[36:37]
	s_delay_alu instid0(VALU_DEP_1) | instskip(NEXT) | instid1(VALU_DEP_1)
	v_div_fmas_f64 v[19:20], v[19:20], v[21:22], v[23:24]
	v_div_fixup_f64 v[4:5], v[19:20], v[6:7], v[4:5]
	s_delay_alu instid0(VALU_DEP_1) | instskip(NEXT) | instid1(VALU_DEP_1)
	v_fma_f64 v[4:5], v[4:5], v[4:5], 1.0
	v_cmp_gt_f64_e32 vcc_lo, 0x10000000, v[4:5]
	v_cndmask_b32_e64 v12, 0, 1, vcc_lo
	s_delay_alu instid0(VALU_DEP_1) | instskip(NEXT) | instid1(VALU_DEP_1)
	v_lshlrev_b32_e32 v12, 8, v12
	v_ldexp_f64 v[4:5], v[4:5], v12
	v_cndmask_b32_e64 v12, 0, 0xffffff80, vcc_lo
	s_delay_alu instid0(VALU_DEP_2) | instskip(SKIP_4) | instid1(VALU_DEP_1)
	v_rsq_f64_e32 v[19:20], v[4:5]
	v_cmp_class_f64_e64 vcc_lo, v[4:5], 0x260
	s_waitcnt_depctr 0xfff
	v_mul_f64 v[21:22], v[4:5], v[19:20]
	v_mul_f64 v[19:20], v[19:20], 0.5
	v_fma_f64 v[23:24], -v[19:20], v[21:22], 0.5
	s_delay_alu instid0(VALU_DEP_1) | instskip(SKIP_1) | instid1(VALU_DEP_2)
	v_fma_f64 v[21:22], v[21:22], v[23:24], v[21:22]
	v_fma_f64 v[19:20], v[19:20], v[23:24], v[19:20]
	v_fma_f64 v[23:24], -v[21:22], v[21:22], v[4:5]
	s_delay_alu instid0(VALU_DEP_1) | instskip(NEXT) | instid1(VALU_DEP_1)
	v_fma_f64 v[21:22], v[23:24], v[19:20], v[21:22]
	v_fma_f64 v[23:24], -v[21:22], v[21:22], v[4:5]
	s_delay_alu instid0(VALU_DEP_1) | instskip(NEXT) | instid1(VALU_DEP_1)
	v_fma_f64 v[19:20], v[23:24], v[19:20], v[21:22]
	v_ldexp_f64 v[19:20], v[19:20], v12
	s_delay_alu instid0(VALU_DEP_1) | instskip(NEXT) | instid1(VALU_DEP_1)
	v_dual_cndmask_b32 v5, v20, v5 :: v_dual_cndmask_b32 v4, v19, v4
	v_mul_f64 v[19:20], v[6:7], v[4:5]
.LBB48_32:                              ;   in Loop: Header=BB48_9 Depth=3
	s_or_b32 exec_lo, exec_lo, s48
                                        ; implicit-def: $vgpr4_vgpr5
                                        ; implicit-def: $vgpr6_vgpr7
	s_and_not1_saveexec_b32 s4, s4
	s_cbranch_execz .LBB48_29
.LBB48_33:                              ;   in Loop: Header=BB48_9 Depth=3
	v_div_scale_f64 v[19:20], null, v[4:5], v[4:5], v[6:7]
	v_div_scale_f64 v[36:37], vcc_lo, v[6:7], v[4:5], v[6:7]
	s_delay_alu instid0(VALU_DEP_2) | instskip(SKIP_2) | instid1(VALU_DEP_1)
	v_rcp_f64_e32 v[21:22], v[19:20]
	s_waitcnt_depctr 0xfff
	v_fma_f64 v[23:24], -v[19:20], v[21:22], 1.0
	v_fma_f64 v[21:22], v[21:22], v[23:24], v[21:22]
	s_delay_alu instid0(VALU_DEP_1) | instskip(NEXT) | instid1(VALU_DEP_1)
	v_fma_f64 v[23:24], -v[19:20], v[21:22], 1.0
	v_fma_f64 v[21:22], v[21:22], v[23:24], v[21:22]
	s_delay_alu instid0(VALU_DEP_1) | instskip(NEXT) | instid1(VALU_DEP_1)
	v_mul_f64 v[23:24], v[36:37], v[21:22]
	v_fma_f64 v[19:20], -v[19:20], v[23:24], v[36:37]
	s_delay_alu instid0(VALU_DEP_1) | instskip(NEXT) | instid1(VALU_DEP_1)
	v_div_fmas_f64 v[19:20], v[19:20], v[21:22], v[23:24]
	v_div_fixup_f64 v[6:7], v[19:20], v[4:5], v[6:7]
	s_delay_alu instid0(VALU_DEP_1) | instskip(NEXT) | instid1(VALU_DEP_1)
	v_fma_f64 v[6:7], v[6:7], v[6:7], 1.0
	v_cmp_gt_f64_e32 vcc_lo, 0x10000000, v[6:7]
	v_cndmask_b32_e64 v12, 0, 1, vcc_lo
	s_delay_alu instid0(VALU_DEP_1) | instskip(NEXT) | instid1(VALU_DEP_1)
	v_lshlrev_b32_e32 v12, 8, v12
	v_ldexp_f64 v[6:7], v[6:7], v12
	v_cndmask_b32_e64 v12, 0, 0xffffff80, vcc_lo
	s_delay_alu instid0(VALU_DEP_2) | instskip(SKIP_4) | instid1(VALU_DEP_1)
	v_rsq_f64_e32 v[19:20], v[6:7]
	v_cmp_class_f64_e64 vcc_lo, v[6:7], 0x260
	s_waitcnt_depctr 0xfff
	v_mul_f64 v[21:22], v[6:7], v[19:20]
	v_mul_f64 v[19:20], v[19:20], 0.5
	v_fma_f64 v[23:24], -v[19:20], v[21:22], 0.5
	s_delay_alu instid0(VALU_DEP_1) | instskip(SKIP_1) | instid1(VALU_DEP_2)
	v_fma_f64 v[21:22], v[21:22], v[23:24], v[21:22]
	v_fma_f64 v[19:20], v[19:20], v[23:24], v[19:20]
	v_fma_f64 v[23:24], -v[21:22], v[21:22], v[6:7]
	s_delay_alu instid0(VALU_DEP_1) | instskip(NEXT) | instid1(VALU_DEP_1)
	v_fma_f64 v[21:22], v[23:24], v[19:20], v[21:22]
	v_fma_f64 v[23:24], -v[21:22], v[21:22], v[6:7]
	s_delay_alu instid0(VALU_DEP_1) | instskip(NEXT) | instid1(VALU_DEP_1)
	v_fma_f64 v[19:20], v[23:24], v[19:20], v[21:22]
	v_ldexp_f64 v[19:20], v[19:20], v12
	s_delay_alu instid0(VALU_DEP_1) | instskip(NEXT) | instid1(VALU_DEP_1)
	v_dual_cndmask_b32 v7, v20, v7 :: v_dual_cndmask_b32 v6, v19, v6
	v_mul_f64 v[19:20], v[4:5], v[6:7]
	s_or_b32 exec_lo, exec_lo, s4
	s_delay_alu instid0(VALU_DEP_1) | instskip(NEXT) | instid1(VALU_DEP_1)
	v_cmp_class_f64_e64 s48, v[19:20], 0x1f8
	s_and_saveexec_b32 s4, s48
	s_cbranch_execz .LBB48_8
.LBB48_34:                              ;   in Loop: Header=BB48_9 Depth=3
	s_mov_b32 s48, 0
                                        ; implicit-def: $vgpr4_vgpr5
	s_and_saveexec_b32 s49, s3
	s_delay_alu instid0(SALU_CYCLE_1)
	s_xor_b32 s3, exec_lo, s49
	s_cbranch_execnz .LBB48_37
; %bb.35:                               ;   in Loop: Header=BB48_9 Depth=3
	s_and_not1_saveexec_b32 s3, s3
	s_cbranch_execnz .LBB48_50
.LBB48_36:                              ;   in Loop: Header=BB48_9 Depth=3
	s_or_b32 exec_lo, exec_lo, s3
	s_delay_alu instid0(SALU_CYCLE_1)
	s_and_b32 exec_lo, exec_lo, s48
	s_cbranch_execz .LBB48_8
	s_branch .LBB48_59
.LBB48_37:                              ;   in Loop: Header=BB48_9 Depth=3
	s_mov_b32 s49, exec_lo
                                        ; implicit-def: $vgpr4_vgpr5
	v_cmpx_ge_i32_e64 v10, v14
	s_xor_b32 s49, exec_lo, s49
; %bb.38:                               ;   in Loop: Header=BB48_9 Depth=3
	v_lshlrev_b64 v[4:5], 4, v[14:15]
	s_mov_b32 s48, exec_lo
                                        ; implicit-def: $vgpr18
                                        ; implicit-def: $vgpr35
                                        ; implicit-def: $vgpr16
	s_delay_alu instid0(VALU_DEP_1) | instskip(NEXT) | instid1(VALU_DEP_2)
	v_add_co_u32 v4, vcc_lo, s38, v4
	v_add_co_ci_u32_e32 v5, vcc_lo, s39, v5, vcc_lo
; %bb.39:                               ;   in Loop: Header=BB48_9 Depth=3
	s_and_not1_saveexec_b32 s49, s49
	s_cbranch_execz .LBB48_49
; %bb.40:                               ;   in Loop: Header=BB48_9 Depth=3
	s_mov_b32 s51, s48
	s_mov_b32 s50, exec_lo
                                        ; implicit-def: $vgpr4_vgpr5
	v_cmpx_lt_i32_e64 v18, v35
	s_cbranch_execz .LBB48_48
; %bb.41:                               ;   in Loop: Header=BB48_9 Depth=3
	s_mov_b32 s52, 0
                                        ; implicit-def: $sgpr51
                                        ; implicit-def: $sgpr54
                                        ; implicit-def: $sgpr53
	s_set_inst_prefetch_distance 0x1
	s_branch .LBB48_43
	.p2align	6
.LBB48_42:                              ;   in Loop: Header=BB48_43 Depth=4
	s_or_b32 exec_lo, exec_lo, s55
	s_delay_alu instid0(SALU_CYCLE_1) | instskip(NEXT) | instid1(SALU_CYCLE_1)
	s_and_b32 s55, exec_lo, s54
	s_or_b32 s52, s55, s52
	s_and_not1_b32 s51, s51, exec_lo
	s_and_b32 s55, s53, exec_lo
	s_delay_alu instid0(SALU_CYCLE_1)
	s_or_b32 s51, s51, s55
	s_and_not1_b32 exec_lo, exec_lo, s52
	s_cbranch_execz .LBB48_45
.LBB48_43:                              ;   Parent Loop BB48_3 Depth=1
                                        ;     Parent Loop BB48_5 Depth=2
                                        ;       Parent Loop BB48_9 Depth=3
                                        ; =>      This Inner Loop Header: Depth=4
	v_add_nc_u32_e32 v6, v16, v18
	s_or_b32 s53, s53, exec_lo
	s_or_b32 s54, s54, exec_lo
	s_mov_b32 s55, exec_lo
	s_delay_alu instid0(VALU_DEP_1) | instskip(NEXT) | instid1(VALU_DEP_1)
	v_ashrrev_i32_e32 v7, 31, v6
	v_lshlrev_b64 v[4:5], 2, v[6:7]
	s_delay_alu instid0(VALU_DEP_1) | instskip(NEXT) | instid1(VALU_DEP_2)
	v_add_co_u32 v4, vcc_lo, s12, v4
	v_add_co_ci_u32_e32 v5, vcc_lo, s13, v5, vcc_lo
	global_load_b32 v4, v[4:5], off
	s_waitcnt vmcnt(0)
	v_subrev_nc_u32_e32 v4, s43, v4
	s_delay_alu instid0(VALU_DEP_1)
	v_cmpx_ne_u32_e64 v4, v10
	s_cbranch_execz .LBB48_42
; %bb.44:                               ;   in Loop: Header=BB48_43 Depth=4
	v_add_nc_u32_e32 v18, 1, v18
	s_and_not1_b32 s54, s54, exec_lo
	s_and_not1_b32 s53, s53, exec_lo
	s_delay_alu instid0(VALU_DEP_1) | instskip(SKIP_1) | instid1(SALU_CYCLE_1)
	v_cmp_ge_i32_e32 vcc_lo, v18, v35
	s_and_b32 s56, vcc_lo, exec_lo
	s_or_b32 s54, s54, s56
	s_branch .LBB48_42
.LBB48_45:                              ;   in Loop: Header=BB48_9 Depth=3
	s_set_inst_prefetch_distance 0x2
	s_or_b32 exec_lo, exec_lo, s52
	s_mov_b32 s52, s48
                                        ; implicit-def: $vgpr4_vgpr5
	s_and_saveexec_b32 s53, s51
	s_delay_alu instid0(SALU_CYCLE_1)
	s_xor_b32 s51, exec_lo, s53
; %bb.46:                               ;   in Loop: Header=BB48_9 Depth=3
	v_lshlrev_b64 v[4:5], 4, v[6:7]
	s_or_b32 s52, s48, exec_lo
	s_delay_alu instid0(VALU_DEP_1) | instskip(NEXT) | instid1(VALU_DEP_2)
	v_add_co_u32 v4, vcc_lo, s34, v4
	v_add_co_ci_u32_e32 v5, vcc_lo, s35, v5, vcc_lo
; %bb.47:                               ;   in Loop: Header=BB48_9 Depth=3
	s_or_b32 exec_lo, exec_lo, s51
	s_delay_alu instid0(SALU_CYCLE_1) | instskip(SKIP_1) | instid1(SALU_CYCLE_1)
	s_and_not1_b32 s51, s48, exec_lo
	s_and_b32 s52, s52, exec_lo
	s_or_b32 s51, s51, s52
.LBB48_48:                              ;   in Loop: Header=BB48_9 Depth=3
	s_or_b32 exec_lo, exec_lo, s50
	s_delay_alu instid0(SALU_CYCLE_1) | instskip(SKIP_1) | instid1(SALU_CYCLE_1)
	s_and_not1_b32 s48, s48, exec_lo
	s_and_b32 s50, s51, exec_lo
	s_or_b32 s48, s48, s50
.LBB48_49:                              ;   in Loop: Header=BB48_9 Depth=3
	s_or_b32 exec_lo, exec_lo, s49
	s_delay_alu instid0(SALU_CYCLE_1)
	s_and_b32 s48, s48, exec_lo
                                        ; implicit-def: $vgpr14_vgpr15
	s_and_not1_saveexec_b32 s3, s3
	s_cbranch_execz .LBB48_36
.LBB48_50:                              ;   in Loop: Header=BB48_9 Depth=3
	s_mov_b32 s50, s48
	s_mov_b32 s49, exec_lo
                                        ; implicit-def: $vgpr4_vgpr5
	v_cmpx_lt_i32_e64 v8, v30
	s_cbranch_execz .LBB48_58
; %bb.51:                               ;   in Loop: Header=BB48_9 Depth=3
	s_mov_b32 s51, 0
                                        ; implicit-def: $sgpr50
                                        ; implicit-def: $sgpr53
                                        ; implicit-def: $sgpr52
	s_set_inst_prefetch_distance 0x1
	s_branch .LBB48_53
	.p2align	6
.LBB48_52:                              ;   in Loop: Header=BB48_53 Depth=4
	s_or_b32 exec_lo, exec_lo, s54
	s_delay_alu instid0(SALU_CYCLE_1) | instskip(NEXT) | instid1(SALU_CYCLE_1)
	s_and_b32 s54, exec_lo, s53
	s_or_b32 s51, s54, s51
	s_and_not1_b32 s50, s50, exec_lo
	s_and_b32 s54, s52, exec_lo
	s_delay_alu instid0(SALU_CYCLE_1)
	s_or_b32 s50, s50, s54
	s_and_not1_b32 exec_lo, exec_lo, s51
	s_cbranch_execz .LBB48_55
.LBB48_53:                              ;   Parent Loop BB48_3 Depth=1
                                        ;     Parent Loop BB48_5 Depth=2
                                        ;       Parent Loop BB48_9 Depth=3
                                        ; =>      This Inner Loop Header: Depth=4
	v_add_nc_u32_e32 v6, v13, v8
	s_or_b32 s52, s52, exec_lo
	s_or_b32 s53, s53, exec_lo
	s_mov_b32 s54, exec_lo
	s_delay_alu instid0(VALU_DEP_1) | instskip(NEXT) | instid1(VALU_DEP_1)
	v_ashrrev_i32_e32 v7, 31, v6
	v_lshlrev_b64 v[4:5], 2, v[6:7]
	s_delay_alu instid0(VALU_DEP_1) | instskip(NEXT) | instid1(VALU_DEP_2)
	v_add_co_u32 v4, vcc_lo, s20, v4
	v_add_co_ci_u32_e32 v5, vcc_lo, s21, v5, vcc_lo
	global_load_b32 v4, v[4:5], off
	s_waitcnt vmcnt(0)
	v_subrev_nc_u32_e32 v4, s42, v4
	s_delay_alu instid0(VALU_DEP_1)
	v_cmpx_ne_u32_e64 v4, v14
	s_cbranch_execz .LBB48_52
; %bb.54:                               ;   in Loop: Header=BB48_53 Depth=4
	v_add_nc_u32_e32 v8, 1, v8
	s_and_not1_b32 s53, s53, exec_lo
	s_and_not1_b32 s52, s52, exec_lo
	s_delay_alu instid0(VALU_DEP_1) | instskip(SKIP_1) | instid1(SALU_CYCLE_1)
	v_cmp_ge_i32_e32 vcc_lo, v8, v30
	s_and_b32 s55, vcc_lo, exec_lo
	s_or_b32 s53, s53, s55
	s_branch .LBB48_52
.LBB48_55:                              ;   in Loop: Header=BB48_9 Depth=3
	s_set_inst_prefetch_distance 0x2
	s_or_b32 exec_lo, exec_lo, s51
	s_mov_b32 s51, s48
                                        ; implicit-def: $vgpr4_vgpr5
	s_and_saveexec_b32 s52, s50
	s_delay_alu instid0(SALU_CYCLE_1)
	s_xor_b32 s50, exec_lo, s52
; %bb.56:                               ;   in Loop: Header=BB48_9 Depth=3
	v_lshlrev_b64 v[4:5], 4, v[6:7]
	s_or_b32 s51, s48, exec_lo
	s_delay_alu instid0(VALU_DEP_1) | instskip(NEXT) | instid1(VALU_DEP_2)
	v_add_co_u32 v4, vcc_lo, s40, v4
	v_add_co_ci_u32_e32 v5, vcc_lo, s41, v5, vcc_lo
; %bb.57:                               ;   in Loop: Header=BB48_9 Depth=3
	s_or_b32 exec_lo, exec_lo, s50
	s_delay_alu instid0(SALU_CYCLE_1) | instskip(SKIP_1) | instid1(SALU_CYCLE_1)
	s_and_not1_b32 s50, s48, exec_lo
	s_and_b32 s51, s51, exec_lo
	s_or_b32 s50, s50, s51
.LBB48_58:                              ;   in Loop: Header=BB48_9 Depth=3
	s_or_b32 exec_lo, exec_lo, s49
	s_delay_alu instid0(SALU_CYCLE_1) | instskip(SKIP_1) | instid1(SALU_CYCLE_1)
	s_and_not1_b32 s48, s48, exec_lo
	s_and_b32 s49, s50, exec_lo
	s_or_b32 s48, s48, s49
	s_or_b32 exec_lo, exec_lo, s3
	s_delay_alu instid0(SALU_CYCLE_1)
	s_and_b32 exec_lo, exec_lo, s48
	s_cbranch_execz .LBB48_8
.LBB48_59:                              ;   in Loop: Header=BB48_9 Depth=3
	global_store_b128 v[4:5], v[0:3], off
	s_branch .LBB48_8
.LBB48_60:                              ;   in Loop: Header=BB48_3 Depth=1
	s_and_saveexec_b32 s3, s0
	s_cbranch_execz .LBB48_2
; %bb.61:                               ;   in Loop: Header=BB48_3 Depth=1
	v_mov_b32_e32 v0, v25
	s_mov_b32 s4, 0
	s_branch .LBB48_63
.LBB48_62:                              ;   in Loop: Header=BB48_63 Depth=2
	s_or_b32 exec_lo, exec_lo, s45
	v_add_nc_u32_e32 v0, 16, v0
	s_delay_alu instid0(VALU_DEP_1) | instskip(SKIP_1) | instid1(SALU_CYCLE_1)
	v_cmp_le_u32_e32 vcc_lo, s44, v0
	s_or_b32 s4, vcc_lo, s4
	s_and_not1_b32 exec_lo, exec_lo, s4
	s_cbranch_execz .LBB48_2
.LBB48_63:                              ;   Parent Loop BB48_3 Depth=1
                                        ; =>  This Loop Header: Depth=2
                                        ;       Child Loop BB48_66 Depth 3
                                        ;       Child Loop BB48_69 Depth 3
	s_mov_b32 s45, exec_lo
	s_delay_alu instid0(VALU_DEP_1)
	v_cmpx_gt_i32_e64 s7, v0
	s_cbranch_execz .LBB48_62
; %bb.64:                               ;   in Loop: Header=BB48_63 Depth=2
	v_ashrrev_i32_e32 v1, 31, v0
	s_mov_b32 s46, exec_lo
	s_delay_alu instid0(VALU_DEP_1) | instskip(NEXT) | instid1(VALU_DEP_1)
	v_lshlrev_b64 v[2:3], 2, v[0:1]
	v_add_co_u32 v4, vcc_lo, s16, v2
	s_delay_alu instid0(VALU_DEP_2)
	v_add_co_ci_u32_e32 v5, vcc_lo, s17, v3, vcc_lo
	v_add_co_u32 v6, vcc_lo, s18, v2
	v_add_co_ci_u32_e32 v7, vcc_lo, s19, v3, vcc_lo
	global_load_b32 v4, v[4:5], off
	global_load_b32 v5, v[6:7], off
	s_waitcnt vmcnt(1)
	v_add_nc_u32_e32 v4, v27, v4
	s_waitcnt vmcnt(0)
	v_subrev_nc_u32_e32 v10, s42, v5
	s_delay_alu instid0(VALU_DEP_1)
	v_cmpx_lt_i32_e64 v4, v10
	s_cbranch_execz .LBB48_67
; %bb.65:                               ;   in Loop: Header=BB48_63 Depth=2
	v_ashrrev_i32_e32 v5, 31, v4
	s_mov_b32 s47, 0
	s_delay_alu instid0(VALU_DEP_1) | instskip(NEXT) | instid1(VALU_DEP_1)
	v_lshlrev_b64 v[7:8], 4, v[4:5]
	v_add_co_u32 v5, vcc_lo, s22, v7
	s_delay_alu instid0(VALU_DEP_2)
	v_add_co_ci_u32_e32 v6, vcc_lo, s23, v8, vcc_lo
	v_add_co_u32 v7, vcc_lo, s40, v7
	v_add_co_ci_u32_e32 v8, vcc_lo, s41, v8, vcc_lo
	.p2align	6
.LBB48_66:                              ;   Parent Loop BB48_3 Depth=1
                                        ;     Parent Loop BB48_63 Depth=2
                                        ; =>    This Inner Loop Header: Depth=3
	global_load_b128 v[11:14], v[7:8], off
	v_add_nc_u32_e32 v4, 64, v4
	v_add_co_u32 v7, vcc_lo, 0x400, v7
	v_add_co_ci_u32_e32 v8, vcc_lo, 0, v8, vcc_lo
	s_delay_alu instid0(VALU_DEP_3) | instskip(SKIP_4) | instid1(VALU_DEP_1)
	v_cmp_ge_i32_e32 vcc_lo, v4, v10
	s_or_b32 s47, vcc_lo, s47
	s_waitcnt vmcnt(0)
	global_store_b128 v[5:6], v[11:14], off
	v_add_co_u32 v5, s2, 0x400, v5
	v_add_co_ci_u32_e64 v6, s2, 0, v6, s2
	s_and_not1_b32 exec_lo, exec_lo, s47
	s_cbranch_execnz .LBB48_66
.LBB48_67:                              ;   in Loop: Header=BB48_63 Depth=2
	s_or_b32 exec_lo, exec_lo, s46
	v_add_co_u32 v4, vcc_lo, s8, v2
	v_add_co_ci_u32_e32 v5, vcc_lo, s9, v3, vcc_lo
	v_add_co_u32 v2, vcc_lo, s10, v2
	v_add_co_ci_u32_e32 v3, vcc_lo, s11, v3, vcc_lo
	s_mov_b32 s46, exec_lo
	global_load_b32 v4, v[4:5], off
	global_load_b32 v3, v[2:3], off
	s_waitcnt vmcnt(1)
	v_add_nc_u32_e32 v2, v28, v4
	s_waitcnt vmcnt(0)
	v_subrev_nc_u32_e32 v7, s43, v3
	s_delay_alu instid0(VALU_DEP_1)
	v_cmpx_lt_i32_e64 v2, v7
	s_cbranch_execz .LBB48_70
; %bb.68:                               ;   in Loop: Header=BB48_63 Depth=2
	v_ashrrev_i32_e32 v3, 31, v2
	s_mov_b32 s47, 0
	s_delay_alu instid0(VALU_DEP_1) | instskip(NEXT) | instid1(VALU_DEP_1)
	v_lshlrev_b64 v[5:6], 4, v[2:3]
	v_add_co_u32 v3, vcc_lo, s14, v5
	s_delay_alu instid0(VALU_DEP_2)
	v_add_co_ci_u32_e32 v4, vcc_lo, s15, v6, vcc_lo
	v_add_co_u32 v5, vcc_lo, s34, v5
	v_add_co_ci_u32_e32 v6, vcc_lo, s35, v6, vcc_lo
	.p2align	6
.LBB48_69:                              ;   Parent Loop BB48_3 Depth=1
                                        ;     Parent Loop BB48_63 Depth=2
                                        ; =>    This Inner Loop Header: Depth=3
	global_load_b128 v[10:13], v[5:6], off
	v_add_nc_u32_e32 v2, 64, v2
	v_add_co_u32 v5, vcc_lo, 0x400, v5
	v_add_co_ci_u32_e32 v6, vcc_lo, 0, v6, vcc_lo
	s_delay_alu instid0(VALU_DEP_3) | instskip(SKIP_4) | instid1(VALU_DEP_1)
	v_cmp_ge_i32_e32 vcc_lo, v2, v7
	s_or_b32 s47, vcc_lo, s47
	s_waitcnt vmcnt(0)
	global_store_b128 v[3:4], v[10:13], off
	v_add_co_u32 v3, s2, 0x400, v3
	v_add_co_ci_u32_e64 v4, s2, 0, v4, s2
	s_and_not1_b32 exec_lo, exec_lo, s47
	s_cbranch_execnz .LBB48_69
.LBB48_70:                              ;   in Loop: Header=BB48_63 Depth=2
	s_or_b32 exec_lo, exec_lo, s46
	s_delay_alu instid0(SALU_CYCLE_1)
	s_and_b32 exec_lo, exec_lo, s1
	s_cbranch_execz .LBB48_62
; %bb.71:                               ;   in Loop: Header=BB48_63 Depth=2
	v_lshlrev_b64 v[5:6], 4, v[0:1]
	s_delay_alu instid0(VALU_DEP_1) | instskip(NEXT) | instid1(VALU_DEP_2)
	v_add_co_u32 v1, vcc_lo, s38, v5
	v_add_co_ci_u32_e32 v2, vcc_lo, s39, v6, vcc_lo
	v_add_co_u32 v5, vcc_lo, s36, v5
	v_add_co_ci_u32_e32 v6, vcc_lo, s37, v6, vcc_lo
	global_load_b128 v[1:4], v[1:2], off
	s_waitcnt vmcnt(0)
	global_store_b128 v[5:6], v[1:4], off
	s_branch .LBB48_62
.LBB48_72:
	s_nop 0
	s_sendmsg sendmsg(MSG_DEALLOC_VGPRS)
	s_endpgm
	.section	.rodata,"a",@progbits
	.p2align	6, 0x0
	.amdhsa_kernel _ZN9rocsparseL14kernel_freerunILi1024ELi64E21rocsparse_complex_numIdEiiEEvT3_S3_T2_PKS4_S6_PKS3_PKT1_21rocsparse_index_base_S6_S6_S8_PS9_SD_SC_S6_S6_S8_SD_SD_SC_SD_SD_
		.amdhsa_group_segment_fixed_size 0
		.amdhsa_private_segment_fixed_size 0
		.amdhsa_kernarg_size 168
		.amdhsa_user_sgpr_count 15
		.amdhsa_user_sgpr_dispatch_ptr 0
		.amdhsa_user_sgpr_queue_ptr 0
		.amdhsa_user_sgpr_kernarg_segment_ptr 1
		.amdhsa_user_sgpr_dispatch_id 0
		.amdhsa_user_sgpr_private_segment_size 0
		.amdhsa_wavefront_size32 1
		.amdhsa_uses_dynamic_stack 0
		.amdhsa_enable_private_segment 0
		.amdhsa_system_sgpr_workgroup_id_x 1
		.amdhsa_system_sgpr_workgroup_id_y 0
		.amdhsa_system_sgpr_workgroup_id_z 0
		.amdhsa_system_sgpr_workgroup_info 0
		.amdhsa_system_vgpr_workitem_id 0
		.amdhsa_next_free_vgpr 42
		.amdhsa_next_free_sgpr 57
		.amdhsa_reserve_vcc 1
		.amdhsa_float_round_mode_32 0
		.amdhsa_float_round_mode_16_64 0
		.amdhsa_float_denorm_mode_32 3
		.amdhsa_float_denorm_mode_16_64 3
		.amdhsa_dx10_clamp 1
		.amdhsa_ieee_mode 1
		.amdhsa_fp16_overflow 0
		.amdhsa_workgroup_processor_mode 1
		.amdhsa_memory_ordered 1
		.amdhsa_forward_progress 0
		.amdhsa_shared_vgpr_count 0
		.amdhsa_exception_fp_ieee_invalid_op 0
		.amdhsa_exception_fp_denorm_src 0
		.amdhsa_exception_fp_ieee_div_zero 0
		.amdhsa_exception_fp_ieee_overflow 0
		.amdhsa_exception_fp_ieee_underflow 0
		.amdhsa_exception_fp_ieee_inexact 0
		.amdhsa_exception_int_div_zero 0
	.end_amdhsa_kernel
	.section	.text._ZN9rocsparseL14kernel_freerunILi1024ELi64E21rocsparse_complex_numIdEiiEEvT3_S3_T2_PKS4_S6_PKS3_PKT1_21rocsparse_index_base_S6_S6_S8_PS9_SD_SC_S6_S6_S8_SD_SD_SC_SD_SD_,"axG",@progbits,_ZN9rocsparseL14kernel_freerunILi1024ELi64E21rocsparse_complex_numIdEiiEEvT3_S3_T2_PKS4_S6_PKS3_PKT1_21rocsparse_index_base_S6_S6_S8_PS9_SD_SC_S6_S6_S8_SD_SD_SC_SD_SD_,comdat
.Lfunc_end48:
	.size	_ZN9rocsparseL14kernel_freerunILi1024ELi64E21rocsparse_complex_numIdEiiEEvT3_S3_T2_PKS4_S6_PKS3_PKT1_21rocsparse_index_base_S6_S6_S8_PS9_SD_SC_S6_S6_S8_SD_SD_SC_SD_SD_, .Lfunc_end48-_ZN9rocsparseL14kernel_freerunILi1024ELi64E21rocsparse_complex_numIdEiiEEvT3_S3_T2_PKS4_S6_PKS3_PKT1_21rocsparse_index_base_S6_S6_S8_PS9_SD_SC_S6_S6_S8_SD_SD_SC_SD_SD_
                                        ; -- End function
	.section	.AMDGPU.csdata,"",@progbits
; Kernel info:
; codeLenInByte = 4192
; NumSgprs: 59
; NumVgprs: 42
; ScratchSize: 0
; MemoryBound: 1
; FloatMode: 240
; IeeeMode: 1
; LDSByteSize: 0 bytes/workgroup (compile time only)
; SGPRBlocks: 7
; VGPRBlocks: 5
; NumSGPRsForWavesPerEU: 59
; NumVGPRsForWavesPerEU: 42
; Occupancy: 16
; WaveLimiterHint : 1
; COMPUTE_PGM_RSRC2:SCRATCH_EN: 0
; COMPUTE_PGM_RSRC2:USER_SGPR: 15
; COMPUTE_PGM_RSRC2:TRAP_HANDLER: 0
; COMPUTE_PGM_RSRC2:TGID_X_EN: 1
; COMPUTE_PGM_RSRC2:TGID_Y_EN: 0
; COMPUTE_PGM_RSRC2:TGID_Z_EN: 0
; COMPUTE_PGM_RSRC2:TIDIG_COMP_CNT: 0
	.section	.text._ZN9rocsparseL6kernelILi1024ELi1E21rocsparse_complex_numIdEiiEEvbbbT3_PS3_NS_15floating_traitsIT1_E6data_tES3_T2_PKS9_SB_PKS3_PKS6_21rocsparse_index_base_SB_SB_SD_PS6_SH_SG_SB_SB_SD_SH_SH_SG_SH_SH_PS8_SI_PKS8_,"axG",@progbits,_ZN9rocsparseL6kernelILi1024ELi1E21rocsparse_complex_numIdEiiEEvbbbT3_PS3_NS_15floating_traitsIT1_E6data_tES3_T2_PKS9_SB_PKS3_PKS6_21rocsparse_index_base_SB_SB_SD_PS6_SH_SG_SB_SB_SD_SH_SH_SG_SH_SH_PS8_SI_PKS8_,comdat
	.globl	_ZN9rocsparseL6kernelILi1024ELi1E21rocsparse_complex_numIdEiiEEvbbbT3_PS3_NS_15floating_traitsIT1_E6data_tES3_T2_PKS9_SB_PKS3_PKS6_21rocsparse_index_base_SB_SB_SD_PS6_SH_SG_SB_SB_SD_SH_SH_SG_SH_SH_PS8_SI_PKS8_ ; -- Begin function _ZN9rocsparseL6kernelILi1024ELi1E21rocsparse_complex_numIdEiiEEvbbbT3_PS3_NS_15floating_traitsIT1_E6data_tES3_T2_PKS9_SB_PKS3_PKS6_21rocsparse_index_base_SB_SB_SD_PS6_SH_SG_SB_SB_SD_SH_SH_SG_SH_SH_PS8_SI_PKS8_
	.p2align	8
	.type	_ZN9rocsparseL6kernelILi1024ELi1E21rocsparse_complex_numIdEiiEEvbbbT3_PS3_NS_15floating_traitsIT1_E6data_tES3_T2_PKS9_SB_PKS3_PKS6_21rocsparse_index_base_SB_SB_SD_PS6_SH_SG_SB_SB_SD_SH_SH_SG_SH_SH_PS8_SI_PKS8_,@function
_ZN9rocsparseL6kernelILi1024ELi1E21rocsparse_complex_numIdEiiEEvbbbT3_PS3_NS_15floating_traitsIT1_E6data_tES3_T2_PKS9_SB_PKS3_PKS6_21rocsparse_index_base_SB_SB_SD_PS6_SH_SG_SB_SB_SD_SH_SH_SG_SH_SH_PS8_SI_PKS8_: ; @_ZN9rocsparseL6kernelILi1024ELi1E21rocsparse_complex_numIdEiiEEvbbbT3_PS3_NS_15floating_traitsIT1_E6data_tES3_T2_PKS9_SB_PKS3_PKS6_21rocsparse_index_base_SB_SB_SD_PS6_SH_SG_SB_SB_SD_SH_SH_SG_SH_SH_PS8_SI_PKS8_
; %bb.0:
	s_clause 0x4
	s_load_b32 s2, s[0:1], 0x0
	s_load_b64 s[34:35], s[0:1], 0x0
	s_load_b32 s60, s[0:1], 0x18
	s_load_b128 s[48:51], s[0:1], 0x8
	s_load_b128 s[44:47], s[0:1], 0xb8
	v_dual_mov_b32 v5, 0 :: v_dual_lshlrev_b32 v38, 3, v0
	v_mov_b32_e32 v3, 0
	v_mov_b32_e32 v4, 0
	s_delay_alu instid0(VALU_DEP_2) | instskip(NEXT) | instid1(VALU_DEP_2)
	v_dual_mov_b32 v1, v3 :: v_dual_mov_b32 v6, v5
	v_mov_b32_e32 v2, v4
	ds_store_b64 v38, v[5:6]
	s_waitcnt lgkmcnt(0)
	s_barrier
	buffer_gl0_inv
	s_bitcmp1_b32 s2, 0
	s_cselect_b32 s59, -1, 0
	s_bitcmp1_b32 s2, 8
	s_cselect_b32 s58, -1, 0
	;; [unrolled: 2-line block ×3, first 2 shown]
	s_lshl_b32 s64, s15, 10
	s_cmp_gt_i32 s35, 0
	v_or_b32_e32 v17, s64, v0
	s_cselect_b32 s2, -1, 0
	s_mov_b32 s15, 0
	s_delay_alu instid0(VALU_DEP_1) | instskip(SKIP_1) | instid1(SALU_CYCLE_1)
	v_cmp_gt_i32_e32 vcc_lo, s60, v17
	s_and_b32 s2, s2, vcc_lo
	s_and_saveexec_b32 s34, s2
	s_cbranch_execz .LBB49_183
; %bb.1:
	s_clause 0x1
	s_load_b256 s[16:23], s[0:1], 0x48
	s_load_b256 s[24:31], s[0:1], 0x20
	v_ashrrev_i32_e32 v18, 31, v17
	s_addk_i32 s64, 0x400
	v_cmp_gt_u32_e64 s2, 0x80, v0
	v_cmp_gt_u32_e64 s3, 64, v0
	;; [unrolled: 1-line block ×3, first 2 shown]
	v_lshlrev_b64 v[1:2], 2, v[17:18]
	v_cmp_gt_u32_e64 s5, 16, v0
	v_cmp_gt_u32_e64 s6, 8, v0
	;; [unrolled: 1-line block ×4, first 2 shown]
	v_cmp_eq_u32_e64 s9, 0, v0
	v_cmp_gt_u32_e64 s10, s64, v17
	s_and_b32 s13, s58, s33
	s_xor_b32 s65, s58, -1
	s_xor_b32 s66, s13, -1
	s_mov_b32 s67, 0
	v_mov_b32_e32 v20, 0
	s_waitcnt lgkmcnt(0)
	v_add_co_u32 v3, vcc_lo, s16, v1
	v_add_co_ci_u32_e32 v4, vcc_lo, s17, v2, vcc_lo
	v_add_co_u32 v5, vcc_lo, s18, v1
	v_add_co_ci_u32_e32 v6, vcc_lo, s19, v2, vcc_lo
	global_load_b32 v7, v[3:4], off
	v_add_co_u32 v3, vcc_lo, s24, v1
	v_add_co_ci_u32_e32 v4, vcc_lo, s25, v2, vcc_lo
	v_add_co_u32 v1, vcc_lo, s26, v1
	v_add_co_ci_u32_e32 v2, vcc_lo, s27, v2, vcc_lo
	global_load_b32 v5, v[5:6], off
	global_load_b32 v6, v[3:4], off
	;; [unrolled: 1-line block ×3, first 2 shown]
	s_clause 0x7
	s_load_b32 s61, s[0:1], 0x70
	s_load_b64 s[52:53], s[0:1], 0x68
	s_load_b64 s[54:55], s[0:1], 0xc8
	s_load_b128 s[24:27], s[0:1], 0xa8
	s_load_b256 s[36:43], s[0:1], 0x78
	s_load_b32 s62, s[0:1], 0x40
	s_load_b64 s[56:57], s[0:1], 0x98
	s_load_b32 s63, s[0:1], 0xa0
	v_mov_b32_e32 v1, 0
	v_mov_b32_e32 v2, 0
	v_cmp_gt_u32_e64 s0, 0x200, v0
	v_cmp_gt_u32_e64 s1, 0x100, v0
	s_waitcnt vmcnt(3) lgkmcnt(0)
	v_subrev_nc_u32_e32 v18, s61, v7
	s_delay_alu instid0(VALU_DEP_1)
	v_ashrrev_i32_e32 v19, 31, v18
	s_waitcnt vmcnt(2)
	v_sub_nc_u32_e32 v39, v5, v7
	s_waitcnt vmcnt(1)
	v_subrev_nc_u32_e32 v40, s62, v6
	v_lshlrev_b64 v[3:4], 2, v[18:19]
	s_waitcnt vmcnt(0)
	v_cmp_lt_i32_e64 s11, v6, v8
	v_lshlrev_b64 v[5:6], 4, v[18:19]
	v_subrev_nc_u32_e32 v41, s62, v8
	v_cmp_lt_i32_e64 s12, 0, v39
	v_add_co_u32 v42, vcc_lo, s20, v3
	v_add_co_ci_u32_e32 v43, vcc_lo, s21, v4, vcc_lo
	v_add_co_u32 v44, vcc_lo, s22, v5
	v_add_co_ci_u32_e32 v45, vcc_lo, s23, v6, vcc_lo
	v_dual_mov_b32 v4, v2 :: v_dual_mov_b32 v3, v1
	s_branch .LBB49_3
.LBB49_2:                               ;   in Loop: Header=BB49_3 Depth=1
	s_or_b32 exec_lo, exec_lo, s68
	s_delay_alu instid0(SALU_CYCLE_1) | instskip(NEXT) | instid1(SALU_CYCLE_1)
	s_and_b32 s13, exec_lo, s14
	s_or_b32 s15, s13, s15
	s_delay_alu instid0(SALU_CYCLE_1)
	s_and_not1_b32 exec_lo, exec_lo, s15
	s_cbranch_execz .LBB49_182
.LBB49_3:                               ; =>This Loop Header: Depth=1
                                        ;     Child Loop BB49_10 Depth 2
                                        ;       Child Loop BB49_14 Depth 3
                                        ;       Child Loop BB49_49 Depth 3
	;; [unrolled: 1-line block ×5, first 2 shown]
                                        ;     Child Loop BB49_163 Depth 2
                                        ;       Child Loop BB49_166 Depth 3
                                        ;       Child Loop BB49_169 Depth 3
	s_delay_alu instid0(VALU_DEP_1) | instskip(NEXT) | instid1(VALU_DEP_2)
	v_cndmask_b32_e64 v4, v4, 0, s58
	v_cndmask_b32_e64 v3, v3, 0, s58
	s_delay_alu instid0(VALU_DEP_4)
	v_cndmask_b32_e64 v2, v2, 0, s33
	v_cndmask_b32_e64 v1, v1, 0, s33
	s_and_saveexec_b32 s68, s11
	s_cbranch_execnz .LBB49_7
; %bb.4:                                ;   in Loop: Header=BB49_3 Depth=1
	s_or_b32 exec_lo, exec_lo, s68
	s_delay_alu instid0(SALU_CYCLE_1)
	s_and_not1_b32 vcc_lo, exec_lo, s58
	s_cbranch_vccz .LBB49_118
.LBB49_5:                               ;   in Loop: Header=BB49_3 Depth=1
	s_and_not1_b32 vcc_lo, exec_lo, s33
	s_cbranch_vccz .LBB49_139
.LBB49_6:                               ;   in Loop: Header=BB49_3 Depth=1
	s_and_saveexec_b32 s14, s10
	s_cbranch_execnz .LBB49_160
	s_branch .LBB49_170
.LBB49_7:                               ;   in Loop: Header=BB49_3 Depth=1
	v_mov_b32_e32 v21, v40
	s_mov_b32 s69, 0
	s_branch .LBB49_10
.LBB49_8:                               ;   in Loop: Header=BB49_10 Depth=2
	s_or_b32 exec_lo, exec_lo, s13
.LBB49_9:                               ;   in Loop: Header=BB49_10 Depth=2
	s_delay_alu instid0(SALU_CYCLE_1) | instskip(SKIP_1) | instid1(VALU_DEP_1)
	s_or_b32 exec_lo, exec_lo, s14
	v_add_nc_u32_e32 v21, 1, v21
	v_cmp_ge_i32_e32 vcc_lo, v21, v41
	s_or_b32 s69, vcc_lo, s69
	s_delay_alu instid0(SALU_CYCLE_1)
	s_and_not1_b32 exec_lo, exec_lo, s69
	s_cbranch_execz .LBB49_117
.LBB49_10:                              ;   Parent Loop BB49_3 Depth=1
                                        ; =>  This Loop Header: Depth=2
                                        ;       Child Loop BB49_14 Depth 3
                                        ;       Child Loop BB49_49 Depth 3
                                        ;       Child Loop BB49_65 Depth 3
                                        ;       Child Loop BB49_87 Depth 3
                                        ;       Child Loop BB49_100 Depth 3
	s_delay_alu instid0(VALU_DEP_1) | instskip(SKIP_3) | instid1(VALU_DEP_4)
	v_ashrrev_i32_e32 v22, 31, v21
	v_mov_b32_e32 v25, 0
	v_dual_mov_b32 v26, 0 :: v_dual_mov_b32 v19, 0
	v_mov_b32_e32 v31, 0
	v_lshlrev_b64 v[5:6], 2, v[21:22]
	s_delay_alu instid0(VALU_DEP_3) | instskip(NEXT) | instid1(VALU_DEP_2)
	v_dual_mov_b32 v28, v26 :: v_dual_mov_b32 v27, v25
	v_add_co_u32 v5, vcc_lo, s28, v5
	s_delay_alu instid0(VALU_DEP_3) | instskip(SKIP_3) | instid1(VALU_DEP_1)
	v_add_co_ci_u32_e32 v6, vcc_lo, s29, v6, vcc_lo
	global_load_b32 v5, v[5:6], off
	s_waitcnt vmcnt(0)
	v_subrev_nc_u32_e32 v23, s62, v5
	v_ashrrev_i32_e32 v24, 31, v23
	s_delay_alu instid0(VALU_DEP_1) | instskip(NEXT) | instid1(VALU_DEP_1)
	v_lshlrev_b64 v[5:6], 2, v[23:24]
	v_add_co_u32 v7, vcc_lo, s36, v5
	s_delay_alu instid0(VALU_DEP_2)
	v_add_co_ci_u32_e32 v8, vcc_lo, s37, v6, vcc_lo
	v_add_co_u32 v5, vcc_lo, s38, v5
	v_add_co_ci_u32_e32 v6, vcc_lo, s39, v6, vcc_lo
	global_load_b32 v7, v[7:8], off
	global_load_b32 v5, v[5:6], off
	s_waitcnt vmcnt(1)
	v_subrev_nc_u32_e32 v29, s63, v7
	s_waitcnt vmcnt(0)
	v_sub_nc_u32_e32 v46, v5, v7
	s_and_saveexec_b32 s14, s12
	s_cbranch_execz .LBB49_18
; %bb.11:                               ;   in Loop: Header=BB49_10 Depth=2
	v_ashrrev_i32_e32 v30, 31, v29
	v_mov_b32_e32 v25, 0
	v_dual_mov_b32 v31, 0 :: v_dual_mov_b32 v26, 0
	s_mov_b32 s70, 0
	s_delay_alu instid0(VALU_DEP_3) | instskip(SKIP_1) | instid1(VALU_DEP_3)
	v_lshlrev_b64 v[5:6], 2, v[29:30]
	v_lshlrev_b64 v[7:8], 4, v[29:30]
	v_dual_mov_b32 v19, v31 :: v_dual_mov_b32 v28, v26
	v_mov_b32_e32 v27, v25
                                        ; implicit-def: $sgpr71
	s_delay_alu instid0(VALU_DEP_4)
	v_add_co_u32 v5, vcc_lo, s40, v5
	v_add_co_ci_u32_e32 v6, vcc_lo, s41, v6, vcc_lo
	v_add_co_u32 v7, vcc_lo, s42, v7
	v_add_co_ci_u32_e32 v8, vcc_lo, s43, v8, vcc_lo
	s_branch .LBB49_14
.LBB49_12:                              ;   in Loop: Header=BB49_14 Depth=3
	s_or_b32 exec_lo, exec_lo, s13
	v_cmp_le_i32_e32 vcc_lo, v9, v10
	v_cmp_ge_i32_e64 s13, v9, v10
	v_add_co_ci_u32_e32 v19, vcc_lo, 0, v19, vcc_lo
	s_delay_alu instid0(VALU_DEP_2) | instskip(SKIP_1) | instid1(VALU_DEP_2)
	v_add_co_ci_u32_e64 v31, s13, 0, v31, s13
	s_and_not1_b32 s13, s71, exec_lo
	v_cmp_ge_i32_e32 vcc_lo, v19, v39
	s_and_b32 s71, vcc_lo, exec_lo
	s_delay_alu instid0(SALU_CYCLE_1)
	s_or_b32 s71, s13, s71
.LBB49_13:                              ;   in Loop: Header=BB49_14 Depth=3
	s_or_b32 exec_lo, exec_lo, s72
	s_delay_alu instid0(SALU_CYCLE_1) | instskip(NEXT) | instid1(SALU_CYCLE_1)
	s_and_b32 s13, exec_lo, s71
	s_or_b32 s70, s13, s70
	s_delay_alu instid0(SALU_CYCLE_1)
	s_and_not1_b32 exec_lo, exec_lo, s70
	s_cbranch_execz .LBB49_17
.LBB49_14:                              ;   Parent Loop BB49_3 Depth=1
                                        ;     Parent Loop BB49_10 Depth=2
                                        ; =>    This Inner Loop Header: Depth=3
	s_or_b32 s71, s71, exec_lo
	s_mov_b32 s72, exec_lo
	v_cmpx_lt_i32_e64 v31, v46
	s_cbranch_execz .LBB49_13
; %bb.15:                               ;   in Loop: Header=BB49_14 Depth=3
	v_mov_b32_e32 v32, v20
	v_lshlrev_b64 v[9:10], 2, v[19:20]
	s_mov_b32 s13, exec_lo
	s_delay_alu instid0(VALU_DEP_2) | instskip(NEXT) | instid1(VALU_DEP_2)
	v_lshlrev_b64 v[11:12], 2, v[31:32]
	v_add_co_u32 v9, vcc_lo, v42, v9
	s_delay_alu instid0(VALU_DEP_3) | instskip(NEXT) | instid1(VALU_DEP_3)
	v_add_co_ci_u32_e32 v10, vcc_lo, v43, v10, vcc_lo
	v_add_co_u32 v11, vcc_lo, v5, v11
	s_delay_alu instid0(VALU_DEP_4)
	v_add_co_ci_u32_e32 v12, vcc_lo, v6, v12, vcc_lo
	global_load_b32 v9, v[9:10], off
	global_load_b32 v10, v[11:12], off
	s_waitcnt vmcnt(1)
	v_subrev_nc_u32_e32 v9, s61, v9
	s_waitcnt vmcnt(0)
	v_subrev_nc_u32_e32 v10, s63, v10
	s_delay_alu instid0(VALU_DEP_1)
	v_cmpx_eq_u32_e64 v9, v10
	s_cbranch_execz .LBB49_12
; %bb.16:                               ;   in Loop: Header=BB49_14 Depth=3
	v_lshlrev_b64 v[11:12], 4, v[19:20]
	v_lshlrev_b64 v[13:14], 4, v[31:32]
	s_delay_alu instid0(VALU_DEP_2) | instskip(NEXT) | instid1(VALU_DEP_3)
	v_add_co_u32 v11, vcc_lo, v44, v11
	v_add_co_ci_u32_e32 v12, vcc_lo, v45, v12, vcc_lo
	s_delay_alu instid0(VALU_DEP_3) | instskip(NEXT) | instid1(VALU_DEP_4)
	v_add_co_u32 v15, vcc_lo, v7, v13
	v_add_co_ci_u32_e32 v16, vcc_lo, v8, v14, vcc_lo
	global_load_b128 v[11:14], v[11:12], off
	global_load_b128 v[32:35], v[15:16], off
	s_waitcnt vmcnt(0)
	v_fma_f64 v[15:16], v[11:12], v[32:33], v[25:26]
	v_fma_f64 v[27:28], v[13:14], v[32:33], v[27:28]
	s_delay_alu instid0(VALU_DEP_2) | instskip(NEXT) | instid1(VALU_DEP_2)
	v_fma_f64 v[25:26], -v[13:14], v[34:35], v[15:16]
	v_fma_f64 v[27:28], v[11:12], v[34:35], v[27:28]
	s_branch .LBB49_12
.LBB49_17:                              ;   in Loop: Header=BB49_10 Depth=2
	s_or_b32 exec_lo, exec_lo, s70
.LBB49_18:                              ;   in Loop: Header=BB49_10 Depth=2
	s_delay_alu instid0(SALU_CYCLE_1) | instskip(SKIP_3) | instid1(VALU_DEP_2)
	s_or_b32 exec_lo, exec_lo, s14
	v_lshlrev_b64 v[5:6], 4, v[21:22]
	v_cmp_le_i32_e64 s13, v17, v23
	s_mov_b32 s14, exec_lo
	v_add_co_u32 v5, vcc_lo, s30, v5
	s_delay_alu instid0(VALU_DEP_3)
	v_add_co_ci_u32_e32 v6, vcc_lo, s31, v6, vcc_lo
	global_load_b128 v[5:8], v[5:6], off
	s_waitcnt vmcnt(0)
	v_add_f64 v[9:10], v[5:6], -v[25:26]
	v_add_f64 v[11:12], v[7:8], -v[27:28]
	v_cmpx_gt_i32_e64 v17, v23
	s_cbranch_execz .LBB49_28
; %bb.19:                               ;   in Loop: Header=BB49_10 Depth=2
	v_lshlrev_b64 v[13:14], 4, v[23:24]
	s_mov_b32 s70, exec_lo
                                        ; implicit-def: $vgpr36_vgpr37
	s_delay_alu instid0(VALU_DEP_1) | instskip(NEXT) | instid1(VALU_DEP_2)
	v_add_co_u32 v13, vcc_lo, s24, v13
	v_add_co_ci_u32_e32 v14, vcc_lo, s25, v14, vcc_lo
	global_load_b128 v[13:16], v[13:14], off
	s_waitcnt vmcnt(0)
	v_cmp_gt_f64_e32 vcc_lo, 0, v[13:14]
	v_xor_b32_e32 v22, 0x80000000, v14
	v_mov_b32_e32 v32, v13
	v_xor_b32_e32 v30, 0x80000000, v16
	s_delay_alu instid0(VALU_DEP_3) | instskip(SKIP_1) | instid1(VALU_DEP_3)
	v_dual_mov_b32 v34, v15 :: v_dual_cndmask_b32 v33, v14, v22
	v_cmp_gt_f64_e32 vcc_lo, 0, v[15:16]
	v_cndmask_b32_e32 v35, v16, v30, vcc_lo
	s_delay_alu instid0(VALU_DEP_1)
	v_cmpx_ngt_f64_e32 v[32:33], v[34:35]
	s_xor_b32 s70, exec_lo, s70
	s_cbranch_execz .LBB49_23
; %bb.20:                               ;   in Loop: Header=BB49_10 Depth=2
	v_mov_b32_e32 v36, 0
	v_mov_b32_e32 v37, 0
	s_mov_b32 s71, exec_lo
	v_cmpx_neq_f64_e32 0, v[15:16]
	s_cbranch_execz .LBB49_22
; %bb.21:                               ;   in Loop: Header=BB49_10 Depth=2
	v_div_scale_f64 v[36:37], null, v[34:35], v[34:35], v[32:33]
	v_div_scale_f64 v[51:52], vcc_lo, v[32:33], v[34:35], v[32:33]
	s_delay_alu instid0(VALU_DEP_2) | instskip(SKIP_2) | instid1(VALU_DEP_1)
	v_rcp_f64_e32 v[47:48], v[36:37]
	s_waitcnt_depctr 0xfff
	v_fma_f64 v[49:50], -v[36:37], v[47:48], 1.0
	v_fma_f64 v[47:48], v[47:48], v[49:50], v[47:48]
	s_delay_alu instid0(VALU_DEP_1) | instskip(NEXT) | instid1(VALU_DEP_1)
	v_fma_f64 v[49:50], -v[36:37], v[47:48], 1.0
	v_fma_f64 v[47:48], v[47:48], v[49:50], v[47:48]
	s_delay_alu instid0(VALU_DEP_1) | instskip(NEXT) | instid1(VALU_DEP_1)
	v_mul_f64 v[49:50], v[51:52], v[47:48]
	v_fma_f64 v[36:37], -v[36:37], v[49:50], v[51:52]
	s_delay_alu instid0(VALU_DEP_1) | instskip(NEXT) | instid1(VALU_DEP_1)
	v_div_fmas_f64 v[36:37], v[36:37], v[47:48], v[49:50]
	v_div_fixup_f64 v[32:33], v[36:37], v[34:35], v[32:33]
	s_delay_alu instid0(VALU_DEP_1) | instskip(NEXT) | instid1(VALU_DEP_1)
	v_fma_f64 v[32:33], v[32:33], v[32:33], 1.0
	v_cmp_gt_f64_e32 vcc_lo, 0x10000000, v[32:33]
	v_cndmask_b32_e64 v22, 0, 1, vcc_lo
	s_delay_alu instid0(VALU_DEP_1) | instskip(NEXT) | instid1(VALU_DEP_1)
	v_lshlrev_b32_e32 v22, 8, v22
	v_ldexp_f64 v[32:33], v[32:33], v22
	v_cndmask_b32_e64 v22, 0, 0xffffff80, vcc_lo
	s_delay_alu instid0(VALU_DEP_2) | instskip(SKIP_4) | instid1(VALU_DEP_1)
	v_rsq_f64_e32 v[36:37], v[32:33]
	v_cmp_class_f64_e64 vcc_lo, v[32:33], 0x260
	s_waitcnt_depctr 0xfff
	v_mul_f64 v[47:48], v[32:33], v[36:37]
	v_mul_f64 v[36:37], v[36:37], 0.5
	v_fma_f64 v[49:50], -v[36:37], v[47:48], 0.5
	s_delay_alu instid0(VALU_DEP_1) | instskip(SKIP_1) | instid1(VALU_DEP_2)
	v_fma_f64 v[47:48], v[47:48], v[49:50], v[47:48]
	v_fma_f64 v[36:37], v[36:37], v[49:50], v[36:37]
	v_fma_f64 v[49:50], -v[47:48], v[47:48], v[32:33]
	s_delay_alu instid0(VALU_DEP_1) | instskip(NEXT) | instid1(VALU_DEP_1)
	v_fma_f64 v[47:48], v[49:50], v[36:37], v[47:48]
	v_fma_f64 v[49:50], -v[47:48], v[47:48], v[32:33]
	s_delay_alu instid0(VALU_DEP_1) | instskip(NEXT) | instid1(VALU_DEP_1)
	v_fma_f64 v[36:37], v[49:50], v[36:37], v[47:48]
	v_ldexp_f64 v[36:37], v[36:37], v22
	s_delay_alu instid0(VALU_DEP_1) | instskip(NEXT) | instid1(VALU_DEP_1)
	v_dual_cndmask_b32 v33, v37, v33 :: v_dual_cndmask_b32 v32, v36, v32
	v_mul_f64 v[36:37], v[34:35], v[32:33]
.LBB49_22:                              ;   in Loop: Header=BB49_10 Depth=2
	s_or_b32 exec_lo, exec_lo, s71
                                        ; implicit-def: $vgpr32_vgpr33
                                        ; implicit-def: $vgpr34_vgpr35
.LBB49_23:                              ;   in Loop: Header=BB49_10 Depth=2
	s_and_not1_saveexec_b32 s70, s70
	s_cbranch_execz .LBB49_25
; %bb.24:                               ;   in Loop: Header=BB49_10 Depth=2
	v_div_scale_f64 v[36:37], null, v[32:33], v[32:33], v[34:35]
	v_div_scale_f64 v[51:52], vcc_lo, v[34:35], v[32:33], v[34:35]
	s_delay_alu instid0(VALU_DEP_2) | instskip(SKIP_2) | instid1(VALU_DEP_1)
	v_rcp_f64_e32 v[47:48], v[36:37]
	s_waitcnt_depctr 0xfff
	v_fma_f64 v[49:50], -v[36:37], v[47:48], 1.0
	v_fma_f64 v[47:48], v[47:48], v[49:50], v[47:48]
	s_delay_alu instid0(VALU_DEP_1) | instskip(NEXT) | instid1(VALU_DEP_1)
	v_fma_f64 v[49:50], -v[36:37], v[47:48], 1.0
	v_fma_f64 v[47:48], v[47:48], v[49:50], v[47:48]
	s_delay_alu instid0(VALU_DEP_1) | instskip(NEXT) | instid1(VALU_DEP_1)
	v_mul_f64 v[49:50], v[51:52], v[47:48]
	v_fma_f64 v[36:37], -v[36:37], v[49:50], v[51:52]
	s_delay_alu instid0(VALU_DEP_1) | instskip(NEXT) | instid1(VALU_DEP_1)
	v_div_fmas_f64 v[36:37], v[36:37], v[47:48], v[49:50]
	v_div_fixup_f64 v[34:35], v[36:37], v[32:33], v[34:35]
	s_delay_alu instid0(VALU_DEP_1) | instskip(NEXT) | instid1(VALU_DEP_1)
	v_fma_f64 v[34:35], v[34:35], v[34:35], 1.0
	v_cmp_gt_f64_e32 vcc_lo, 0x10000000, v[34:35]
	v_cndmask_b32_e64 v22, 0, 1, vcc_lo
	s_delay_alu instid0(VALU_DEP_1) | instskip(NEXT) | instid1(VALU_DEP_1)
	v_lshlrev_b32_e32 v22, 8, v22
	v_ldexp_f64 v[34:35], v[34:35], v22
	v_cndmask_b32_e64 v22, 0, 0xffffff80, vcc_lo
	s_delay_alu instid0(VALU_DEP_2) | instskip(SKIP_4) | instid1(VALU_DEP_1)
	v_rsq_f64_e32 v[36:37], v[34:35]
	v_cmp_class_f64_e64 vcc_lo, v[34:35], 0x260
	s_waitcnt_depctr 0xfff
	v_mul_f64 v[47:48], v[34:35], v[36:37]
	v_mul_f64 v[36:37], v[36:37], 0.5
	v_fma_f64 v[49:50], -v[36:37], v[47:48], 0.5
	s_delay_alu instid0(VALU_DEP_1) | instskip(SKIP_1) | instid1(VALU_DEP_2)
	v_fma_f64 v[47:48], v[47:48], v[49:50], v[47:48]
	v_fma_f64 v[36:37], v[36:37], v[49:50], v[36:37]
	v_fma_f64 v[49:50], -v[47:48], v[47:48], v[34:35]
	s_delay_alu instid0(VALU_DEP_1) | instskip(NEXT) | instid1(VALU_DEP_1)
	v_fma_f64 v[47:48], v[49:50], v[36:37], v[47:48]
	v_fma_f64 v[49:50], -v[47:48], v[47:48], v[34:35]
	s_delay_alu instid0(VALU_DEP_1) | instskip(NEXT) | instid1(VALU_DEP_1)
	v_fma_f64 v[36:37], v[49:50], v[36:37], v[47:48]
	v_ldexp_f64 v[36:37], v[36:37], v22
	s_delay_alu instid0(VALU_DEP_1) | instskip(NEXT) | instid1(VALU_DEP_1)
	v_dual_cndmask_b32 v35, v37, v35 :: v_dual_cndmask_b32 v34, v36, v34
	v_mul_f64 v[36:37], v[32:33], v[34:35]
.LBB49_25:                              ;   in Loop: Header=BB49_10 Depth=2
	s_or_b32 exec_lo, exec_lo, s70
	v_mov_b32_e32 v32, 0
	v_mov_b32_e32 v33, 0
	s_mov_b32 s70, exec_lo
	s_delay_alu instid0(VALU_DEP_1) | instskip(NEXT) | instid1(VALU_DEP_4)
	v_dual_mov_b32 v35, v33 :: v_dual_mov_b32 v34, v32
	v_cmpx_lt_f64_e32 0, v[36:37]
	s_cbranch_execz .LBB49_27
; %bb.26:                               ;   in Loop: Header=BB49_10 Depth=2
	v_mul_f64 v[32:33], v[15:16], v[15:16]
	s_delay_alu instid0(VALU_DEP_1) | instskip(NEXT) | instid1(VALU_DEP_1)
	v_fma_f64 v[32:33], v[13:14], v[13:14], v[32:33]
	v_div_scale_f64 v[34:35], null, v[32:33], v[32:33], 1.0
	v_div_scale_f64 v[49:50], vcc_lo, 1.0, v[32:33], 1.0
	s_delay_alu instid0(VALU_DEP_2) | instskip(SKIP_2) | instid1(VALU_DEP_1)
	v_rcp_f64_e32 v[36:37], v[34:35]
	s_waitcnt_depctr 0xfff
	v_fma_f64 v[47:48], -v[34:35], v[36:37], 1.0
	v_fma_f64 v[36:37], v[36:37], v[47:48], v[36:37]
	s_delay_alu instid0(VALU_DEP_1) | instskip(NEXT) | instid1(VALU_DEP_1)
	v_fma_f64 v[47:48], -v[34:35], v[36:37], 1.0
	v_fma_f64 v[36:37], v[36:37], v[47:48], v[36:37]
	s_delay_alu instid0(VALU_DEP_1) | instskip(NEXT) | instid1(VALU_DEP_1)
	v_mul_f64 v[47:48], v[49:50], v[36:37]
	v_fma_f64 v[34:35], -v[34:35], v[47:48], v[49:50]
	v_mul_f64 v[49:50], v[11:12], v[15:16]
	v_mul_f64 v[15:16], v[15:16], -v[9:10]
	s_delay_alu instid0(VALU_DEP_3) | instskip(NEXT) | instid1(VALU_DEP_3)
	v_div_fmas_f64 v[34:35], v[34:35], v[36:37], v[47:48]
	v_fma_f64 v[9:10], v[9:10], v[13:14], v[49:50]
	s_delay_alu instid0(VALU_DEP_3) | instskip(NEXT) | instid1(VALU_DEP_3)
	v_fma_f64 v[11:12], v[11:12], v[13:14], v[15:16]
	v_div_fixup_f64 v[32:33], v[34:35], v[32:33], 1.0
	s_delay_alu instid0(VALU_DEP_1) | instskip(NEXT) | instid1(VALU_DEP_3)
	v_mul_f64 v[34:35], v[9:10], v[32:33]
	v_mul_f64 v[32:33], v[11:12], v[32:33]
.LBB49_27:                              ;   in Loop: Header=BB49_10 Depth=2
	s_or_b32 exec_lo, exec_lo, s70
	s_delay_alu instid0(VALU_DEP_1) | instskip(NEXT) | instid1(VALU_DEP_3)
	v_dual_mov_b32 v11, v32 :: v_dual_mov_b32 v12, v33
	v_dual_mov_b32 v9, v34 :: v_dual_mov_b32 v10, v35
.LBB49_28:                              ;   in Loop: Header=BB49_10 Depth=2
	s_or_b32 exec_lo, exec_lo, s14
	s_delay_alu instid0(VALU_DEP_1) | instskip(NEXT) | instid1(VALU_DEP_3)
	v_cmp_gt_f64_e32 vcc_lo, 0, v[9:10]
	v_cmp_gt_f64_e64 s14, 0, v[11:12]
	v_xor_b32_e32 v13, 0x80000000, v10
	v_xor_b32_e32 v15, 0x80000000, v12
                                        ; implicit-def: $vgpr32_vgpr33
	s_delay_alu instid0(VALU_DEP_2) | instskip(NEXT) | instid1(VALU_DEP_2)
	v_cndmask_b32_e32 v14, v10, v13, vcc_lo
	v_cndmask_b32_e64 v16, v12, v15, s14
	v_cndmask_b32_e32 v13, v9, v9, vcc_lo
	v_cndmask_b32_e64 v15, v11, v11, s14
	s_mov_b32 s14, exec_lo
	s_delay_alu instid0(VALU_DEP_1)
	v_cmpx_ngt_f64_e32 v[13:14], v[15:16]
	s_xor_b32 s14, exec_lo, s14
	s_cbranch_execnz .LBB49_32
; %bb.29:                               ;   in Loop: Header=BB49_10 Depth=2
	s_and_not1_saveexec_b32 s14, s14
	s_cbranch_execnz .LBB49_35
.LBB49_30:                              ;   in Loop: Header=BB49_10 Depth=2
	s_or_b32 exec_lo, exec_lo, s14
	s_delay_alu instid0(VALU_DEP_1) | instskip(NEXT) | instid1(VALU_DEP_1)
	v_cmp_class_f64_e64 s14, v[32:33], 0x1f8
	s_and_saveexec_b32 s70, s14
	s_cbranch_execnz .LBB49_36
.LBB49_31:                              ;   in Loop: Header=BB49_10 Depth=2
	s_or_b32 exec_lo, exec_lo, s70
	s_and_b32 s13, s14, s33
	s_delay_alu instid0(SALU_CYCLE_1)
	s_and_saveexec_b32 s14, s13
	s_cbranch_execz .LBB49_9
	s_branch .LBB49_77
.LBB49_32:                              ;   in Loop: Header=BB49_10 Depth=2
	v_mov_b32_e32 v32, 0
	v_mov_b32_e32 v33, 0
	s_mov_b32 s70, exec_lo
	v_cmpx_neq_f64_e32 0, v[11:12]
	s_cbranch_execz .LBB49_34
; %bb.33:                               ;   in Loop: Header=BB49_10 Depth=2
	v_div_scale_f64 v[32:33], null, v[15:16], v[15:16], v[13:14]
	v_div_scale_f64 v[47:48], vcc_lo, v[13:14], v[15:16], v[13:14]
	s_delay_alu instid0(VALU_DEP_2) | instskip(SKIP_2) | instid1(VALU_DEP_1)
	v_rcp_f64_e32 v[34:35], v[32:33]
	s_waitcnt_depctr 0xfff
	v_fma_f64 v[36:37], -v[32:33], v[34:35], 1.0
	v_fma_f64 v[34:35], v[34:35], v[36:37], v[34:35]
	s_delay_alu instid0(VALU_DEP_1) | instskip(NEXT) | instid1(VALU_DEP_1)
	v_fma_f64 v[36:37], -v[32:33], v[34:35], 1.0
	v_fma_f64 v[34:35], v[34:35], v[36:37], v[34:35]
	s_delay_alu instid0(VALU_DEP_1) | instskip(NEXT) | instid1(VALU_DEP_1)
	v_mul_f64 v[36:37], v[47:48], v[34:35]
	v_fma_f64 v[32:33], -v[32:33], v[36:37], v[47:48]
	s_delay_alu instid0(VALU_DEP_1) | instskip(NEXT) | instid1(VALU_DEP_1)
	v_div_fmas_f64 v[32:33], v[32:33], v[34:35], v[36:37]
	v_div_fixup_f64 v[13:14], v[32:33], v[15:16], v[13:14]
	s_delay_alu instid0(VALU_DEP_1) | instskip(NEXT) | instid1(VALU_DEP_1)
	v_fma_f64 v[13:14], v[13:14], v[13:14], 1.0
	v_cmp_gt_f64_e32 vcc_lo, 0x10000000, v[13:14]
	v_cndmask_b32_e64 v22, 0, 1, vcc_lo
	s_delay_alu instid0(VALU_DEP_1) | instskip(NEXT) | instid1(VALU_DEP_1)
	v_lshlrev_b32_e32 v22, 8, v22
	v_ldexp_f64 v[13:14], v[13:14], v22
	v_cndmask_b32_e64 v22, 0, 0xffffff80, vcc_lo
	s_delay_alu instid0(VALU_DEP_2) | instskip(SKIP_4) | instid1(VALU_DEP_1)
	v_rsq_f64_e32 v[32:33], v[13:14]
	v_cmp_class_f64_e64 vcc_lo, v[13:14], 0x260
	s_waitcnt_depctr 0xfff
	v_mul_f64 v[34:35], v[13:14], v[32:33]
	v_mul_f64 v[32:33], v[32:33], 0.5
	v_fma_f64 v[36:37], -v[32:33], v[34:35], 0.5
	s_delay_alu instid0(VALU_DEP_1) | instskip(SKIP_1) | instid1(VALU_DEP_2)
	v_fma_f64 v[34:35], v[34:35], v[36:37], v[34:35]
	v_fma_f64 v[32:33], v[32:33], v[36:37], v[32:33]
	v_fma_f64 v[36:37], -v[34:35], v[34:35], v[13:14]
	s_delay_alu instid0(VALU_DEP_1) | instskip(NEXT) | instid1(VALU_DEP_1)
	v_fma_f64 v[34:35], v[36:37], v[32:33], v[34:35]
	v_fma_f64 v[36:37], -v[34:35], v[34:35], v[13:14]
	s_delay_alu instid0(VALU_DEP_1) | instskip(NEXT) | instid1(VALU_DEP_1)
	v_fma_f64 v[32:33], v[36:37], v[32:33], v[34:35]
	v_ldexp_f64 v[32:33], v[32:33], v22
	s_delay_alu instid0(VALU_DEP_1) | instskip(NEXT) | instid1(VALU_DEP_1)
	v_dual_cndmask_b32 v13, v32, v13 :: v_dual_cndmask_b32 v14, v33, v14
	v_mul_f64 v[32:33], v[15:16], v[13:14]
.LBB49_34:                              ;   in Loop: Header=BB49_10 Depth=2
	s_or_b32 exec_lo, exec_lo, s70
                                        ; implicit-def: $vgpr13_vgpr14
                                        ; implicit-def: $vgpr15_vgpr16
	s_and_not1_saveexec_b32 s14, s14
	s_cbranch_execz .LBB49_30
.LBB49_35:                              ;   in Loop: Header=BB49_10 Depth=2
	v_div_scale_f64 v[32:33], null, v[13:14], v[13:14], v[15:16]
	v_div_scale_f64 v[47:48], vcc_lo, v[15:16], v[13:14], v[15:16]
	s_delay_alu instid0(VALU_DEP_2) | instskip(SKIP_2) | instid1(VALU_DEP_1)
	v_rcp_f64_e32 v[34:35], v[32:33]
	s_waitcnt_depctr 0xfff
	v_fma_f64 v[36:37], -v[32:33], v[34:35], 1.0
	v_fma_f64 v[34:35], v[34:35], v[36:37], v[34:35]
	s_delay_alu instid0(VALU_DEP_1) | instskip(NEXT) | instid1(VALU_DEP_1)
	v_fma_f64 v[36:37], -v[32:33], v[34:35], 1.0
	v_fma_f64 v[34:35], v[34:35], v[36:37], v[34:35]
	s_delay_alu instid0(VALU_DEP_1) | instskip(NEXT) | instid1(VALU_DEP_1)
	v_mul_f64 v[36:37], v[47:48], v[34:35]
	v_fma_f64 v[32:33], -v[32:33], v[36:37], v[47:48]
	s_delay_alu instid0(VALU_DEP_1) | instskip(NEXT) | instid1(VALU_DEP_1)
	v_div_fmas_f64 v[32:33], v[32:33], v[34:35], v[36:37]
	v_div_fixup_f64 v[15:16], v[32:33], v[13:14], v[15:16]
	s_delay_alu instid0(VALU_DEP_1) | instskip(NEXT) | instid1(VALU_DEP_1)
	v_fma_f64 v[15:16], v[15:16], v[15:16], 1.0
	v_cmp_gt_f64_e32 vcc_lo, 0x10000000, v[15:16]
	v_cndmask_b32_e64 v22, 0, 1, vcc_lo
	s_delay_alu instid0(VALU_DEP_1) | instskip(NEXT) | instid1(VALU_DEP_1)
	v_lshlrev_b32_e32 v22, 8, v22
	v_ldexp_f64 v[15:16], v[15:16], v22
	v_cndmask_b32_e64 v22, 0, 0xffffff80, vcc_lo
	s_delay_alu instid0(VALU_DEP_2) | instskip(SKIP_4) | instid1(VALU_DEP_1)
	v_rsq_f64_e32 v[32:33], v[15:16]
	v_cmp_class_f64_e64 vcc_lo, v[15:16], 0x260
	s_waitcnt_depctr 0xfff
	v_mul_f64 v[34:35], v[15:16], v[32:33]
	v_mul_f64 v[32:33], v[32:33], 0.5
	v_fma_f64 v[36:37], -v[32:33], v[34:35], 0.5
	s_delay_alu instid0(VALU_DEP_1) | instskip(SKIP_1) | instid1(VALU_DEP_2)
	v_fma_f64 v[34:35], v[34:35], v[36:37], v[34:35]
	v_fma_f64 v[32:33], v[32:33], v[36:37], v[32:33]
	v_fma_f64 v[36:37], -v[34:35], v[34:35], v[15:16]
	s_delay_alu instid0(VALU_DEP_1) | instskip(NEXT) | instid1(VALU_DEP_1)
	v_fma_f64 v[34:35], v[36:37], v[32:33], v[34:35]
	v_fma_f64 v[36:37], -v[34:35], v[34:35], v[15:16]
	s_delay_alu instid0(VALU_DEP_1) | instskip(NEXT) | instid1(VALU_DEP_1)
	v_fma_f64 v[32:33], v[36:37], v[32:33], v[34:35]
	v_ldexp_f64 v[32:33], v[32:33], v22
	s_delay_alu instid0(VALU_DEP_1) | instskip(NEXT) | instid1(VALU_DEP_1)
	v_dual_cndmask_b32 v15, v32, v15 :: v_dual_cndmask_b32 v16, v33, v16
	v_mul_f64 v[32:33], v[13:14], v[15:16]
	s_or_b32 exec_lo, exec_lo, s14
	s_delay_alu instid0(VALU_DEP_1) | instskip(NEXT) | instid1(VALU_DEP_1)
	v_cmp_class_f64_e64 s14, v[32:33], 0x1f8
	s_and_saveexec_b32 s70, s14
	s_cbranch_execz .LBB49_31
.LBB49_36:                              ;   in Loop: Header=BB49_10 Depth=2
	s_and_saveexec_b32 s71, s13
	s_delay_alu instid0(SALU_CYCLE_1)
	s_xor_b32 s71, exec_lo, s71
	s_cbranch_execz .LBB49_61
; %bb.37:                               ;   in Loop: Header=BB49_10 Depth=2
	s_mov_b32 s13, exec_lo
	v_cmpx_ge_i32_e64 v17, v23
	s_xor_b32 s72, exec_lo, s13
	s_cbranch_execz .LBB49_45
; %bb.38:                               ;   in Loop: Header=BB49_10 Depth=2
	v_lshlrev_b64 v[13:14], 4, v[23:24]
	s_delay_alu instid0(VALU_DEP_1) | instskip(NEXT) | instid1(VALU_DEP_2)
	v_add_co_u32 v15, vcc_lo, s26, v13
	v_add_co_ci_u32_e32 v16, vcc_lo, s27, v14, vcc_lo
	s_and_not1_b32 vcc_lo, exec_lo, s58
	global_store_b128 v[15:16], v[9:12], off
	s_cbranch_vccnz .LBB49_44
; %bb.39:                               ;   in Loop: Header=BB49_10 Depth=2
	v_add_co_u32 v13, vcc_lo, s24, v13
	v_add_co_ci_u32_e32 v14, vcc_lo, s25, v14, vcc_lo
	global_load_b128 v[13:16], v[13:14], off
	s_waitcnt vmcnt(0)
	v_add_f64 v[9:10], v[13:14], -v[9:10]
	v_add_f64 v[15:16], v[15:16], -v[11:12]
                                        ; implicit-def: $vgpr13_vgpr14
	s_delay_alu instid0(VALU_DEP_2) | instskip(NEXT) | instid1(VALU_DEP_2)
	v_cmp_gt_f64_e32 vcc_lo, 0, v[9:10]
	v_cmp_gt_f64_e64 s13, 0, v[15:16]
	v_xor_b32_e32 v11, 0x80000000, v10
	v_xor_b32_e32 v12, 0x80000000, v16
	s_delay_alu instid0(VALU_DEP_2) | instskip(NEXT) | instid1(VALU_DEP_2)
	v_dual_cndmask_b32 v10, v10, v11 :: v_dual_cndmask_b32 v9, v9, v9
	v_cndmask_b32_e64 v12, v16, v12, s13
	v_cndmask_b32_e64 v11, v15, v15, s13
	s_mov_b32 s13, exec_lo
	s_delay_alu instid0(VALU_DEP_1)
	v_cmpx_ngt_f64_e32 v[9:10], v[11:12]
	s_xor_b32 s13, exec_lo, s13
	s_cbranch_execnz .LBB49_105
; %bb.40:                               ;   in Loop: Header=BB49_10 Depth=2
	s_and_not1_saveexec_b32 s13, s13
	s_cbranch_execnz .LBB49_108
.LBB49_41:                              ;   in Loop: Header=BB49_10 Depth=2
	s_or_b32 exec_lo, exec_lo, s13
	s_delay_alu instid0(VALU_DEP_1) | instskip(NEXT) | instid1(VALU_DEP_1)
	v_cmp_class_f64_e64 s73, v[13:14], 0x1f8
	s_and_saveexec_b32 s13, s73
.LBB49_42:                              ;   in Loop: Header=BB49_10 Depth=2
	v_cmp_lt_f64_e32 vcc_lo, v[3:4], v[13:14]
	v_dual_cndmask_b32 v4, v4, v14 :: v_dual_cndmask_b32 v3, v3, v13
.LBB49_43:                              ;   in Loop: Header=BB49_10 Depth=2
	s_or_b32 exec_lo, exec_lo, s13
.LBB49_44:                              ;   in Loop: Header=BB49_10 Depth=2
                                        ; implicit-def: $vgpr9_vgpr10
.LBB49_45:                              ;   in Loop: Header=BB49_10 Depth=2
	s_and_not1_saveexec_b32 s72, s72
	s_cbranch_execz .LBB49_60
; %bb.46:                               ;   in Loop: Header=BB49_10 Depth=2
	s_mov_b32 s73, exec_lo
	v_cmpx_lt_i32_e64 v31, v46
	s_cbranch_execz .LBB49_59
; %bb.47:                               ;   in Loop: Header=BB49_10 Depth=2
	v_mov_b32_e32 v15, v31
	s_mov_b32 s13, 0
                                        ; implicit-def: $sgpr74
                                        ; implicit-def: $sgpr76
                                        ; implicit-def: $sgpr75
	s_set_inst_prefetch_distance 0x1
	s_branch .LBB49_49
	.p2align	6
.LBB49_48:                              ;   in Loop: Header=BB49_49 Depth=3
	s_or_b32 exec_lo, exec_lo, s77
	s_delay_alu instid0(SALU_CYCLE_1) | instskip(NEXT) | instid1(SALU_CYCLE_1)
	s_and_b32 s77, exec_lo, s76
	s_or_b32 s13, s77, s13
	s_and_not1_b32 s74, s74, exec_lo
	s_and_b32 s77, s75, exec_lo
	s_delay_alu instid0(SALU_CYCLE_1)
	s_or_b32 s74, s74, s77
	s_and_not1_b32 exec_lo, exec_lo, s13
	s_cbranch_execz .LBB49_51
.LBB49_49:                              ;   Parent Loop BB49_3 Depth=1
                                        ;     Parent Loop BB49_10 Depth=2
                                        ; =>    This Inner Loop Header: Depth=3
	s_delay_alu instid0(VALU_DEP_1) | instskip(SKIP_3) | instid1(VALU_DEP_1)
	v_add_nc_u32_e32 v13, v29, v15
	s_or_b32 s75, s75, exec_lo
	s_or_b32 s76, s76, exec_lo
	s_mov_b32 s77, exec_lo
	v_ashrrev_i32_e32 v14, 31, v13
	s_delay_alu instid0(VALU_DEP_1) | instskip(NEXT) | instid1(VALU_DEP_1)
	v_lshlrev_b64 v[32:33], 2, v[13:14]
	v_add_co_u32 v32, vcc_lo, s40, v32
	s_delay_alu instid0(VALU_DEP_2) | instskip(SKIP_3) | instid1(VALU_DEP_1)
	v_add_co_ci_u32_e32 v33, vcc_lo, s41, v33, vcc_lo
	global_load_b32 v16, v[32:33], off
	s_waitcnt vmcnt(0)
	v_subrev_nc_u32_e32 v16, s63, v16
	v_cmpx_ne_u32_e64 v16, v17
	s_cbranch_execz .LBB49_48
; %bb.50:                               ;   in Loop: Header=BB49_49 Depth=3
	v_add_nc_u32_e32 v15, 1, v15
	s_and_not1_b32 s76, s76, exec_lo
	s_and_not1_b32 s75, s75, exec_lo
	s_delay_alu instid0(VALU_DEP_1) | instskip(SKIP_1) | instid1(SALU_CYCLE_1)
	v_cmp_ge_i32_e32 vcc_lo, v15, v46
	s_and_b32 s78, vcc_lo, exec_lo
	s_or_b32 s76, s76, s78
	s_branch .LBB49_48
.LBB49_51:                              ;   in Loop: Header=BB49_10 Depth=2
	s_set_inst_prefetch_distance 0x2
	s_or_b32 exec_lo, exec_lo, s13
	s_and_saveexec_b32 s13, s74
	s_delay_alu instid0(SALU_CYCLE_1)
	s_xor_b32 s74, exec_lo, s13
	s_cbranch_execz .LBB49_58
; %bb.52:                               ;   in Loop: Header=BB49_10 Depth=2
	v_lshlrev_b64 v[13:14], 4, v[13:14]
	s_delay_alu instid0(VALU_DEP_1) | instskip(NEXT) | instid1(VALU_DEP_2)
	v_add_co_u32 v15, vcc_lo, s56, v13
	v_add_co_ci_u32_e32 v16, vcc_lo, s57, v14, vcc_lo
	s_and_not1_b32 vcc_lo, exec_lo, s58
	global_store_b128 v[15:16], v[9:12], off
	s_cbranch_vccnz .LBB49_58
; %bb.53:                               ;   in Loop: Header=BB49_10 Depth=2
	v_add_co_u32 v13, vcc_lo, s42, v13
	v_add_co_ci_u32_e32 v14, vcc_lo, s43, v14, vcc_lo
	global_load_b128 v[13:16], v[13:14], off
	s_waitcnt vmcnt(0)
	v_add_f64 v[9:10], v[13:14], -v[9:10]
	v_add_f64 v[15:16], v[15:16], -v[11:12]
                                        ; implicit-def: $vgpr13_vgpr14
	s_delay_alu instid0(VALU_DEP_2) | instskip(NEXT) | instid1(VALU_DEP_2)
	v_cmp_gt_f64_e32 vcc_lo, 0, v[9:10]
	v_cmp_gt_f64_e64 s13, 0, v[15:16]
	v_xor_b32_e32 v11, 0x80000000, v10
	v_xor_b32_e32 v12, 0x80000000, v16
	s_delay_alu instid0(VALU_DEP_2) | instskip(NEXT) | instid1(VALU_DEP_2)
	v_dual_cndmask_b32 v10, v10, v11 :: v_dual_cndmask_b32 v9, v9, v9
	v_cndmask_b32_e64 v12, v16, v12, s13
	v_cndmask_b32_e64 v11, v15, v15, s13
	s_mov_b32 s13, exec_lo
	s_delay_alu instid0(VALU_DEP_1)
	v_cmpx_ngt_f64_e32 v[9:10], v[11:12]
	s_xor_b32 s13, exec_lo, s13
	s_cbranch_execnz .LBB49_113
; %bb.54:                               ;   in Loop: Header=BB49_10 Depth=2
	s_and_not1_saveexec_b32 s13, s13
	s_cbranch_execnz .LBB49_116
.LBB49_55:                              ;   in Loop: Header=BB49_10 Depth=2
	s_or_b32 exec_lo, exec_lo, s13
	s_delay_alu instid0(VALU_DEP_1) | instskip(NEXT) | instid1(VALU_DEP_1)
	v_cmp_class_f64_e64 s75, v[13:14], 0x1f8
	s_and_saveexec_b32 s13, s75
.LBB49_56:                              ;   in Loop: Header=BB49_10 Depth=2
	v_cmp_lt_f64_e32 vcc_lo, v[3:4], v[13:14]
	v_dual_cndmask_b32 v4, v4, v14 :: v_dual_cndmask_b32 v3, v3, v13
.LBB49_57:                              ;   in Loop: Header=BB49_10 Depth=2
	s_or_b32 exec_lo, exec_lo, s13
.LBB49_58:                              ;   in Loop: Header=BB49_10 Depth=2
	s_delay_alu instid0(SALU_CYCLE_1)
	s_or_b32 exec_lo, exec_lo, s74
.LBB49_59:                              ;   in Loop: Header=BB49_10 Depth=2
	s_delay_alu instid0(SALU_CYCLE_1)
	s_or_b32 exec_lo, exec_lo, s73
.LBB49_60:                              ;   in Loop: Header=BB49_10 Depth=2
	s_delay_alu instid0(SALU_CYCLE_1)
	s_or_b32 exec_lo, exec_lo, s72
                                        ; implicit-def: $vgpr9_vgpr10
.LBB49_61:                              ;   in Loop: Header=BB49_10 Depth=2
	s_and_not1_saveexec_b32 s71, s71
	s_cbranch_execz .LBB49_76
; %bb.62:                               ;   in Loop: Header=BB49_10 Depth=2
	s_mov_b32 s72, exec_lo
	v_cmpx_lt_i32_e64 v19, v39
	s_cbranch_execz .LBB49_75
; %bb.63:                               ;   in Loop: Header=BB49_10 Depth=2
	v_mov_b32_e32 v15, v19
	s_mov_b32 s13, 0
                                        ; implicit-def: $sgpr73
                                        ; implicit-def: $sgpr75
                                        ; implicit-def: $sgpr74
	s_set_inst_prefetch_distance 0x1
	s_branch .LBB49_65
	.p2align	6
.LBB49_64:                              ;   in Loop: Header=BB49_65 Depth=3
	s_or_b32 exec_lo, exec_lo, s76
	s_delay_alu instid0(SALU_CYCLE_1) | instskip(NEXT) | instid1(SALU_CYCLE_1)
	s_and_b32 s76, exec_lo, s75
	s_or_b32 s13, s76, s13
	s_and_not1_b32 s73, s73, exec_lo
	s_and_b32 s76, s74, exec_lo
	s_delay_alu instid0(SALU_CYCLE_1)
	s_or_b32 s73, s73, s76
	s_and_not1_b32 exec_lo, exec_lo, s13
	s_cbranch_execz .LBB49_67
.LBB49_65:                              ;   Parent Loop BB49_3 Depth=1
                                        ;     Parent Loop BB49_10 Depth=2
                                        ; =>    This Inner Loop Header: Depth=3
	s_delay_alu instid0(VALU_DEP_1) | instskip(SKIP_3) | instid1(VALU_DEP_1)
	v_add_nc_u32_e32 v13, v18, v15
	s_or_b32 s74, s74, exec_lo
	s_or_b32 s75, s75, exec_lo
	s_mov_b32 s76, exec_lo
	v_ashrrev_i32_e32 v14, 31, v13
	s_delay_alu instid0(VALU_DEP_1) | instskip(NEXT) | instid1(VALU_DEP_1)
	v_lshlrev_b64 v[32:33], 2, v[13:14]
	v_add_co_u32 v32, vcc_lo, s20, v32
	s_delay_alu instid0(VALU_DEP_2) | instskip(SKIP_3) | instid1(VALU_DEP_1)
	v_add_co_ci_u32_e32 v33, vcc_lo, s21, v33, vcc_lo
	global_load_b32 v16, v[32:33], off
	s_waitcnt vmcnt(0)
	v_subrev_nc_u32_e32 v16, s61, v16
	v_cmpx_ne_u32_e64 v16, v23
	s_cbranch_execz .LBB49_64
; %bb.66:                               ;   in Loop: Header=BB49_65 Depth=3
	v_add_nc_u32_e32 v15, 1, v15
	s_and_not1_b32 s75, s75, exec_lo
	s_and_not1_b32 s74, s74, exec_lo
	s_delay_alu instid0(VALU_DEP_1) | instskip(SKIP_1) | instid1(SALU_CYCLE_1)
	v_cmp_ge_i32_e32 vcc_lo, v15, v39
	s_and_b32 s77, vcc_lo, exec_lo
	s_or_b32 s75, s75, s77
	s_branch .LBB49_64
.LBB49_67:                              ;   in Loop: Header=BB49_10 Depth=2
	s_set_inst_prefetch_distance 0x2
	s_or_b32 exec_lo, exec_lo, s13
	s_and_saveexec_b32 s13, s73
	s_delay_alu instid0(SALU_CYCLE_1)
	s_xor_b32 s73, exec_lo, s13
	s_cbranch_execz .LBB49_74
; %bb.68:                               ;   in Loop: Header=BB49_10 Depth=2
	v_lshlrev_b64 v[13:14], 4, v[13:14]
	s_delay_alu instid0(VALU_DEP_1) | instskip(NEXT) | instid1(VALU_DEP_2)
	v_add_co_u32 v15, vcc_lo, s52, v13
	v_add_co_ci_u32_e32 v16, vcc_lo, s53, v14, vcc_lo
	s_and_not1_b32 vcc_lo, exec_lo, s58
	global_store_b128 v[15:16], v[9:12], off
	s_cbranch_vccnz .LBB49_74
; %bb.69:                               ;   in Loop: Header=BB49_10 Depth=2
	v_add_co_u32 v13, vcc_lo, s22, v13
	v_add_co_ci_u32_e32 v14, vcc_lo, s23, v14, vcc_lo
	global_load_b128 v[13:16], v[13:14], off
	s_waitcnt vmcnt(0)
	v_add_f64 v[9:10], v[13:14], -v[9:10]
	v_add_f64 v[15:16], v[15:16], -v[11:12]
                                        ; implicit-def: $vgpr13_vgpr14
	s_delay_alu instid0(VALU_DEP_2) | instskip(NEXT) | instid1(VALU_DEP_2)
	v_cmp_gt_f64_e32 vcc_lo, 0, v[9:10]
	v_cmp_gt_f64_e64 s13, 0, v[15:16]
	v_xor_b32_e32 v11, 0x80000000, v10
	v_xor_b32_e32 v12, 0x80000000, v16
	s_delay_alu instid0(VALU_DEP_2) | instskip(NEXT) | instid1(VALU_DEP_2)
	v_dual_cndmask_b32 v10, v10, v11 :: v_dual_cndmask_b32 v9, v9, v9
	v_cndmask_b32_e64 v12, v16, v12, s13
	v_cndmask_b32_e64 v11, v15, v15, s13
	s_mov_b32 s13, exec_lo
	s_delay_alu instid0(VALU_DEP_1)
	v_cmpx_ngt_f64_e32 v[9:10], v[11:12]
	s_xor_b32 s13, exec_lo, s13
	s_cbranch_execnz .LBB49_109
; %bb.70:                               ;   in Loop: Header=BB49_10 Depth=2
	s_and_not1_saveexec_b32 s13, s13
	s_cbranch_execnz .LBB49_112
.LBB49_71:                              ;   in Loop: Header=BB49_10 Depth=2
	s_or_b32 exec_lo, exec_lo, s13
	s_delay_alu instid0(VALU_DEP_1) | instskip(NEXT) | instid1(VALU_DEP_1)
	v_cmp_class_f64_e64 s74, v[13:14], 0x1f8
	s_and_saveexec_b32 s13, s74
.LBB49_72:                              ;   in Loop: Header=BB49_10 Depth=2
	v_cmp_lt_f64_e32 vcc_lo, v[3:4], v[13:14]
	v_dual_cndmask_b32 v4, v4, v14 :: v_dual_cndmask_b32 v3, v3, v13
.LBB49_73:                              ;   in Loop: Header=BB49_10 Depth=2
	s_or_b32 exec_lo, exec_lo, s13
.LBB49_74:                              ;   in Loop: Header=BB49_10 Depth=2
	s_delay_alu instid0(SALU_CYCLE_1)
	s_or_b32 exec_lo, exec_lo, s73
.LBB49_75:                              ;   in Loop: Header=BB49_10 Depth=2
	s_delay_alu instid0(SALU_CYCLE_1)
	s_or_b32 exec_lo, exec_lo, s72
.LBB49_76:                              ;   in Loop: Header=BB49_10 Depth=2
	s_delay_alu instid0(SALU_CYCLE_1) | instskip(NEXT) | instid1(SALU_CYCLE_1)
	s_or_b32 exec_lo, exec_lo, s71
	s_or_b32 exec_lo, exec_lo, s70
	s_and_b32 s13, s14, s33
	s_delay_alu instid0(SALU_CYCLE_1)
	s_and_saveexec_b32 s14, s13
	s_cbranch_execz .LBB49_9
.LBB49_77:                              ;   in Loop: Header=BB49_10 Depth=2
	s_mov_b32 s13, exec_lo
	v_cmpx_ge_i32_e64 v31, v46
	s_xor_b32 s13, exec_lo, s13
	s_cbranch_execnz .LBB49_84
; %bb.78:                               ;   in Loop: Header=BB49_10 Depth=2
	s_and_not1_saveexec_b32 s13, s13
	s_cbranch_execnz .LBB49_98
.LBB49_79:                              ;   in Loop: Header=BB49_10 Depth=2
	s_or_b32 exec_lo, exec_lo, s13
	s_delay_alu instid0(SALU_CYCLE_1)
	s_mov_b32 s13, exec_lo
	v_cmpx_eq_u32_e64 v17, v23
	s_cbranch_execz .LBB49_81
.LBB49_80:                              ;   in Loop: Header=BB49_10 Depth=2
	v_lshlrev_b64 v[9:10], 4, v[23:24]
	s_delay_alu instid0(VALU_DEP_1) | instskip(NEXT) | instid1(VALU_DEP_2)
	v_add_co_u32 v9, vcc_lo, s24, v9
	v_add_co_ci_u32_e32 v10, vcc_lo, s25, v10, vcc_lo
	global_load_b128 v[9:12], v[9:10], off
	s_waitcnt vmcnt(0)
	v_add_f64 v[25:26], v[25:26], v[9:10]
	v_add_f64 v[27:28], v[27:28], v[11:12]
.LBB49_81:                              ;   in Loop: Header=BB49_10 Depth=2
	s_or_b32 exec_lo, exec_lo, s13
	s_delay_alu instid0(VALU_DEP_2) | instskip(NEXT) | instid1(VALU_DEP_2)
	v_add_f64 v[5:6], v[5:6], -v[25:26]
	v_add_f64 v[11:12], v[7:8], -v[27:28]
                                        ; implicit-def: $vgpr9_vgpr10
	s_delay_alu instid0(VALU_DEP_2) | instskip(NEXT) | instid1(VALU_DEP_2)
	v_cmp_gt_f64_e32 vcc_lo, 0, v[5:6]
	v_cmp_gt_f64_e64 s13, 0, v[11:12]
	v_xor_b32_e32 v7, 0x80000000, v6
	v_xor_b32_e32 v8, 0x80000000, v12
	s_delay_alu instid0(VALU_DEP_2) | instskip(NEXT) | instid1(VALU_DEP_2)
	v_dual_cndmask_b32 v6, v6, v7 :: v_dual_cndmask_b32 v5, v5, v5
	v_cndmask_b32_e64 v8, v12, v8, s13
	v_cndmask_b32_e64 v7, v11, v11, s13
	s_mov_b32 s13, exec_lo
	s_delay_alu instid0(VALU_DEP_1)
	v_cmpx_ngt_f64_e32 v[5:6], v[7:8]
	s_xor_b32 s13, exec_lo, s13
	s_cbranch_execnz .LBB49_89
; %bb.82:                               ;   in Loop: Header=BB49_10 Depth=2
	s_and_not1_saveexec_b32 s13, s13
	s_cbranch_execnz .LBB49_92
.LBB49_83:                              ;   in Loop: Header=BB49_10 Depth=2
	s_or_b32 exec_lo, exec_lo, s13
	s_delay_alu instid0(VALU_DEP_1) | instskip(NEXT) | instid1(VALU_DEP_1)
	v_cmp_class_f64_e64 s70, v[9:10], 0x1f8
	s_and_saveexec_b32 s13, s70
	s_cbranch_execz .LBB49_8
	s_branch .LBB49_93
.LBB49_84:                              ;   in Loop: Header=BB49_10 Depth=2
	s_mov_b32 s70, exec_lo
	v_cmpx_lt_i32_e64 v19, v39
	s_cbranch_execz .LBB49_97
; %bb.85:                               ;   in Loop: Header=BB49_10 Depth=2
	s_mov_b32 s72, 0
                                        ; implicit-def: $sgpr71
                                        ; implicit-def: $sgpr74
                                        ; implicit-def: $sgpr73
	s_set_inst_prefetch_distance 0x1
	s_branch .LBB49_87
	.p2align	6
.LBB49_86:                              ;   in Loop: Header=BB49_87 Depth=3
	s_or_b32 exec_lo, exec_lo, s75
	s_delay_alu instid0(SALU_CYCLE_1) | instskip(NEXT) | instid1(SALU_CYCLE_1)
	s_and_b32 s75, exec_lo, s74
	s_or_b32 s72, s75, s72
	s_and_not1_b32 s71, s71, exec_lo
	s_and_b32 s75, s73, exec_lo
	s_delay_alu instid0(SALU_CYCLE_1)
	s_or_b32 s71, s71, s75
	s_and_not1_b32 exec_lo, exec_lo, s72
	s_cbranch_execz .LBB49_94
.LBB49_87:                              ;   Parent Loop BB49_3 Depth=1
                                        ;     Parent Loop BB49_10 Depth=2
                                        ; =>    This Inner Loop Header: Depth=3
	v_add_nc_u32_e32 v9, v18, v19
	s_or_b32 s73, s73, exec_lo
	s_or_b32 s74, s74, exec_lo
	s_mov_b32 s75, exec_lo
	s_delay_alu instid0(VALU_DEP_1) | instskip(NEXT) | instid1(VALU_DEP_1)
	v_ashrrev_i32_e32 v10, 31, v9
	v_lshlrev_b64 v[11:12], 2, v[9:10]
	s_delay_alu instid0(VALU_DEP_1) | instskip(NEXT) | instid1(VALU_DEP_2)
	v_add_co_u32 v11, vcc_lo, s20, v11
	v_add_co_ci_u32_e32 v12, vcc_lo, s21, v12, vcc_lo
	global_load_b32 v11, v[11:12], off
	s_waitcnt vmcnt(0)
	v_subrev_nc_u32_e32 v11, s61, v11
	s_delay_alu instid0(VALU_DEP_1)
	v_cmpx_ne_u32_e64 v11, v23
	s_cbranch_execz .LBB49_86
; %bb.88:                               ;   in Loop: Header=BB49_87 Depth=3
	v_add_nc_u32_e32 v19, 1, v19
	s_and_not1_b32 s74, s74, exec_lo
	s_and_not1_b32 s73, s73, exec_lo
	s_delay_alu instid0(VALU_DEP_1) | instskip(SKIP_1) | instid1(SALU_CYCLE_1)
	v_cmp_ge_i32_e32 vcc_lo, v19, v39
	s_and_b32 s76, vcc_lo, exec_lo
	s_or_b32 s74, s74, s76
	s_branch .LBB49_86
.LBB49_89:                              ;   in Loop: Header=BB49_10 Depth=2
	v_mov_b32_e32 v9, 0
	v_mov_b32_e32 v10, 0
	s_mov_b32 s70, exec_lo
	v_cmpx_neq_f64_e32 0, v[11:12]
	s_cbranch_execz .LBB49_91
; %bb.90:                               ;   in Loop: Header=BB49_10 Depth=2
	v_div_scale_f64 v[9:10], null, v[7:8], v[7:8], v[5:6]
	v_div_scale_f64 v[15:16], vcc_lo, v[5:6], v[7:8], v[5:6]
	s_delay_alu instid0(VALU_DEP_2) | instskip(SKIP_2) | instid1(VALU_DEP_1)
	v_rcp_f64_e32 v[11:12], v[9:10]
	s_waitcnt_depctr 0xfff
	v_fma_f64 v[13:14], -v[9:10], v[11:12], 1.0
	v_fma_f64 v[11:12], v[11:12], v[13:14], v[11:12]
	s_delay_alu instid0(VALU_DEP_1) | instskip(NEXT) | instid1(VALU_DEP_1)
	v_fma_f64 v[13:14], -v[9:10], v[11:12], 1.0
	v_fma_f64 v[11:12], v[11:12], v[13:14], v[11:12]
	s_delay_alu instid0(VALU_DEP_1) | instskip(NEXT) | instid1(VALU_DEP_1)
	v_mul_f64 v[13:14], v[15:16], v[11:12]
	v_fma_f64 v[9:10], -v[9:10], v[13:14], v[15:16]
	s_delay_alu instid0(VALU_DEP_1) | instskip(NEXT) | instid1(VALU_DEP_1)
	v_div_fmas_f64 v[9:10], v[9:10], v[11:12], v[13:14]
	v_div_fixup_f64 v[5:6], v[9:10], v[7:8], v[5:6]
	s_delay_alu instid0(VALU_DEP_1) | instskip(NEXT) | instid1(VALU_DEP_1)
	v_fma_f64 v[5:6], v[5:6], v[5:6], 1.0
	v_cmp_gt_f64_e32 vcc_lo, 0x10000000, v[5:6]
	v_cndmask_b32_e64 v9, 0, 1, vcc_lo
	s_delay_alu instid0(VALU_DEP_1) | instskip(NEXT) | instid1(VALU_DEP_1)
	v_lshlrev_b32_e32 v9, 8, v9
	v_ldexp_f64 v[5:6], v[5:6], v9
	s_delay_alu instid0(VALU_DEP_1) | instskip(SKIP_3) | instid1(VALU_DEP_1)
	v_rsq_f64_e32 v[9:10], v[5:6]
	s_waitcnt_depctr 0xfff
	v_mul_f64 v[11:12], v[5:6], v[9:10]
	v_mul_f64 v[9:10], v[9:10], 0.5
	v_fma_f64 v[13:14], -v[9:10], v[11:12], 0.5
	s_delay_alu instid0(VALU_DEP_1) | instskip(SKIP_1) | instid1(VALU_DEP_2)
	v_fma_f64 v[11:12], v[11:12], v[13:14], v[11:12]
	v_fma_f64 v[9:10], v[9:10], v[13:14], v[9:10]
	v_fma_f64 v[13:14], -v[11:12], v[11:12], v[5:6]
	s_delay_alu instid0(VALU_DEP_1) | instskip(NEXT) | instid1(VALU_DEP_1)
	v_fma_f64 v[11:12], v[13:14], v[9:10], v[11:12]
	v_fma_f64 v[13:14], -v[11:12], v[11:12], v[5:6]
	s_delay_alu instid0(VALU_DEP_1) | instskip(SKIP_2) | instid1(VALU_DEP_2)
	v_fma_f64 v[9:10], v[13:14], v[9:10], v[11:12]
	v_cndmask_b32_e64 v11, 0, 0xffffff80, vcc_lo
	v_cmp_class_f64_e64 vcc_lo, v[5:6], 0x260
	v_ldexp_f64 v[9:10], v[9:10], v11
	s_delay_alu instid0(VALU_DEP_1) | instskip(NEXT) | instid1(VALU_DEP_1)
	v_dual_cndmask_b32 v6, v10, v6 :: v_dual_cndmask_b32 v5, v9, v5
	v_mul_f64 v[9:10], v[7:8], v[5:6]
.LBB49_91:                              ;   in Loop: Header=BB49_10 Depth=2
	s_or_b32 exec_lo, exec_lo, s70
                                        ; implicit-def: $vgpr5_vgpr6
                                        ; implicit-def: $vgpr7_vgpr8
	s_and_not1_saveexec_b32 s13, s13
	s_cbranch_execz .LBB49_83
.LBB49_92:                              ;   in Loop: Header=BB49_10 Depth=2
	v_div_scale_f64 v[9:10], null, v[5:6], v[5:6], v[7:8]
	v_div_scale_f64 v[15:16], vcc_lo, v[7:8], v[5:6], v[7:8]
	s_delay_alu instid0(VALU_DEP_2) | instskip(SKIP_2) | instid1(VALU_DEP_1)
	v_rcp_f64_e32 v[11:12], v[9:10]
	s_waitcnt_depctr 0xfff
	v_fma_f64 v[13:14], -v[9:10], v[11:12], 1.0
	v_fma_f64 v[11:12], v[11:12], v[13:14], v[11:12]
	s_delay_alu instid0(VALU_DEP_1) | instskip(NEXT) | instid1(VALU_DEP_1)
	v_fma_f64 v[13:14], -v[9:10], v[11:12], 1.0
	v_fma_f64 v[11:12], v[11:12], v[13:14], v[11:12]
	s_delay_alu instid0(VALU_DEP_1) | instskip(NEXT) | instid1(VALU_DEP_1)
	v_mul_f64 v[13:14], v[15:16], v[11:12]
	v_fma_f64 v[9:10], -v[9:10], v[13:14], v[15:16]
	s_delay_alu instid0(VALU_DEP_1) | instskip(NEXT) | instid1(VALU_DEP_1)
	v_div_fmas_f64 v[9:10], v[9:10], v[11:12], v[13:14]
	v_div_fixup_f64 v[7:8], v[9:10], v[5:6], v[7:8]
	s_delay_alu instid0(VALU_DEP_1) | instskip(NEXT) | instid1(VALU_DEP_1)
	v_fma_f64 v[7:8], v[7:8], v[7:8], 1.0
	v_cmp_gt_f64_e32 vcc_lo, 0x10000000, v[7:8]
	v_cndmask_b32_e64 v9, 0, 1, vcc_lo
	s_delay_alu instid0(VALU_DEP_1) | instskip(NEXT) | instid1(VALU_DEP_1)
	v_lshlrev_b32_e32 v9, 8, v9
	v_ldexp_f64 v[7:8], v[7:8], v9
	s_delay_alu instid0(VALU_DEP_1) | instskip(SKIP_3) | instid1(VALU_DEP_1)
	v_rsq_f64_e32 v[9:10], v[7:8]
	s_waitcnt_depctr 0xfff
	v_mul_f64 v[11:12], v[7:8], v[9:10]
	v_mul_f64 v[9:10], v[9:10], 0.5
	v_fma_f64 v[13:14], -v[9:10], v[11:12], 0.5
	s_delay_alu instid0(VALU_DEP_1) | instskip(SKIP_1) | instid1(VALU_DEP_2)
	v_fma_f64 v[11:12], v[11:12], v[13:14], v[11:12]
	v_fma_f64 v[9:10], v[9:10], v[13:14], v[9:10]
	v_fma_f64 v[13:14], -v[11:12], v[11:12], v[7:8]
	s_delay_alu instid0(VALU_DEP_1) | instskip(NEXT) | instid1(VALU_DEP_1)
	v_fma_f64 v[11:12], v[13:14], v[9:10], v[11:12]
	v_fma_f64 v[13:14], -v[11:12], v[11:12], v[7:8]
	s_delay_alu instid0(VALU_DEP_1) | instskip(SKIP_2) | instid1(VALU_DEP_2)
	v_fma_f64 v[9:10], v[13:14], v[9:10], v[11:12]
	v_cndmask_b32_e64 v11, 0, 0xffffff80, vcc_lo
	v_cmp_class_f64_e64 vcc_lo, v[7:8], 0x260
	v_ldexp_f64 v[9:10], v[9:10], v11
	s_delay_alu instid0(VALU_DEP_1) | instskip(NEXT) | instid1(VALU_DEP_1)
	v_dual_cndmask_b32 v8, v10, v8 :: v_dual_cndmask_b32 v7, v9, v7
	v_mul_f64 v[9:10], v[5:6], v[7:8]
	s_or_b32 exec_lo, exec_lo, s13
	s_delay_alu instid0(VALU_DEP_1) | instskip(NEXT) | instid1(VALU_DEP_1)
	v_cmp_class_f64_e64 s70, v[9:10], 0x1f8
	s_and_saveexec_b32 s13, s70
	s_cbranch_execz .LBB49_8
.LBB49_93:                              ;   in Loop: Header=BB49_10 Depth=2
	v_cmp_lt_f64_e32 vcc_lo, v[1:2], v[9:10]
	v_dual_cndmask_b32 v2, v2, v10 :: v_dual_cndmask_b32 v1, v1, v9
	s_branch .LBB49_8
.LBB49_94:                              ;   in Loop: Header=BB49_10 Depth=2
	s_set_inst_prefetch_distance 0x2
	s_or_b32 exec_lo, exec_lo, s72
	s_and_saveexec_b32 s72, s71
	s_delay_alu instid0(SALU_CYCLE_1)
	s_xor_b32 s71, exec_lo, s72
	s_cbranch_execz .LBB49_96
; %bb.95:                               ;   in Loop: Header=BB49_10 Depth=2
	v_lshlrev_b64 v[11:12], 4, v[23:24]
	v_lshlrev_b64 v[9:10], 4, v[9:10]
	s_delay_alu instid0(VALU_DEP_2) | instskip(NEXT) | instid1(VALU_DEP_3)
	v_add_co_u32 v11, vcc_lo, s24, v11
	v_add_co_ci_u32_e32 v12, vcc_lo, s25, v12, vcc_lo
	s_delay_alu instid0(VALU_DEP_3) | instskip(NEXT) | instid1(VALU_DEP_4)
	v_add_co_u32 v13, vcc_lo, s22, v9
	v_add_co_ci_u32_e32 v14, vcc_lo, s23, v10, vcc_lo
	global_load_b128 v[9:12], v[11:12], off
	global_load_b128 v[13:16], v[13:14], off
	s_waitcnt vmcnt(0)
	v_mul_f64 v[29:30], v[11:12], -v[15:16]
	v_mul_f64 v[11:12], v[11:12], v[13:14]
	s_delay_alu instid0(VALU_DEP_2) | instskip(NEXT) | instid1(VALU_DEP_2)
	v_fma_f64 v[13:14], v[13:14], v[9:10], v[29:30]
	v_fma_f64 v[9:10], v[15:16], v[9:10], v[11:12]
	s_delay_alu instid0(VALU_DEP_2) | instskip(NEXT) | instid1(VALU_DEP_2)
	v_add_f64 v[25:26], v[25:26], v[13:14]
	v_add_f64 v[27:28], v[27:28], v[9:10]
.LBB49_96:                              ;   in Loop: Header=BB49_10 Depth=2
	s_or_b32 exec_lo, exec_lo, s71
.LBB49_97:                              ;   in Loop: Header=BB49_10 Depth=2
	s_delay_alu instid0(SALU_CYCLE_1)
	s_or_b32 exec_lo, exec_lo, s70
                                        ; implicit-def: $vgpr31
                                        ; implicit-def: $vgpr29
                                        ; implicit-def: $vgpr46
	s_and_not1_saveexec_b32 s13, s13
	s_cbranch_execz .LBB49_79
.LBB49_98:                              ;   in Loop: Header=BB49_10 Depth=2
	s_mov_b32 s71, 0
                                        ; implicit-def: $sgpr70
                                        ; implicit-def: $sgpr73
                                        ; implicit-def: $sgpr72
	s_set_inst_prefetch_distance 0x1
	s_branch .LBB49_100
	.p2align	6
.LBB49_99:                              ;   in Loop: Header=BB49_100 Depth=3
	s_or_b32 exec_lo, exec_lo, s74
	s_delay_alu instid0(SALU_CYCLE_1) | instskip(NEXT) | instid1(SALU_CYCLE_1)
	s_and_b32 s74, exec_lo, s73
	s_or_b32 s71, s74, s71
	s_and_not1_b32 s70, s70, exec_lo
	s_and_b32 s74, s72, exec_lo
	s_delay_alu instid0(SALU_CYCLE_1)
	s_or_b32 s70, s70, s74
	s_and_not1_b32 exec_lo, exec_lo, s71
	s_cbranch_execz .LBB49_102
.LBB49_100:                             ;   Parent Loop BB49_3 Depth=1
                                        ;     Parent Loop BB49_10 Depth=2
                                        ; =>    This Inner Loop Header: Depth=3
	v_add_nc_u32_e32 v9, v29, v31
	s_or_b32 s72, s72, exec_lo
	s_or_b32 s73, s73, exec_lo
	s_mov_b32 s74, exec_lo
	s_delay_alu instid0(VALU_DEP_1) | instskip(NEXT) | instid1(VALU_DEP_1)
	v_ashrrev_i32_e32 v10, 31, v9
	v_lshlrev_b64 v[11:12], 2, v[9:10]
	s_delay_alu instid0(VALU_DEP_1) | instskip(NEXT) | instid1(VALU_DEP_2)
	v_add_co_u32 v11, vcc_lo, s40, v11
	v_add_co_ci_u32_e32 v12, vcc_lo, s41, v12, vcc_lo
	global_load_b32 v11, v[11:12], off
	s_waitcnt vmcnt(0)
	v_subrev_nc_u32_e32 v11, s63, v11
	s_delay_alu instid0(VALU_DEP_1)
	v_cmpx_ne_u32_e64 v11, v17
	s_cbranch_execz .LBB49_99
; %bb.101:                              ;   in Loop: Header=BB49_100 Depth=3
	v_add_nc_u32_e32 v31, 1, v31
	s_and_not1_b32 s73, s73, exec_lo
	s_and_not1_b32 s72, s72, exec_lo
	s_delay_alu instid0(VALU_DEP_1) | instskip(SKIP_1) | instid1(SALU_CYCLE_1)
	v_cmp_ge_i32_e32 vcc_lo, v31, v46
	s_and_b32 s75, vcc_lo, exec_lo
	s_or_b32 s73, s73, s75
	s_branch .LBB49_99
.LBB49_102:                             ;   in Loop: Header=BB49_10 Depth=2
	s_set_inst_prefetch_distance 0x2
	s_or_b32 exec_lo, exec_lo, s71
	s_and_saveexec_b32 s71, s70
	s_delay_alu instid0(SALU_CYCLE_1)
	s_xor_b32 s70, exec_lo, s71
	s_cbranch_execz .LBB49_104
; %bb.103:                              ;   in Loop: Header=BB49_10 Depth=2
	v_lshlrev_b64 v[9:10], 4, v[9:10]
	s_delay_alu instid0(VALU_DEP_1) | instskip(NEXT) | instid1(VALU_DEP_2)
	v_add_co_u32 v9, vcc_lo, s42, v9
	v_add_co_ci_u32_e32 v10, vcc_lo, s43, v10, vcc_lo
	global_load_b128 v[9:12], v[9:10], off
	s_waitcnt vmcnt(0)
	v_add_f64 v[25:26], v[25:26], v[9:10]
	v_add_f64 v[27:28], v[27:28], v[11:12]
.LBB49_104:                             ;   in Loop: Header=BB49_10 Depth=2
	s_or_b32 exec_lo, exec_lo, s70
	s_delay_alu instid0(SALU_CYCLE_1) | instskip(NEXT) | instid1(SALU_CYCLE_1)
	s_or_b32 exec_lo, exec_lo, s13
	s_mov_b32 s13, exec_lo
	v_cmpx_eq_u32_e64 v17, v23
	s_cbranch_execnz .LBB49_80
	s_branch .LBB49_81
.LBB49_105:                             ;   in Loop: Header=BB49_10 Depth=2
	v_mov_b32_e32 v13, 0
	v_mov_b32_e32 v14, 0
	s_mov_b32 s73, exec_lo
	v_cmpx_neq_f64_e32 0, v[15:16]
	s_cbranch_execz .LBB49_107
; %bb.106:                              ;   in Loop: Header=BB49_10 Depth=2
	v_div_scale_f64 v[13:14], null, v[11:12], v[11:12], v[9:10]
	v_div_scale_f64 v[34:35], vcc_lo, v[9:10], v[11:12], v[9:10]
	s_delay_alu instid0(VALU_DEP_2) | instskip(SKIP_2) | instid1(VALU_DEP_1)
	v_rcp_f64_e32 v[15:16], v[13:14]
	s_waitcnt_depctr 0xfff
	v_fma_f64 v[32:33], -v[13:14], v[15:16], 1.0
	v_fma_f64 v[15:16], v[15:16], v[32:33], v[15:16]
	s_delay_alu instid0(VALU_DEP_1) | instskip(NEXT) | instid1(VALU_DEP_1)
	v_fma_f64 v[32:33], -v[13:14], v[15:16], 1.0
	v_fma_f64 v[15:16], v[15:16], v[32:33], v[15:16]
	s_delay_alu instid0(VALU_DEP_1) | instskip(NEXT) | instid1(VALU_DEP_1)
	v_mul_f64 v[32:33], v[34:35], v[15:16]
	v_fma_f64 v[13:14], -v[13:14], v[32:33], v[34:35]
	s_delay_alu instid0(VALU_DEP_1) | instskip(NEXT) | instid1(VALU_DEP_1)
	v_div_fmas_f64 v[13:14], v[13:14], v[15:16], v[32:33]
	v_div_fixup_f64 v[9:10], v[13:14], v[11:12], v[9:10]
	s_delay_alu instid0(VALU_DEP_1) | instskip(NEXT) | instid1(VALU_DEP_1)
	v_fma_f64 v[9:10], v[9:10], v[9:10], 1.0
	v_cmp_gt_f64_e32 vcc_lo, 0x10000000, v[9:10]
	v_cndmask_b32_e64 v13, 0, 1, vcc_lo
	s_delay_alu instid0(VALU_DEP_1) | instskip(NEXT) | instid1(VALU_DEP_1)
	v_lshlrev_b32_e32 v13, 8, v13
	v_ldexp_f64 v[9:10], v[9:10], v13
	s_delay_alu instid0(VALU_DEP_1) | instskip(SKIP_3) | instid1(VALU_DEP_1)
	v_rsq_f64_e32 v[13:14], v[9:10]
	s_waitcnt_depctr 0xfff
	v_mul_f64 v[15:16], v[9:10], v[13:14]
	v_mul_f64 v[13:14], v[13:14], 0.5
	v_fma_f64 v[32:33], -v[13:14], v[15:16], 0.5
	s_delay_alu instid0(VALU_DEP_1) | instskip(SKIP_1) | instid1(VALU_DEP_2)
	v_fma_f64 v[15:16], v[15:16], v[32:33], v[15:16]
	v_fma_f64 v[13:14], v[13:14], v[32:33], v[13:14]
	v_fma_f64 v[32:33], -v[15:16], v[15:16], v[9:10]
	s_delay_alu instid0(VALU_DEP_1) | instskip(NEXT) | instid1(VALU_DEP_1)
	v_fma_f64 v[15:16], v[32:33], v[13:14], v[15:16]
	v_fma_f64 v[32:33], -v[15:16], v[15:16], v[9:10]
	s_delay_alu instid0(VALU_DEP_1) | instskip(SKIP_2) | instid1(VALU_DEP_2)
	v_fma_f64 v[13:14], v[32:33], v[13:14], v[15:16]
	v_cndmask_b32_e64 v15, 0, 0xffffff80, vcc_lo
	v_cmp_class_f64_e64 vcc_lo, v[9:10], 0x260
	v_ldexp_f64 v[13:14], v[13:14], v15
	s_delay_alu instid0(VALU_DEP_1) | instskip(NEXT) | instid1(VALU_DEP_1)
	v_dual_cndmask_b32 v10, v14, v10 :: v_dual_cndmask_b32 v9, v13, v9
	v_mul_f64 v[13:14], v[11:12], v[9:10]
.LBB49_107:                             ;   in Loop: Header=BB49_10 Depth=2
	s_or_b32 exec_lo, exec_lo, s73
                                        ; implicit-def: $vgpr9_vgpr10
                                        ; implicit-def: $vgpr11_vgpr12
	s_and_not1_saveexec_b32 s13, s13
	s_cbranch_execz .LBB49_41
.LBB49_108:                             ;   in Loop: Header=BB49_10 Depth=2
	v_div_scale_f64 v[13:14], null, v[9:10], v[9:10], v[11:12]
	v_div_scale_f64 v[34:35], vcc_lo, v[11:12], v[9:10], v[11:12]
	s_delay_alu instid0(VALU_DEP_2) | instskip(SKIP_2) | instid1(VALU_DEP_1)
	v_rcp_f64_e32 v[15:16], v[13:14]
	s_waitcnt_depctr 0xfff
	v_fma_f64 v[32:33], -v[13:14], v[15:16], 1.0
	v_fma_f64 v[15:16], v[15:16], v[32:33], v[15:16]
	s_delay_alu instid0(VALU_DEP_1) | instskip(NEXT) | instid1(VALU_DEP_1)
	v_fma_f64 v[32:33], -v[13:14], v[15:16], 1.0
	v_fma_f64 v[15:16], v[15:16], v[32:33], v[15:16]
	s_delay_alu instid0(VALU_DEP_1) | instskip(NEXT) | instid1(VALU_DEP_1)
	v_mul_f64 v[32:33], v[34:35], v[15:16]
	v_fma_f64 v[13:14], -v[13:14], v[32:33], v[34:35]
	s_delay_alu instid0(VALU_DEP_1) | instskip(NEXT) | instid1(VALU_DEP_1)
	v_div_fmas_f64 v[13:14], v[13:14], v[15:16], v[32:33]
	v_div_fixup_f64 v[11:12], v[13:14], v[9:10], v[11:12]
	s_delay_alu instid0(VALU_DEP_1) | instskip(NEXT) | instid1(VALU_DEP_1)
	v_fma_f64 v[11:12], v[11:12], v[11:12], 1.0
	v_cmp_gt_f64_e32 vcc_lo, 0x10000000, v[11:12]
	v_cndmask_b32_e64 v13, 0, 1, vcc_lo
	s_delay_alu instid0(VALU_DEP_1) | instskip(NEXT) | instid1(VALU_DEP_1)
	v_lshlrev_b32_e32 v13, 8, v13
	v_ldexp_f64 v[11:12], v[11:12], v13
	s_delay_alu instid0(VALU_DEP_1) | instskip(SKIP_3) | instid1(VALU_DEP_1)
	v_rsq_f64_e32 v[13:14], v[11:12]
	s_waitcnt_depctr 0xfff
	v_mul_f64 v[15:16], v[11:12], v[13:14]
	v_mul_f64 v[13:14], v[13:14], 0.5
	v_fma_f64 v[32:33], -v[13:14], v[15:16], 0.5
	s_delay_alu instid0(VALU_DEP_1) | instskip(SKIP_1) | instid1(VALU_DEP_2)
	v_fma_f64 v[15:16], v[15:16], v[32:33], v[15:16]
	v_fma_f64 v[13:14], v[13:14], v[32:33], v[13:14]
	v_fma_f64 v[32:33], -v[15:16], v[15:16], v[11:12]
	s_delay_alu instid0(VALU_DEP_1) | instskip(NEXT) | instid1(VALU_DEP_1)
	v_fma_f64 v[15:16], v[32:33], v[13:14], v[15:16]
	v_fma_f64 v[32:33], -v[15:16], v[15:16], v[11:12]
	s_delay_alu instid0(VALU_DEP_1) | instskip(SKIP_2) | instid1(VALU_DEP_2)
	v_fma_f64 v[13:14], v[32:33], v[13:14], v[15:16]
	v_cndmask_b32_e64 v15, 0, 0xffffff80, vcc_lo
	v_cmp_class_f64_e64 vcc_lo, v[11:12], 0x260
	v_ldexp_f64 v[13:14], v[13:14], v15
	s_delay_alu instid0(VALU_DEP_1) | instskip(NEXT) | instid1(VALU_DEP_1)
	v_dual_cndmask_b32 v12, v14, v12 :: v_dual_cndmask_b32 v11, v13, v11
	v_mul_f64 v[13:14], v[9:10], v[11:12]
	s_or_b32 exec_lo, exec_lo, s13
	s_delay_alu instid0(VALU_DEP_1) | instskip(NEXT) | instid1(VALU_DEP_1)
	v_cmp_class_f64_e64 s73, v[13:14], 0x1f8
	s_and_saveexec_b32 s13, s73
	s_cbranch_execnz .LBB49_42
	s_branch .LBB49_43
.LBB49_109:                             ;   in Loop: Header=BB49_10 Depth=2
	v_mov_b32_e32 v13, 0
	v_mov_b32_e32 v14, 0
	s_mov_b32 s74, exec_lo
	v_cmpx_neq_f64_e32 0, v[15:16]
	s_cbranch_execz .LBB49_111
; %bb.110:                              ;   in Loop: Header=BB49_10 Depth=2
	v_div_scale_f64 v[13:14], null, v[11:12], v[11:12], v[9:10]
	v_div_scale_f64 v[34:35], vcc_lo, v[9:10], v[11:12], v[9:10]
	s_delay_alu instid0(VALU_DEP_2) | instskip(SKIP_2) | instid1(VALU_DEP_1)
	v_rcp_f64_e32 v[15:16], v[13:14]
	s_waitcnt_depctr 0xfff
	v_fma_f64 v[32:33], -v[13:14], v[15:16], 1.0
	v_fma_f64 v[15:16], v[15:16], v[32:33], v[15:16]
	s_delay_alu instid0(VALU_DEP_1) | instskip(NEXT) | instid1(VALU_DEP_1)
	v_fma_f64 v[32:33], -v[13:14], v[15:16], 1.0
	v_fma_f64 v[15:16], v[15:16], v[32:33], v[15:16]
	s_delay_alu instid0(VALU_DEP_1) | instskip(NEXT) | instid1(VALU_DEP_1)
	v_mul_f64 v[32:33], v[34:35], v[15:16]
	v_fma_f64 v[13:14], -v[13:14], v[32:33], v[34:35]
	s_delay_alu instid0(VALU_DEP_1) | instskip(NEXT) | instid1(VALU_DEP_1)
	v_div_fmas_f64 v[13:14], v[13:14], v[15:16], v[32:33]
	v_div_fixup_f64 v[9:10], v[13:14], v[11:12], v[9:10]
	s_delay_alu instid0(VALU_DEP_1) | instskip(NEXT) | instid1(VALU_DEP_1)
	v_fma_f64 v[9:10], v[9:10], v[9:10], 1.0
	v_cmp_gt_f64_e32 vcc_lo, 0x10000000, v[9:10]
	v_cndmask_b32_e64 v13, 0, 1, vcc_lo
	s_delay_alu instid0(VALU_DEP_1) | instskip(NEXT) | instid1(VALU_DEP_1)
	v_lshlrev_b32_e32 v13, 8, v13
	v_ldexp_f64 v[9:10], v[9:10], v13
	s_delay_alu instid0(VALU_DEP_1) | instskip(SKIP_3) | instid1(VALU_DEP_1)
	v_rsq_f64_e32 v[13:14], v[9:10]
	s_waitcnt_depctr 0xfff
	v_mul_f64 v[15:16], v[9:10], v[13:14]
	v_mul_f64 v[13:14], v[13:14], 0.5
	v_fma_f64 v[32:33], -v[13:14], v[15:16], 0.5
	s_delay_alu instid0(VALU_DEP_1) | instskip(SKIP_1) | instid1(VALU_DEP_2)
	v_fma_f64 v[15:16], v[15:16], v[32:33], v[15:16]
	v_fma_f64 v[13:14], v[13:14], v[32:33], v[13:14]
	v_fma_f64 v[32:33], -v[15:16], v[15:16], v[9:10]
	s_delay_alu instid0(VALU_DEP_1) | instskip(NEXT) | instid1(VALU_DEP_1)
	v_fma_f64 v[15:16], v[32:33], v[13:14], v[15:16]
	v_fma_f64 v[32:33], -v[15:16], v[15:16], v[9:10]
	s_delay_alu instid0(VALU_DEP_1) | instskip(SKIP_2) | instid1(VALU_DEP_2)
	v_fma_f64 v[13:14], v[32:33], v[13:14], v[15:16]
	v_cndmask_b32_e64 v15, 0, 0xffffff80, vcc_lo
	v_cmp_class_f64_e64 vcc_lo, v[9:10], 0x260
	v_ldexp_f64 v[13:14], v[13:14], v15
	s_delay_alu instid0(VALU_DEP_1) | instskip(NEXT) | instid1(VALU_DEP_1)
	v_dual_cndmask_b32 v10, v14, v10 :: v_dual_cndmask_b32 v9, v13, v9
	v_mul_f64 v[13:14], v[11:12], v[9:10]
.LBB49_111:                             ;   in Loop: Header=BB49_10 Depth=2
	s_or_b32 exec_lo, exec_lo, s74
                                        ; implicit-def: $vgpr9_vgpr10
                                        ; implicit-def: $vgpr11_vgpr12
	s_and_not1_saveexec_b32 s13, s13
	s_cbranch_execz .LBB49_71
.LBB49_112:                             ;   in Loop: Header=BB49_10 Depth=2
	v_div_scale_f64 v[13:14], null, v[9:10], v[9:10], v[11:12]
	v_div_scale_f64 v[34:35], vcc_lo, v[11:12], v[9:10], v[11:12]
	s_delay_alu instid0(VALU_DEP_2) | instskip(SKIP_2) | instid1(VALU_DEP_1)
	v_rcp_f64_e32 v[15:16], v[13:14]
	s_waitcnt_depctr 0xfff
	v_fma_f64 v[32:33], -v[13:14], v[15:16], 1.0
	v_fma_f64 v[15:16], v[15:16], v[32:33], v[15:16]
	s_delay_alu instid0(VALU_DEP_1) | instskip(NEXT) | instid1(VALU_DEP_1)
	v_fma_f64 v[32:33], -v[13:14], v[15:16], 1.0
	v_fma_f64 v[15:16], v[15:16], v[32:33], v[15:16]
	s_delay_alu instid0(VALU_DEP_1) | instskip(NEXT) | instid1(VALU_DEP_1)
	v_mul_f64 v[32:33], v[34:35], v[15:16]
	v_fma_f64 v[13:14], -v[13:14], v[32:33], v[34:35]
	s_delay_alu instid0(VALU_DEP_1) | instskip(NEXT) | instid1(VALU_DEP_1)
	v_div_fmas_f64 v[13:14], v[13:14], v[15:16], v[32:33]
	v_div_fixup_f64 v[11:12], v[13:14], v[9:10], v[11:12]
	s_delay_alu instid0(VALU_DEP_1) | instskip(NEXT) | instid1(VALU_DEP_1)
	v_fma_f64 v[11:12], v[11:12], v[11:12], 1.0
	v_cmp_gt_f64_e32 vcc_lo, 0x10000000, v[11:12]
	v_cndmask_b32_e64 v13, 0, 1, vcc_lo
	s_delay_alu instid0(VALU_DEP_1) | instskip(NEXT) | instid1(VALU_DEP_1)
	v_lshlrev_b32_e32 v13, 8, v13
	v_ldexp_f64 v[11:12], v[11:12], v13
	s_delay_alu instid0(VALU_DEP_1) | instskip(SKIP_3) | instid1(VALU_DEP_1)
	v_rsq_f64_e32 v[13:14], v[11:12]
	s_waitcnt_depctr 0xfff
	v_mul_f64 v[15:16], v[11:12], v[13:14]
	v_mul_f64 v[13:14], v[13:14], 0.5
	v_fma_f64 v[32:33], -v[13:14], v[15:16], 0.5
	s_delay_alu instid0(VALU_DEP_1) | instskip(SKIP_1) | instid1(VALU_DEP_2)
	v_fma_f64 v[15:16], v[15:16], v[32:33], v[15:16]
	v_fma_f64 v[13:14], v[13:14], v[32:33], v[13:14]
	v_fma_f64 v[32:33], -v[15:16], v[15:16], v[11:12]
	s_delay_alu instid0(VALU_DEP_1) | instskip(NEXT) | instid1(VALU_DEP_1)
	v_fma_f64 v[15:16], v[32:33], v[13:14], v[15:16]
	v_fma_f64 v[32:33], -v[15:16], v[15:16], v[11:12]
	s_delay_alu instid0(VALU_DEP_1) | instskip(SKIP_2) | instid1(VALU_DEP_2)
	v_fma_f64 v[13:14], v[32:33], v[13:14], v[15:16]
	v_cndmask_b32_e64 v15, 0, 0xffffff80, vcc_lo
	v_cmp_class_f64_e64 vcc_lo, v[11:12], 0x260
	v_ldexp_f64 v[13:14], v[13:14], v15
	s_delay_alu instid0(VALU_DEP_1) | instskip(NEXT) | instid1(VALU_DEP_1)
	v_dual_cndmask_b32 v12, v14, v12 :: v_dual_cndmask_b32 v11, v13, v11
	v_mul_f64 v[13:14], v[9:10], v[11:12]
	s_or_b32 exec_lo, exec_lo, s13
	s_delay_alu instid0(VALU_DEP_1) | instskip(NEXT) | instid1(VALU_DEP_1)
	v_cmp_class_f64_e64 s74, v[13:14], 0x1f8
	s_and_saveexec_b32 s13, s74
	s_cbranch_execnz .LBB49_72
	s_branch .LBB49_73
.LBB49_113:                             ;   in Loop: Header=BB49_10 Depth=2
	v_mov_b32_e32 v13, 0
	v_mov_b32_e32 v14, 0
	s_mov_b32 s75, exec_lo
	v_cmpx_neq_f64_e32 0, v[15:16]
	s_cbranch_execz .LBB49_115
; %bb.114:                              ;   in Loop: Header=BB49_10 Depth=2
	v_div_scale_f64 v[13:14], null, v[11:12], v[11:12], v[9:10]
	v_div_scale_f64 v[34:35], vcc_lo, v[9:10], v[11:12], v[9:10]
	s_delay_alu instid0(VALU_DEP_2) | instskip(SKIP_2) | instid1(VALU_DEP_1)
	v_rcp_f64_e32 v[15:16], v[13:14]
	s_waitcnt_depctr 0xfff
	v_fma_f64 v[32:33], -v[13:14], v[15:16], 1.0
	v_fma_f64 v[15:16], v[15:16], v[32:33], v[15:16]
	s_delay_alu instid0(VALU_DEP_1) | instskip(NEXT) | instid1(VALU_DEP_1)
	v_fma_f64 v[32:33], -v[13:14], v[15:16], 1.0
	v_fma_f64 v[15:16], v[15:16], v[32:33], v[15:16]
	s_delay_alu instid0(VALU_DEP_1) | instskip(NEXT) | instid1(VALU_DEP_1)
	v_mul_f64 v[32:33], v[34:35], v[15:16]
	v_fma_f64 v[13:14], -v[13:14], v[32:33], v[34:35]
	s_delay_alu instid0(VALU_DEP_1) | instskip(NEXT) | instid1(VALU_DEP_1)
	v_div_fmas_f64 v[13:14], v[13:14], v[15:16], v[32:33]
	v_div_fixup_f64 v[9:10], v[13:14], v[11:12], v[9:10]
	s_delay_alu instid0(VALU_DEP_1) | instskip(NEXT) | instid1(VALU_DEP_1)
	v_fma_f64 v[9:10], v[9:10], v[9:10], 1.0
	v_cmp_gt_f64_e32 vcc_lo, 0x10000000, v[9:10]
	v_cndmask_b32_e64 v13, 0, 1, vcc_lo
	s_delay_alu instid0(VALU_DEP_1) | instskip(NEXT) | instid1(VALU_DEP_1)
	v_lshlrev_b32_e32 v13, 8, v13
	v_ldexp_f64 v[9:10], v[9:10], v13
	s_delay_alu instid0(VALU_DEP_1) | instskip(SKIP_3) | instid1(VALU_DEP_1)
	v_rsq_f64_e32 v[13:14], v[9:10]
	s_waitcnt_depctr 0xfff
	v_mul_f64 v[15:16], v[9:10], v[13:14]
	v_mul_f64 v[13:14], v[13:14], 0.5
	v_fma_f64 v[32:33], -v[13:14], v[15:16], 0.5
	s_delay_alu instid0(VALU_DEP_1) | instskip(SKIP_1) | instid1(VALU_DEP_2)
	v_fma_f64 v[15:16], v[15:16], v[32:33], v[15:16]
	v_fma_f64 v[13:14], v[13:14], v[32:33], v[13:14]
	v_fma_f64 v[32:33], -v[15:16], v[15:16], v[9:10]
	s_delay_alu instid0(VALU_DEP_1) | instskip(NEXT) | instid1(VALU_DEP_1)
	v_fma_f64 v[15:16], v[32:33], v[13:14], v[15:16]
	v_fma_f64 v[32:33], -v[15:16], v[15:16], v[9:10]
	s_delay_alu instid0(VALU_DEP_1) | instskip(SKIP_2) | instid1(VALU_DEP_2)
	v_fma_f64 v[13:14], v[32:33], v[13:14], v[15:16]
	v_cndmask_b32_e64 v15, 0, 0xffffff80, vcc_lo
	v_cmp_class_f64_e64 vcc_lo, v[9:10], 0x260
	v_ldexp_f64 v[13:14], v[13:14], v15
	s_delay_alu instid0(VALU_DEP_1) | instskip(NEXT) | instid1(VALU_DEP_1)
	v_dual_cndmask_b32 v10, v14, v10 :: v_dual_cndmask_b32 v9, v13, v9
	v_mul_f64 v[13:14], v[11:12], v[9:10]
.LBB49_115:                             ;   in Loop: Header=BB49_10 Depth=2
	s_or_b32 exec_lo, exec_lo, s75
                                        ; implicit-def: $vgpr9_vgpr10
                                        ; implicit-def: $vgpr11_vgpr12
	s_and_not1_saveexec_b32 s13, s13
	s_cbranch_execz .LBB49_55
.LBB49_116:                             ;   in Loop: Header=BB49_10 Depth=2
	v_div_scale_f64 v[13:14], null, v[9:10], v[9:10], v[11:12]
	v_div_scale_f64 v[34:35], vcc_lo, v[11:12], v[9:10], v[11:12]
	s_delay_alu instid0(VALU_DEP_2) | instskip(SKIP_2) | instid1(VALU_DEP_1)
	v_rcp_f64_e32 v[15:16], v[13:14]
	s_waitcnt_depctr 0xfff
	v_fma_f64 v[32:33], -v[13:14], v[15:16], 1.0
	v_fma_f64 v[15:16], v[15:16], v[32:33], v[15:16]
	s_delay_alu instid0(VALU_DEP_1) | instskip(NEXT) | instid1(VALU_DEP_1)
	v_fma_f64 v[32:33], -v[13:14], v[15:16], 1.0
	v_fma_f64 v[15:16], v[15:16], v[32:33], v[15:16]
	s_delay_alu instid0(VALU_DEP_1) | instskip(NEXT) | instid1(VALU_DEP_1)
	v_mul_f64 v[32:33], v[34:35], v[15:16]
	v_fma_f64 v[13:14], -v[13:14], v[32:33], v[34:35]
	s_delay_alu instid0(VALU_DEP_1) | instskip(NEXT) | instid1(VALU_DEP_1)
	v_div_fmas_f64 v[13:14], v[13:14], v[15:16], v[32:33]
	v_div_fixup_f64 v[11:12], v[13:14], v[9:10], v[11:12]
	s_delay_alu instid0(VALU_DEP_1) | instskip(NEXT) | instid1(VALU_DEP_1)
	v_fma_f64 v[11:12], v[11:12], v[11:12], 1.0
	v_cmp_gt_f64_e32 vcc_lo, 0x10000000, v[11:12]
	v_cndmask_b32_e64 v13, 0, 1, vcc_lo
	s_delay_alu instid0(VALU_DEP_1) | instskip(NEXT) | instid1(VALU_DEP_1)
	v_lshlrev_b32_e32 v13, 8, v13
	v_ldexp_f64 v[11:12], v[11:12], v13
	s_delay_alu instid0(VALU_DEP_1) | instskip(SKIP_3) | instid1(VALU_DEP_1)
	v_rsq_f64_e32 v[13:14], v[11:12]
	s_waitcnt_depctr 0xfff
	v_mul_f64 v[15:16], v[11:12], v[13:14]
	v_mul_f64 v[13:14], v[13:14], 0.5
	v_fma_f64 v[32:33], -v[13:14], v[15:16], 0.5
	s_delay_alu instid0(VALU_DEP_1) | instskip(SKIP_1) | instid1(VALU_DEP_2)
	v_fma_f64 v[15:16], v[15:16], v[32:33], v[15:16]
	v_fma_f64 v[13:14], v[13:14], v[32:33], v[13:14]
	v_fma_f64 v[32:33], -v[15:16], v[15:16], v[11:12]
	s_delay_alu instid0(VALU_DEP_1) | instskip(NEXT) | instid1(VALU_DEP_1)
	v_fma_f64 v[15:16], v[32:33], v[13:14], v[15:16]
	v_fma_f64 v[32:33], -v[15:16], v[15:16], v[11:12]
	s_delay_alu instid0(VALU_DEP_1) | instskip(SKIP_2) | instid1(VALU_DEP_2)
	v_fma_f64 v[13:14], v[32:33], v[13:14], v[15:16]
	v_cndmask_b32_e64 v15, 0, 0xffffff80, vcc_lo
	v_cmp_class_f64_e64 vcc_lo, v[11:12], 0x260
	v_ldexp_f64 v[13:14], v[13:14], v15
	s_delay_alu instid0(VALU_DEP_1) | instskip(NEXT) | instid1(VALU_DEP_1)
	v_dual_cndmask_b32 v12, v14, v12 :: v_dual_cndmask_b32 v11, v13, v11
	v_mul_f64 v[13:14], v[9:10], v[11:12]
	s_or_b32 exec_lo, exec_lo, s13
	s_delay_alu instid0(VALU_DEP_1) | instskip(NEXT) | instid1(VALU_DEP_1)
	v_cmp_class_f64_e64 s75, v[13:14], 0x1f8
	s_and_saveexec_b32 s13, s75
	s_cbranch_execnz .LBB49_56
	s_branch .LBB49_57
.LBB49_117:                             ;   in Loop: Header=BB49_3 Depth=1
	s_or_b32 exec_lo, exec_lo, s69
	s_delay_alu instid0(SALU_CYCLE_1) | instskip(NEXT) | instid1(SALU_CYCLE_1)
	s_or_b32 exec_lo, exec_lo, s68
	s_and_not1_b32 vcc_lo, exec_lo, s58
	s_cbranch_vccnz .LBB49_5
.LBB49_118:                             ;   in Loop: Header=BB49_3 Depth=1
	ds_store_b64 v38, v[3:4]
	s_waitcnt lgkmcnt(0)
	s_waitcnt_vscnt null, 0x0
	s_barrier
	buffer_gl0_inv
	s_and_saveexec_b32 s13, s0
	s_cbranch_execz .LBB49_120
; %bb.119:                              ;   in Loop: Header=BB49_3 Depth=1
	ds_load_2addr_stride64_b64 v[3:6], v38 offset1:8
	s_waitcnt lgkmcnt(0)
	v_cmp_lt_f64_e32 vcc_lo, v[3:4], v[5:6]
	v_dual_cndmask_b32 v4, v4, v6 :: v_dual_cndmask_b32 v3, v3, v5
	ds_store_b64 v38, v[3:4]
.LBB49_120:                             ;   in Loop: Header=BB49_3 Depth=1
	s_or_b32 exec_lo, exec_lo, s13
	s_waitcnt lgkmcnt(0)
	s_barrier
	buffer_gl0_inv
	s_and_saveexec_b32 s13, s1
	s_cbranch_execz .LBB49_122
; %bb.121:                              ;   in Loop: Header=BB49_3 Depth=1
	ds_load_2addr_stride64_b64 v[3:6], v38 offset1:4
	s_waitcnt lgkmcnt(0)
	v_cmp_lt_f64_e32 vcc_lo, v[3:4], v[5:6]
	v_dual_cndmask_b32 v4, v4, v6 :: v_dual_cndmask_b32 v3, v3, v5
	ds_store_b64 v38, v[3:4]
.LBB49_122:                             ;   in Loop: Header=BB49_3 Depth=1
	s_or_b32 exec_lo, exec_lo, s13
	s_waitcnt lgkmcnt(0)
	;; [unrolled: 13-line block ×4, first 2 shown]
	s_barrier
	buffer_gl0_inv
	s_and_saveexec_b32 s13, s4
	s_cbranch_execz .LBB49_128
; %bb.127:                              ;   in Loop: Header=BB49_3 Depth=1
	ds_load_2addr_b64 v[3:6], v38 offset1:32
	s_waitcnt lgkmcnt(0)
	v_cmp_lt_f64_e32 vcc_lo, v[3:4], v[5:6]
	v_dual_cndmask_b32 v4, v4, v6 :: v_dual_cndmask_b32 v3, v3, v5
	ds_store_b64 v38, v[3:4]
.LBB49_128:                             ;   in Loop: Header=BB49_3 Depth=1
	s_or_b32 exec_lo, exec_lo, s13
	s_waitcnt lgkmcnt(0)
	s_barrier
	buffer_gl0_inv
	s_and_saveexec_b32 s13, s5
	s_cbranch_execz .LBB49_130
; %bb.129:                              ;   in Loop: Header=BB49_3 Depth=1
	ds_load_2addr_b64 v[3:6], v38 offset1:16
	s_waitcnt lgkmcnt(0)
	v_cmp_lt_f64_e32 vcc_lo, v[3:4], v[5:6]
	v_dual_cndmask_b32 v4, v4, v6 :: v_dual_cndmask_b32 v3, v3, v5
	ds_store_b64 v38, v[3:4]
.LBB49_130:                             ;   in Loop: Header=BB49_3 Depth=1
	s_or_b32 exec_lo, exec_lo, s13
	s_waitcnt lgkmcnt(0)
	;; [unrolled: 13-line block ×5, first 2 shown]
	s_barrier
	buffer_gl0_inv
	s_and_saveexec_b32 s13, s9
	s_cbranch_execz .LBB49_138
; %bb.137:                              ;   in Loop: Header=BB49_3 Depth=1
	ds_load_b128 v[3:6], v20
	s_waitcnt lgkmcnt(0)
	v_cmp_lt_f64_e32 vcc_lo, v[3:4], v[5:6]
	v_dual_cndmask_b32 v4, v4, v6 :: v_dual_cndmask_b32 v3, v3, v5
	ds_store_b64 v20, v[3:4]
.LBB49_138:                             ;   in Loop: Header=BB49_3 Depth=1
	s_or_b32 exec_lo, exec_lo, s13
	s_waitcnt lgkmcnt(0)
	s_barrier
	buffer_gl0_inv
	ds_load_b64 v[3:4], v20
	s_load_b64 s[68:69], s[54:55], 0x0
	s_waitcnt lgkmcnt(0)
	v_div_scale_f64 v[5:6], null, s[68:69], s[68:69], v[3:4]
	s_delay_alu instid0(VALU_DEP_1) | instskip(SKIP_2) | instid1(VALU_DEP_1)
	v_rcp_f64_e32 v[7:8], v[5:6]
	s_waitcnt_depctr 0xfff
	v_fma_f64 v[9:10], -v[5:6], v[7:8], 1.0
	v_fma_f64 v[7:8], v[7:8], v[9:10], v[7:8]
	s_delay_alu instid0(VALU_DEP_1) | instskip(NEXT) | instid1(VALU_DEP_1)
	v_fma_f64 v[9:10], -v[5:6], v[7:8], 1.0
	v_fma_f64 v[7:8], v[7:8], v[9:10], v[7:8]
	v_div_scale_f64 v[9:10], vcc_lo, v[3:4], s[68:69], v[3:4]
	s_delay_alu instid0(VALU_DEP_1) | instskip(NEXT) | instid1(VALU_DEP_1)
	v_mul_f64 v[11:12], v[9:10], v[7:8]
	v_fma_f64 v[5:6], -v[5:6], v[11:12], v[9:10]
	s_delay_alu instid0(VALU_DEP_1) | instskip(NEXT) | instid1(VALU_DEP_1)
	v_div_fmas_f64 v[5:6], v[5:6], v[7:8], v[11:12]
	v_div_fixup_f64 v[3:4], v[5:6], s[68:69], v[3:4]
	s_and_not1_b32 vcc_lo, exec_lo, s33
	s_cbranch_vccnz .LBB49_6
.LBB49_139:                             ;   in Loop: Header=BB49_3 Depth=1
	ds_store_b64 v38, v[1:2]
	s_waitcnt lgkmcnt(0)
	s_waitcnt_vscnt null, 0x0
	s_barrier
	buffer_gl0_inv
	s_and_saveexec_b32 s13, s0
	s_cbranch_execz .LBB49_141
; %bb.140:                              ;   in Loop: Header=BB49_3 Depth=1
	ds_load_2addr_stride64_b64 v[5:8], v38 offset1:8
	s_waitcnt lgkmcnt(0)
	v_cmp_lt_f64_e32 vcc_lo, v[5:6], v[7:8]
	v_dual_cndmask_b32 v2, v6, v8 :: v_dual_cndmask_b32 v1, v5, v7
	ds_store_b64 v38, v[1:2]
.LBB49_141:                             ;   in Loop: Header=BB49_3 Depth=1
	s_or_b32 exec_lo, exec_lo, s13
	s_waitcnt lgkmcnt(0)
	s_barrier
	buffer_gl0_inv
	s_and_saveexec_b32 s13, s1
	s_cbranch_execz .LBB49_143
; %bb.142:                              ;   in Loop: Header=BB49_3 Depth=1
	ds_load_2addr_stride64_b64 v[5:8], v38 offset1:4
	s_waitcnt lgkmcnt(0)
	v_cmp_lt_f64_e32 vcc_lo, v[5:6], v[7:8]
	v_dual_cndmask_b32 v2, v6, v8 :: v_dual_cndmask_b32 v1, v5, v7
	ds_store_b64 v38, v[1:2]
.LBB49_143:                             ;   in Loop: Header=BB49_3 Depth=1
	s_or_b32 exec_lo, exec_lo, s13
	s_waitcnt lgkmcnt(0)
	;; [unrolled: 13-line block ×4, first 2 shown]
	s_barrier
	buffer_gl0_inv
	s_and_saveexec_b32 s13, s4
	s_cbranch_execz .LBB49_149
; %bb.148:                              ;   in Loop: Header=BB49_3 Depth=1
	ds_load_2addr_b64 v[5:8], v38 offset1:32
	s_waitcnt lgkmcnt(0)
	v_cmp_lt_f64_e32 vcc_lo, v[5:6], v[7:8]
	v_dual_cndmask_b32 v2, v6, v8 :: v_dual_cndmask_b32 v1, v5, v7
	ds_store_b64 v38, v[1:2]
.LBB49_149:                             ;   in Loop: Header=BB49_3 Depth=1
	s_or_b32 exec_lo, exec_lo, s13
	s_waitcnt lgkmcnt(0)
	s_barrier
	buffer_gl0_inv
	s_and_saveexec_b32 s13, s5
	s_cbranch_execz .LBB49_151
; %bb.150:                              ;   in Loop: Header=BB49_3 Depth=1
	ds_load_2addr_b64 v[5:8], v38 offset1:16
	s_waitcnt lgkmcnt(0)
	v_cmp_lt_f64_e32 vcc_lo, v[5:6], v[7:8]
	v_dual_cndmask_b32 v2, v6, v8 :: v_dual_cndmask_b32 v1, v5, v7
	ds_store_b64 v38, v[1:2]
.LBB49_151:                             ;   in Loop: Header=BB49_3 Depth=1
	s_or_b32 exec_lo, exec_lo, s13
	s_waitcnt lgkmcnt(0)
	;; [unrolled: 13-line block ×5, first 2 shown]
	s_barrier
	buffer_gl0_inv
	s_and_saveexec_b32 s13, s9
	s_cbranch_execz .LBB49_159
; %bb.158:                              ;   in Loop: Header=BB49_3 Depth=1
	ds_load_b128 v[5:8], v20
	s_waitcnt lgkmcnt(0)
	v_cmp_lt_f64_e32 vcc_lo, v[5:6], v[7:8]
	v_dual_cndmask_b32 v2, v6, v8 :: v_dual_cndmask_b32 v1, v5, v7
	ds_store_b64 v20, v[1:2]
.LBB49_159:                             ;   in Loop: Header=BB49_3 Depth=1
	s_or_b32 exec_lo, exec_lo, s13
	s_waitcnt lgkmcnt(0)
	s_barrier
	buffer_gl0_inv
	ds_load_b64 v[1:2], v20
	s_load_b64 s[68:69], s[54:55], 0x0
	s_waitcnt lgkmcnt(0)
	v_div_scale_f64 v[5:6], null, s[68:69], s[68:69], v[1:2]
	s_delay_alu instid0(VALU_DEP_1) | instskip(SKIP_2) | instid1(VALU_DEP_1)
	v_rcp_f64_e32 v[7:8], v[5:6]
	s_waitcnt_depctr 0xfff
	v_fma_f64 v[9:10], -v[5:6], v[7:8], 1.0
	v_fma_f64 v[7:8], v[7:8], v[9:10], v[7:8]
	s_delay_alu instid0(VALU_DEP_1) | instskip(NEXT) | instid1(VALU_DEP_1)
	v_fma_f64 v[9:10], -v[5:6], v[7:8], 1.0
	v_fma_f64 v[7:8], v[7:8], v[9:10], v[7:8]
	v_div_scale_f64 v[9:10], vcc_lo, v[1:2], s[68:69], v[1:2]
	s_delay_alu instid0(VALU_DEP_1) | instskip(NEXT) | instid1(VALU_DEP_1)
	v_mul_f64 v[11:12], v[9:10], v[7:8]
	v_fma_f64 v[5:6], -v[5:6], v[11:12], v[9:10]
	s_delay_alu instid0(VALU_DEP_1) | instskip(NEXT) | instid1(VALU_DEP_1)
	v_div_fmas_f64 v[5:6], v[5:6], v[7:8], v[11:12]
	v_div_fixup_f64 v[1:2], v[5:6], s[68:69], v[1:2]
	s_and_saveexec_b32 s14, s10
	s_cbranch_execz .LBB49_170
.LBB49_160:                             ;   in Loop: Header=BB49_3 Depth=1
	v_mov_b32_e32 v5, v17
	s_mov_b32 s68, 0
	s_branch .LBB49_163
.LBB49_161:                             ;   in Loop: Header=BB49_163 Depth=2
	s_or_b32 exec_lo, exec_lo, s70
	v_lshlrev_b64 v[10:11], 4, v[5:6]
	s_delay_alu instid0(VALU_DEP_1) | instskip(NEXT) | instid1(VALU_DEP_2)
	v_add_co_u32 v6, vcc_lo, s26, v10
	v_add_co_ci_u32_e32 v7, vcc_lo, s27, v11, vcc_lo
	v_add_co_u32 v10, vcc_lo, s24, v10
	v_add_co_ci_u32_e32 v11, vcc_lo, s25, v11, vcc_lo
	global_load_b128 v[6:9], v[6:7], off
	s_waitcnt vmcnt(0)
	global_store_b128 v[10:11], v[6:9], off
.LBB49_162:                             ;   in Loop: Header=BB49_163 Depth=2
	s_or_b32 exec_lo, exec_lo, s69
	v_add_nc_u32_e32 v5, 0x400, v5
	s_delay_alu instid0(VALU_DEP_1) | instskip(SKIP_1) | instid1(SALU_CYCLE_1)
	v_cmp_le_u32_e32 vcc_lo, s64, v5
	s_or_b32 s68, vcc_lo, s68
	s_and_not1_b32 exec_lo, exec_lo, s68
	s_cbranch_execz .LBB49_170
.LBB49_163:                             ;   Parent Loop BB49_3 Depth=1
                                        ; =>  This Loop Header: Depth=2
                                        ;       Child Loop BB49_166 Depth 3
                                        ;       Child Loop BB49_169 Depth 3
	s_mov_b32 s69, exec_lo
	s_delay_alu instid0(VALU_DEP_1)
	v_cmpx_gt_i32_e64 s60, v5
	s_cbranch_execz .LBB49_162
; %bb.164:                              ;   in Loop: Header=BB49_163 Depth=2
	v_ashrrev_i32_e32 v6, 31, v5
	s_mov_b32 s70, exec_lo
	s_delay_alu instid0(VALU_DEP_1) | instskip(NEXT) | instid1(VALU_DEP_1)
	v_lshlrev_b64 v[7:8], 2, v[5:6]
	v_add_co_u32 v9, vcc_lo, s16, v7
	s_delay_alu instid0(VALU_DEP_2)
	v_add_co_ci_u32_e32 v10, vcc_lo, s17, v8, vcc_lo
	v_add_co_u32 v11, vcc_lo, s18, v7
	v_add_co_ci_u32_e32 v12, vcc_lo, s19, v8, vcc_lo
	global_load_b32 v9, v[9:10], off
	global_load_b32 v11, v[11:12], off
	s_waitcnt vmcnt(0)
	v_cmpx_lt_i32_e64 v9, v11
	s_cbranch_execz .LBB49_167
; %bb.165:                              ;   in Loop: Header=BB49_163 Depth=2
	v_subrev_nc_u32_e32 v9, s61, v9
	v_subrev_nc_u32_e32 v14, s61, v11
	s_mov_b32 s71, 0
	s_delay_alu instid0(VALU_DEP_2) | instskip(NEXT) | instid1(VALU_DEP_1)
	v_ashrrev_i32_e32 v10, 31, v9
	v_lshlrev_b64 v[12:13], 4, v[9:10]
	s_delay_alu instid0(VALU_DEP_1) | instskip(NEXT) | instid1(VALU_DEP_2)
	v_add_co_u32 v10, vcc_lo, s22, v12
	v_add_co_ci_u32_e32 v11, vcc_lo, s23, v13, vcc_lo
	v_add_co_u32 v12, vcc_lo, s52, v12
	v_add_co_ci_u32_e32 v13, vcc_lo, s53, v13, vcc_lo
.LBB49_166:                             ;   Parent Loop BB49_3 Depth=1
                                        ;     Parent Loop BB49_163 Depth=2
                                        ; =>    This Inner Loop Header: Depth=3
	global_load_b128 v[21:24], v[12:13], off
	v_add_nc_u32_e32 v9, 1, v9
	v_add_co_u32 v12, vcc_lo, v12, 16
	v_add_co_ci_u32_e32 v13, vcc_lo, 0, v13, vcc_lo
	s_delay_alu instid0(VALU_DEP_3) | instskip(SKIP_4) | instid1(VALU_DEP_1)
	v_cmp_ge_i32_e32 vcc_lo, v9, v14
	s_or_b32 s71, vcc_lo, s71
	s_waitcnt vmcnt(0)
	global_store_b128 v[10:11], v[21:24], off
	v_add_co_u32 v10, s13, v10, 16
	v_add_co_ci_u32_e64 v11, s13, 0, v11, s13
	s_and_not1_b32 exec_lo, exec_lo, s71
	s_cbranch_execnz .LBB49_166
.LBB49_167:                             ;   in Loop: Header=BB49_163 Depth=2
	s_or_b32 exec_lo, exec_lo, s70
	v_add_co_u32 v9, vcc_lo, s36, v7
	v_add_co_ci_u32_e32 v10, vcc_lo, s37, v8, vcc_lo
	v_add_co_u32 v11, vcc_lo, s38, v7
	v_add_co_ci_u32_e32 v12, vcc_lo, s39, v8, vcc_lo
	s_mov_b32 s70, exec_lo
	global_load_b32 v7, v[9:10], off
	global_load_b32 v9, v[11:12], off
	s_waitcnt vmcnt(0)
	v_cmpx_lt_i32_e64 v7, v9
	s_cbranch_execz .LBB49_161
; %bb.168:                              ;   in Loop: Header=BB49_163 Depth=2
	v_subrev_nc_u32_e32 v7, s63, v7
	v_subrev_nc_u32_e32 v12, s63, v9
	s_mov_b32 s71, 0
	s_delay_alu instid0(VALU_DEP_2) | instskip(NEXT) | instid1(VALU_DEP_1)
	v_ashrrev_i32_e32 v8, 31, v7
	v_lshlrev_b64 v[10:11], 4, v[7:8]
	s_delay_alu instid0(VALU_DEP_1) | instskip(NEXT) | instid1(VALU_DEP_2)
	v_add_co_u32 v8, vcc_lo, s42, v10
	v_add_co_ci_u32_e32 v9, vcc_lo, s43, v11, vcc_lo
	v_add_co_u32 v10, vcc_lo, s56, v10
	v_add_co_ci_u32_e32 v11, vcc_lo, s57, v11, vcc_lo
	.p2align	6
.LBB49_169:                             ;   Parent Loop BB49_3 Depth=1
                                        ;     Parent Loop BB49_163 Depth=2
                                        ; =>    This Inner Loop Header: Depth=3
	global_load_b128 v[13:16], v[10:11], off
	v_add_nc_u32_e32 v7, 1, v7
	v_add_co_u32 v10, vcc_lo, v10, 16
	v_add_co_ci_u32_e32 v11, vcc_lo, 0, v11, vcc_lo
	s_delay_alu instid0(VALU_DEP_3) | instskip(SKIP_4) | instid1(VALU_DEP_1)
	v_cmp_ge_i32_e32 vcc_lo, v7, v12
	s_or_b32 s71, vcc_lo, s71
	s_waitcnt vmcnt(0)
	global_store_b128 v[8:9], v[13:16], off
	v_add_co_u32 v8, s13, v8, 16
	v_add_co_ci_u32_e64 v9, s13, 0, v9, s13
	s_and_not1_b32 exec_lo, exec_lo, s71
	s_cbranch_execnz .LBB49_169
	s_branch .LBB49_161
.LBB49_170:                             ;   in Loop: Header=BB49_3 Depth=1
	s_or_b32 exec_lo, exec_lo, s14
	s_delay_alu instid0(SALU_CYCLE_1)
	s_and_b32 vcc_lo, exec_lo, s59
	s_mov_b32 s14, -1
	s_cbranch_vccz .LBB49_180
; %bb.171:                              ;   in Loop: Header=BB49_3 Depth=1
	s_and_b32 vcc_lo, exec_lo, s66
	s_mov_b32 s13, -1
                                        ; implicit-def: $sgpr68
	s_cbranch_vccz .LBB49_177
; %bb.172:                              ;   in Loop: Header=BB49_3 Depth=1
	s_and_b32 vcc_lo, exec_lo, s65
                                        ; implicit-def: $sgpr68
	s_cbranch_vccz .LBB49_174
; %bb.173:                              ;   in Loop: Header=BB49_3 Depth=1
	s_delay_alu instid0(VALU_DEP_1)
	v_cmp_ge_f64_e32 vcc_lo, s[50:51], v[1:2]
	s_mov_b32 s13, 0
	s_and_b32 s68, vcc_lo, exec_lo
.LBB49_174:                             ;   in Loop: Header=BB49_3 Depth=1
	s_and_not1_b32 vcc_lo, exec_lo, s13
	s_cbranch_vccnz .LBB49_176
; %bb.175:                              ;   in Loop: Header=BB49_3 Depth=1
	s_delay_alu instid0(VALU_DEP_1) | instskip(SKIP_2) | instid1(SALU_CYCLE_1)
	v_cmp_ge_f64_e32 vcc_lo, s[50:51], v[3:4]
	s_and_not1_b32 s13, s68, exec_lo
	s_and_b32 s68, vcc_lo, exec_lo
	s_or_b32 s68, s13, s68
.LBB49_176:                             ;   in Loop: Header=BB49_3 Depth=1
	s_mov_b32 s13, 0
.LBB49_177:                             ;   in Loop: Header=BB49_3 Depth=1
	s_delay_alu instid0(SALU_CYCLE_1)
	s_and_not1_b32 vcc_lo, exec_lo, s13
	s_cbranch_vccnz .LBB49_179
; %bb.178:                              ;   in Loop: Header=BB49_3 Depth=1
	s_delay_alu instid0(VALU_DEP_1) | instskip(NEXT) | instid1(VALU_DEP_2)
	v_cmp_ge_f64_e32 vcc_lo, s[50:51], v[3:4]
	v_cmp_ge_f64_e64 s13, s[50:51], v[1:2]
	s_and_not1_b32 s68, s68, exec_lo
	s_delay_alu instid0(VALU_DEP_1) | instskip(NEXT) | instid1(SALU_CYCLE_1)
	s_and_b32 s13, vcc_lo, s13
	s_and_b32 s13, s13, exec_lo
	s_delay_alu instid0(SALU_CYCLE_1)
	s_or_b32 s68, s68, s13
.LBB49_179:                             ;   in Loop: Header=BB49_3 Depth=1
	s_delay_alu instid0(SALU_CYCLE_1)
	s_xor_b32 s13, s68, -1
	v_mov_b32_e32 v5, s67
	s_and_saveexec_b32 s68, s13
	s_cbranch_execz .LBB49_2
	s_branch .LBB49_181
.LBB49_180:                             ;   in Loop: Header=BB49_3 Depth=1
	s_mov_b32 s13, -1
	v_mov_b32_e32 v5, s67
	s_and_saveexec_b32 s68, s13
	s_cbranch_execz .LBB49_2
.LBB49_181:                             ;   in Loop: Header=BB49_3 Depth=1
	s_add_i32 s67, s67, 1
	v_mov_b32_e32 v5, s35
	s_cmp_eq_u32 s67, s35
	s_cselect_b32 s13, -1, 0
	s_delay_alu instid0(SALU_CYCLE_1)
	s_or_not1_b32 s14, s13, exec_lo
	s_branch .LBB49_2
.LBB49_182:
	s_or_b32 exec_lo, exec_lo, s15
.LBB49_183:
	s_delay_alu instid0(SALU_CYCLE_1) | instskip(NEXT) | instid1(SALU_CYCLE_1)
	s_or_b32 exec_lo, exec_lo, s34
	s_and_not1_b32 vcc_lo, exec_lo, s59
	s_cbranch_vccnz .LBB49_208
; %bb.184:
	v_lshlrev_b32_e32 v7, 2, v0
	s_mov_b32 s0, exec_lo
	s_delay_alu instid0(VALU_DEP_1)
	v_or_b32_e32 v6, 0x2000, v7
	ds_store_b32 v7, v5 offset:8192
	s_waitcnt lgkmcnt(0)
	s_waitcnt_vscnt null, 0x0
	s_barrier
	buffer_gl0_inv
	v_cmpx_gt_u32_e32 0x200, v0
	s_cbranch_execz .LBB49_186
; %bb.185:
	ds_load_2addr_stride64_b32 v[7:8], v6 offset1:8
	s_waitcnt lgkmcnt(0)
	v_max_i32_e32 v5, v7, v8
	ds_store_b32 v6, v5
.LBB49_186:
	s_or_b32 exec_lo, exec_lo, s0
	s_delay_alu instid0(SALU_CYCLE_1)
	s_mov_b32 s0, exec_lo
	s_waitcnt lgkmcnt(0)
	s_barrier
	buffer_gl0_inv
	v_cmpx_gt_u32_e32 0x100, v0
	s_cbranch_execz .LBB49_188
; %bb.187:
	ds_load_2addr_stride64_b32 v[7:8], v6 offset1:4
	s_waitcnt lgkmcnt(0)
	v_max_i32_e32 v5, v7, v8
	ds_store_b32 v6, v5
.LBB49_188:
	s_or_b32 exec_lo, exec_lo, s0
	s_delay_alu instid0(SALU_CYCLE_1)
	s_mov_b32 s0, exec_lo
	s_waitcnt lgkmcnt(0)
	;; [unrolled: 14-line block ×4, first 2 shown]
	s_barrier
	buffer_gl0_inv
	v_cmpx_gt_u32_e32 32, v0
	s_cbranch_execz .LBB49_194
; %bb.193:
	ds_load_2addr_b32 v[7:8], v6 offset1:32
	s_waitcnt lgkmcnt(0)
	v_max_i32_e32 v5, v7, v8
	ds_store_b32 v6, v5
.LBB49_194:
	s_or_b32 exec_lo, exec_lo, s0
	s_delay_alu instid0(SALU_CYCLE_1)
	s_mov_b32 s0, exec_lo
	s_waitcnt lgkmcnt(0)
	s_barrier
	buffer_gl0_inv
	v_cmpx_gt_u32_e32 16, v0
	s_cbranch_execz .LBB49_196
; %bb.195:
	ds_load_2addr_b32 v[7:8], v6 offset1:16
	s_waitcnt lgkmcnt(0)
	v_max_i32_e32 v5, v7, v8
	ds_store_b32 v6, v5
.LBB49_196:
	s_or_b32 exec_lo, exec_lo, s0
	s_delay_alu instid0(SALU_CYCLE_1)
	s_mov_b32 s0, exec_lo
	s_waitcnt lgkmcnt(0)
	s_barrier
	buffer_gl0_inv
	v_cmpx_gt_u32_e32 8, v0
	s_cbranch_execz .LBB49_198
; %bb.197:
	ds_load_2addr_b32 v[7:8], v6 offset1:8
	s_waitcnt lgkmcnt(0)
	v_max_i32_e32 v5, v7, v8
	ds_store_b32 v6, v5
.LBB49_198:
	s_or_b32 exec_lo, exec_lo, s0
	s_delay_alu instid0(SALU_CYCLE_1)
	s_mov_b32 s0, exec_lo
	s_waitcnt lgkmcnt(0)
	s_barrier
	buffer_gl0_inv
	v_cmpx_gt_u32_e32 4, v0
	s_cbranch_execz .LBB49_200
; %bb.199:
	ds_load_2addr_b32 v[7:8], v6 offset1:4
	s_waitcnt lgkmcnt(0)
	v_max_i32_e32 v5, v7, v8
	ds_store_b32 v6, v5
.LBB49_200:
	s_or_b32 exec_lo, exec_lo, s0
	s_delay_alu instid0(SALU_CYCLE_1)
	s_mov_b32 s0, exec_lo
	s_waitcnt lgkmcnt(0)
	s_barrier
	buffer_gl0_inv
	v_cmpx_gt_u32_e32 2, v0
	s_cbranch_execz .LBB49_202
; %bb.201:
	ds_load_2addr_b32 v[7:8], v6 offset1:2
	s_waitcnt lgkmcnt(0)
	v_max_i32_e32 v5, v7, v8
	ds_store_b32 v6, v5
.LBB49_202:
	s_or_b32 exec_lo, exec_lo, s0
	v_cmp_eq_u32_e32 vcc_lo, 0, v0
	s_waitcnt lgkmcnt(0)
	s_barrier
	buffer_gl0_inv
	s_and_saveexec_b32 s0, vcc_lo
	s_cbranch_execz .LBB49_204
; %bb.203:
	v_mov_b32_e32 v7, 0
	ds_load_b64 v[5:6], v7 offset:8192
	s_waitcnt lgkmcnt(0)
	v_max_i32_e32 v5, v5, v6
	ds_store_b32 v7, v5 offset:8192
.LBB49_204:
	s_or_b32 exec_lo, exec_lo, s0
	s_waitcnt lgkmcnt(0)
	s_barrier
	buffer_gl0_inv
	s_and_saveexec_b32 s0, vcc_lo
	s_cbranch_execz .LBB49_207
; %bb.205:
	v_mbcnt_lo_u32_b32 v5, exec_lo, 0
	s_delay_alu instid0(VALU_DEP_1)
	v_cmp_eq_u32_e32 vcc_lo, 0, v5
	s_and_b32 exec_lo, exec_lo, vcc_lo
	s_cbranch_execz .LBB49_207
; %bb.206:
	v_mov_b32_e32 v5, 0
	ds_load_b32 v6, v5 offset:8192
	s_waitcnt lgkmcnt(0)
	v_add_nc_u32_e32 v6, 1, v6
	global_atomic_max_i32 v5, v6, s[48:49]
.LBB49_207:
	s_or_b32 exec_lo, exec_lo, s0
.LBB49_208:
	v_cmp_eq_u32_e32 vcc_lo, 0, v0
	s_mov_b32 s2, 0
	s_and_b32 s0, vcc_lo, s58
	s_delay_alu instid0(SALU_CYCLE_1)
	s_and_saveexec_b32 s4, s0
	s_cbranch_execz .LBB49_213
; %bb.209:
	v_mov_b32_e32 v0, 0
	s_delay_alu instid0(VALU_DEP_4)
	v_cmp_eq_f64_e64 s0, 0, v[3:4]
	s_brev_b32 s3, 1
                                        ; implicit-def: $sgpr5
	global_load_b64 v[5:6], v0, s[44:45] glc
	s_waitcnt vmcnt(0)
	v_cmp_eq_u64_e64 s6, s[2:3], v[5:6]
                                        ; implicit-def: $sgpr3
	s_set_inst_prefetch_distance 0x1
	s_branch .LBB49_211
	.p2align	6
.LBB49_210:                             ;   in Loop: Header=BB49_211 Depth=1
	s_or_b32 exec_lo, exec_lo, s7
	s_delay_alu instid0(SALU_CYCLE_1) | instskip(NEXT) | instid1(SALU_CYCLE_1)
	s_and_b32 s1, exec_lo, s3
	s_or_b32 s2, s1, s2
	s_and_not1_b32 s1, s6, exec_lo
	s_and_b32 s6, s5, exec_lo
	s_delay_alu instid0(SALU_CYCLE_1)
	s_or_b32 s6, s1, s6
	s_and_not1_b32 exec_lo, exec_lo, s2
	s_cbranch_execz .LBB49_213
.LBB49_211:                             ; =>This Inner Loop Header: Depth=1
	v_cmp_lt_f64_e64 s1, v[5:6], v[3:4]
	s_delay_alu instid0(VALU_DEP_2) | instskip(SKIP_2) | instid1(VALU_DEP_1)
	s_and_b32 s7, s0, s6
	s_and_not1_b32 s5, s5, exec_lo
	s_or_b32 s3, s3, exec_lo
	s_or_b32 s1, s1, s7
	s_delay_alu instid0(SALU_CYCLE_1)
	s_and_saveexec_b32 s7, s1
	s_cbranch_execz .LBB49_210
; %bb.212:                              ;   in Loop: Header=BB49_211 Depth=1
	global_atomic_cmpswap_b64 v[7:8], v0, v[3:6], s[44:45] glc
	s_and_not1_b32 s5, s5, exec_lo
	s_and_not1_b32 s3, s3, exec_lo
	s_waitcnt vmcnt(0)
	v_cmp_eq_u64_e64 s1, v[7:8], v[5:6]
	s_delay_alu instid0(VALU_DEP_1) | instskip(SKIP_2) | instid1(SALU_CYCLE_1)
	v_cndmask_b32_e64 v6, v8, v6, s1
	v_cndmask_b32_e64 v5, v7, v5, s1
	s_and_b32 s1, s1, exec_lo
	s_or_b32 s3, s3, s1
	s_delay_alu instid0(VALU_DEP_1) | instskip(SKIP_1) | instid1(VALU_DEP_2)
	v_cmp_class_f64_e64 s6, v[5:6], 32
	v_dual_mov_b32 v5, v7 :: v_dual_mov_b32 v6, v8
	s_and_b32 s6, s6, exec_lo
	s_delay_alu instid0(SALU_CYCLE_1)
	s_or_b32 s5, s5, s6
                                        ; implicit-def: $sgpr6
	s_branch .LBB49_210
.LBB49_213:
	s_set_inst_prefetch_distance 0x2
	s_or_b32 exec_lo, exec_lo, s4
	s_and_b32 s0, vcc_lo, s33
	s_delay_alu instid0(SALU_CYCLE_1)
	s_and_saveexec_b32 s1, s0
	s_cbranch_execz .LBB49_218
; %bb.214:
	v_mov_b32_e32 v0, 0
	s_delay_alu instid0(VALU_DEP_4)
	v_cmp_eq_f64_e32 vcc_lo, 0, v[1:2]
	s_brev_b32 s3, 1
	s_mov_b32 s2, 0
                                        ; implicit-def: $sgpr1
	global_load_b64 v[3:4], v0, s[46:47] glc
	s_waitcnt vmcnt(0)
	v_cmp_eq_u64_e64 s4, s[2:3], v[3:4]
                                        ; implicit-def: $sgpr3
	s_set_inst_prefetch_distance 0x1
	s_branch .LBB49_216
	.p2align	6
.LBB49_215:                             ;   in Loop: Header=BB49_216 Depth=1
	s_or_b32 exec_lo, exec_lo, s5
	s_delay_alu instid0(SALU_CYCLE_1) | instskip(NEXT) | instid1(SALU_CYCLE_1)
	s_and_b32 s0, exec_lo, s1
	s_or_b32 s2, s0, s2
	s_and_not1_b32 s0, s4, exec_lo
	s_and_b32 s4, s3, exec_lo
	s_delay_alu instid0(SALU_CYCLE_1)
	s_or_b32 s4, s0, s4
	s_and_not1_b32 exec_lo, exec_lo, s2
	s_cbranch_execz .LBB49_218
.LBB49_216:                             ; =>This Inner Loop Header: Depth=1
	v_cmp_lt_f64_e64 s0, v[3:4], v[1:2]
	s_delay_alu instid0(VALU_DEP_2) | instskip(SKIP_2) | instid1(VALU_DEP_1)
	s_and_b32 s5, vcc_lo, s4
	s_and_not1_b32 s3, s3, exec_lo
	s_or_b32 s1, s1, exec_lo
	s_or_b32 s0, s0, s5
	s_delay_alu instid0(SALU_CYCLE_1)
	s_and_saveexec_b32 s5, s0
	s_cbranch_execz .LBB49_215
; %bb.217:                              ;   in Loop: Header=BB49_216 Depth=1
	global_atomic_cmpswap_b64 v[5:6], v0, v[1:4], s[46:47] glc
	s_and_not1_b32 s3, s3, exec_lo
	s_and_not1_b32 s1, s1, exec_lo
	s_waitcnt vmcnt(0)
	v_cmp_eq_u64_e64 s0, v[5:6], v[3:4]
	s_delay_alu instid0(VALU_DEP_1) | instskip(SKIP_2) | instid1(SALU_CYCLE_1)
	v_cndmask_b32_e64 v4, v6, v4, s0
	v_cndmask_b32_e64 v3, v5, v3, s0
	s_and_b32 s0, s0, exec_lo
	s_or_b32 s1, s1, s0
	s_delay_alu instid0(VALU_DEP_1) | instskip(SKIP_1) | instid1(VALU_DEP_2)
	v_cmp_class_f64_e64 s4, v[3:4], 32
	v_dual_mov_b32 v3, v5 :: v_dual_mov_b32 v4, v6
	s_and_b32 s4, s4, exec_lo
	s_delay_alu instid0(SALU_CYCLE_1)
	s_or_b32 s3, s3, s4
                                        ; implicit-def: $sgpr4
	s_branch .LBB49_215
.LBB49_218:
	s_set_inst_prefetch_distance 0x2
	s_nop 0
	s_sendmsg sendmsg(MSG_DEALLOC_VGPRS)
	s_endpgm
	.section	.rodata,"a",@progbits
	.p2align	6, 0x0
	.amdhsa_kernel _ZN9rocsparseL6kernelILi1024ELi1E21rocsparse_complex_numIdEiiEEvbbbT3_PS3_NS_15floating_traitsIT1_E6data_tES3_T2_PKS9_SB_PKS3_PKS6_21rocsparse_index_base_SB_SB_SD_PS6_SH_SG_SB_SB_SD_SH_SH_SG_SH_SH_PS8_SI_PKS8_
		.amdhsa_group_segment_fixed_size 12288
		.amdhsa_private_segment_fixed_size 0
		.amdhsa_kernarg_size 208
		.amdhsa_user_sgpr_count 15
		.amdhsa_user_sgpr_dispatch_ptr 0
		.amdhsa_user_sgpr_queue_ptr 0
		.amdhsa_user_sgpr_kernarg_segment_ptr 1
		.amdhsa_user_sgpr_dispatch_id 0
		.amdhsa_user_sgpr_private_segment_size 0
		.amdhsa_wavefront_size32 1
		.amdhsa_uses_dynamic_stack 0
		.amdhsa_enable_private_segment 0
		.amdhsa_system_sgpr_workgroup_id_x 1
		.amdhsa_system_sgpr_workgroup_id_y 0
		.amdhsa_system_sgpr_workgroup_id_z 0
		.amdhsa_system_sgpr_workgroup_info 0
		.amdhsa_system_vgpr_workitem_id 0
		.amdhsa_next_free_vgpr 53
		.amdhsa_next_free_sgpr 79
		.amdhsa_reserve_vcc 1
		.amdhsa_float_round_mode_32 0
		.amdhsa_float_round_mode_16_64 0
		.amdhsa_float_denorm_mode_32 3
		.amdhsa_float_denorm_mode_16_64 3
		.amdhsa_dx10_clamp 1
		.amdhsa_ieee_mode 1
		.amdhsa_fp16_overflow 0
		.amdhsa_workgroup_processor_mode 1
		.amdhsa_memory_ordered 1
		.amdhsa_forward_progress 0
		.amdhsa_shared_vgpr_count 0
		.amdhsa_exception_fp_ieee_invalid_op 0
		.amdhsa_exception_fp_denorm_src 0
		.amdhsa_exception_fp_ieee_div_zero 0
		.amdhsa_exception_fp_ieee_overflow 0
		.amdhsa_exception_fp_ieee_underflow 0
		.amdhsa_exception_fp_ieee_inexact 0
		.amdhsa_exception_int_div_zero 0
	.end_amdhsa_kernel
	.section	.text._ZN9rocsparseL6kernelILi1024ELi1E21rocsparse_complex_numIdEiiEEvbbbT3_PS3_NS_15floating_traitsIT1_E6data_tES3_T2_PKS9_SB_PKS3_PKS6_21rocsparse_index_base_SB_SB_SD_PS6_SH_SG_SB_SB_SD_SH_SH_SG_SH_SH_PS8_SI_PKS8_,"axG",@progbits,_ZN9rocsparseL6kernelILi1024ELi1E21rocsparse_complex_numIdEiiEEvbbbT3_PS3_NS_15floating_traitsIT1_E6data_tES3_T2_PKS9_SB_PKS3_PKS6_21rocsparse_index_base_SB_SB_SD_PS6_SH_SG_SB_SB_SD_SH_SH_SG_SH_SH_PS8_SI_PKS8_,comdat
.Lfunc_end49:
	.size	_ZN9rocsparseL6kernelILi1024ELi1E21rocsparse_complex_numIdEiiEEvbbbT3_PS3_NS_15floating_traitsIT1_E6data_tES3_T2_PKS9_SB_PKS3_PKS6_21rocsparse_index_base_SB_SB_SD_PS6_SH_SG_SB_SB_SD_SH_SH_SG_SH_SH_PS8_SI_PKS8_, .Lfunc_end49-_ZN9rocsparseL6kernelILi1024ELi1E21rocsparse_complex_numIdEiiEEvbbbT3_PS3_NS_15floating_traitsIT1_E6data_tES3_T2_PKS9_SB_PKS3_PKS6_21rocsparse_index_base_SB_SB_SD_PS6_SH_SG_SB_SB_SD_SH_SH_SG_SH_SH_PS8_SI_PKS8_
                                        ; -- End function
	.section	.AMDGPU.csdata,"",@progbits
; Kernel info:
; codeLenInByte = 11336
; NumSgprs: 81
; NumVgprs: 53
; ScratchSize: 0
; MemoryBound: 1
; FloatMode: 240
; IeeeMode: 1
; LDSByteSize: 12288 bytes/workgroup (compile time only)
; SGPRBlocks: 10
; VGPRBlocks: 6
; NumSGPRsForWavesPerEU: 81
; NumVGPRsForWavesPerEU: 53
; Occupancy: 16
; WaveLimiterHint : 1
; COMPUTE_PGM_RSRC2:SCRATCH_EN: 0
; COMPUTE_PGM_RSRC2:USER_SGPR: 15
; COMPUTE_PGM_RSRC2:TRAP_HANDLER: 0
; COMPUTE_PGM_RSRC2:TGID_X_EN: 1
; COMPUTE_PGM_RSRC2:TGID_Y_EN: 0
; COMPUTE_PGM_RSRC2:TGID_Z_EN: 0
; COMPUTE_PGM_RSRC2:TIDIG_COMP_CNT: 0
	.section	.text._ZN9rocsparseL6kernelILi1024ELi2E21rocsparse_complex_numIdEiiEEvbbbT3_PS3_NS_15floating_traitsIT1_E6data_tES3_T2_PKS9_SB_PKS3_PKS6_21rocsparse_index_base_SB_SB_SD_PS6_SH_SG_SB_SB_SD_SH_SH_SG_SH_SH_PS8_SI_PKS8_,"axG",@progbits,_ZN9rocsparseL6kernelILi1024ELi2E21rocsparse_complex_numIdEiiEEvbbbT3_PS3_NS_15floating_traitsIT1_E6data_tES3_T2_PKS9_SB_PKS3_PKS6_21rocsparse_index_base_SB_SB_SD_PS6_SH_SG_SB_SB_SD_SH_SH_SG_SH_SH_PS8_SI_PKS8_,comdat
	.globl	_ZN9rocsparseL6kernelILi1024ELi2E21rocsparse_complex_numIdEiiEEvbbbT3_PS3_NS_15floating_traitsIT1_E6data_tES3_T2_PKS9_SB_PKS3_PKS6_21rocsparse_index_base_SB_SB_SD_PS6_SH_SG_SB_SB_SD_SH_SH_SG_SH_SH_PS8_SI_PKS8_ ; -- Begin function _ZN9rocsparseL6kernelILi1024ELi2E21rocsparse_complex_numIdEiiEEvbbbT3_PS3_NS_15floating_traitsIT1_E6data_tES3_T2_PKS9_SB_PKS3_PKS6_21rocsparse_index_base_SB_SB_SD_PS6_SH_SG_SB_SB_SD_SH_SH_SG_SH_SH_PS8_SI_PKS8_
	.p2align	8
	.type	_ZN9rocsparseL6kernelILi1024ELi2E21rocsparse_complex_numIdEiiEEvbbbT3_PS3_NS_15floating_traitsIT1_E6data_tES3_T2_PKS9_SB_PKS3_PKS6_21rocsparse_index_base_SB_SB_SD_PS6_SH_SG_SB_SB_SD_SH_SH_SG_SH_SH_PS8_SI_PKS8_,@function
_ZN9rocsparseL6kernelILi1024ELi2E21rocsparse_complex_numIdEiiEEvbbbT3_PS3_NS_15floating_traitsIT1_E6data_tES3_T2_PKS9_SB_PKS3_PKS6_21rocsparse_index_base_SB_SB_SD_PS6_SH_SG_SB_SB_SD_SH_SH_SG_SH_SH_PS8_SI_PKS8_: ; @_ZN9rocsparseL6kernelILi1024ELi2E21rocsparse_complex_numIdEiiEEvbbbT3_PS3_NS_15floating_traitsIT1_E6data_tES3_T2_PKS9_SB_PKS3_PKS6_21rocsparse_index_base_SB_SB_SD_PS6_SH_SG_SB_SB_SD_SH_SH_SG_SH_SH_PS8_SI_PKS8_
; %bb.0:
	s_clause 0x4
	s_load_b32 s2, s[0:1], 0x0
	s_load_b64 s[34:35], s[0:1], 0x0
	s_load_b32 s63, s[0:1], 0x18
	s_load_b128 s[48:51], s[0:1], 0x8
	s_load_b128 s[44:47], s[0:1], 0xb8
	v_lshrrev_b32_e32 v38, 1, v0
	v_dual_mov_b32 v5, 0 :: v_dual_lshlrev_b32 v40, 3, v0
	v_mov_b32_e32 v3, 0
	v_dual_mov_b32 v4, 0 :: v_dual_and_b32 v39, 1, v0
	s_delay_alu instid0(VALU_DEP_3) | instskip(SKIP_1) | instid1(VALU_DEP_3)
	v_mov_b32_e32 v6, v5
	v_mbcnt_lo_u32_b32 v41, -1, 0
	v_dual_mov_b32 v1, v3 :: v_dual_mov_b32 v2, v4
	ds_store_b64 v40, v[5:6]
	s_waitcnt lgkmcnt(0)
	s_barrier
	buffer_gl0_inv
	s_bitcmp1_b32 s2, 0
	s_cselect_b32 s64, -1, 0
	s_bitcmp1_b32 s2, 8
	s_cselect_b32 s62, -1, 0
	;; [unrolled: 2-line block ×3, first 2 shown]
	s_lshl_b32 s68, s15, 10
	s_cmp_gt_i32 s35, 0
	v_or_b32_e32 v42, s68, v38
	s_cselect_b32 s2, -1, 0
	s_mov_b32 s15, 0
	s_delay_alu instid0(VALU_DEP_1) | instskip(SKIP_1) | instid1(SALU_CYCLE_1)
	v_cmp_gt_i32_e32 vcc_lo, s63, v42
	s_and_b32 s2, s2, vcc_lo
	s_and_saveexec_b32 s34, s2
	s_cbranch_execz .LBB50_188
; %bb.1:
	s_clause 0x9
	s_load_b32 s65, s[0:1], 0x40
	s_load_b64 s[56:57], s[0:1], 0xc8
	s_load_b128 s[52:55], s[0:1], 0xa8
	s_load_b256 s[16:23], s[0:1], 0x78
	s_load_b64 s[58:59], s[0:1], 0x68
	s_load_b32 s66, s[0:1], 0x70
	s_load_b64 s[60:61], s[0:1], 0x98
	s_load_b32 s67, s[0:1], 0xa0
	s_load_b256 s[24:31], s[0:1], 0x48
	s_load_b256 s[36:43], s[0:1], 0x20
	v_dual_mov_b32 v1, 0 :: v_dual_mov_b32 v18, 0
	v_dual_mov_b32 v2, 0 :: v_dual_lshlrev_b32 v43, 3, v38
	s_addk_i32 s68, 0x400
	v_cmp_eq_u32_e64 s0, 0, v39
	v_cmp_ne_u32_e64 s1, 0, v39
	v_cmp_gt_u32_e64 s2, 0x100, v0
	v_cmp_gt_u32_e64 s3, 0x80, v0
	;; [unrolled: 1-line block ×6, first 2 shown]
	s_waitcnt lgkmcnt(0)
	v_subrev_nc_u32_e32 v44, s65, v39
	v_cmp_gt_u32_e64 s8, 8, v0
	v_cmp_gt_u32_e64 s9, 4, v0
	v_cmp_gt_u32_e64 s10, 2, v0
	v_cmp_eq_u32_e64 s11, 0, v0
	v_subrev_nc_u32_e32 v45, s66, v39
	v_subrev_nc_u32_e32 v46, s67, v39
	v_dual_mov_b32 v4, v2 :: v_dual_mov_b32 v3, v1
	s_and_b32 s12, s62, s33
	s_xor_b32 s69, s62, -1
	s_xor_b32 s70, s12, -1
	s_mov_b32 s71, 0
	s_branch .LBB50_3
.LBB50_2:                               ;   in Loop: Header=BB50_3 Depth=1
	s_or_b32 exec_lo, exec_lo, s14
	s_delay_alu instid0(SALU_CYCLE_1) | instskip(NEXT) | instid1(SALU_CYCLE_1)
	s_and_b32 s12, exec_lo, s13
	s_or_b32 s15, s12, s15
	s_delay_alu instid0(SALU_CYCLE_1)
	s_and_not1_b32 exec_lo, exec_lo, s15
	s_cbranch_execz .LBB50_187
.LBB50_3:                               ; =>This Loop Header: Depth=1
                                        ;     Child Loop BB50_7 Depth 2
                                        ;       Child Loop BB50_12 Depth 3
                                        ;         Child Loop BB50_16 Depth 4
                                        ;         Child Loop BB50_51 Depth 4
	;; [unrolled: 1-line block ×5, first 2 shown]
                                        ;     Child Loop BB50_166 Depth 2
                                        ;       Child Loop BB50_169 Depth 3
                                        ;       Child Loop BB50_172 Depth 3
	s_delay_alu instid0(VALU_DEP_2) | instskip(NEXT) | instid1(VALU_DEP_3)
	v_cndmask_b32_e64 v4, v4, 0, s62
	v_cndmask_b32_e64 v3, v3, 0, s62
	s_delay_alu instid0(VALU_DEP_4)
	v_cndmask_b32_e64 v2, v2, 0, s33
	v_cndmask_b32_e64 v1, v1, 0, s33
	s_mov_b32 s12, 0
	s_mov_b32 s72, -1
	s_branch .LBB50_7
.LBB50_4:                               ;   in Loop: Header=BB50_7 Depth=2
	s_or_b32 exec_lo, exec_lo, s75
.LBB50_5:                               ;   in Loop: Header=BB50_7 Depth=2
	s_delay_alu instid0(SALU_CYCLE_1)
	s_or_b32 exec_lo, exec_lo, s74
.LBB50_6:                               ;   in Loop: Header=BB50_7 Depth=2
	s_delay_alu instid0(SALU_CYCLE_1)
	s_or_b32 exec_lo, exec_lo, s73
	s_xor_b32 s13, s72, -1
	s_movk_i32 s12, 0x200
	s_and_b32 vcc_lo, exec_lo, s13
	s_mov_b32 s72, 0
	s_cbranch_vccnz .LBB50_119
.LBB50_7:                               ;   Parent Loop BB50_3 Depth=1
                                        ; =>  This Loop Header: Depth=2
                                        ;       Child Loop BB50_12 Depth 3
                                        ;         Child Loop BB50_16 Depth 4
                                        ;         Child Loop BB50_51 Depth 4
	;; [unrolled: 1-line block ×5, first 2 shown]
	v_or_b32_e32 v19, s12, v42
	s_mov_b32 s73, exec_lo
	s_delay_alu instid0(VALU_DEP_1)
	v_cmpx_gt_i32_e64 s63, v19
	s_cbranch_execz .LBB50_6
; %bb.8:                                ;   in Loop: Header=BB50_7 Depth=2
	v_ashrrev_i32_e32 v20, 31, v19
	s_mov_b32 s74, exec_lo
	s_delay_alu instid0(VALU_DEP_1) | instskip(NEXT) | instid1(VALU_DEP_1)
	v_lshlrev_b64 v[5:6], 2, v[19:20]
	v_add_co_u32 v7, vcc_lo, s36, v5
	s_delay_alu instid0(VALU_DEP_2)
	v_add_co_ci_u32_e32 v8, vcc_lo, s37, v6, vcc_lo
	v_add_co_u32 v9, vcc_lo, s38, v5
	v_add_co_ci_u32_e32 v10, vcc_lo, s39, v6, vcc_lo
	global_load_b32 v7, v[7:8], off
	global_load_b32 v8, v[9:10], off
	s_waitcnt vmcnt(1)
	v_add_nc_u32_e32 v20, v44, v7
	s_waitcnt vmcnt(0)
	v_subrev_nc_u32_e32 v47, s65, v8
	s_delay_alu instid0(VALU_DEP_1)
	v_cmpx_lt_i32_e64 v20, v47
	s_cbranch_execz .LBB50_5
; %bb.9:                                ;   in Loop: Header=BB50_7 Depth=2
	v_add_co_u32 v7, vcc_lo, s24, v5
	v_add_co_ci_u32_e32 v8, vcc_lo, s25, v6, vcc_lo
	v_add_co_u32 v5, vcc_lo, s26, v5
	v_add_co_ci_u32_e32 v6, vcc_lo, s27, v6, vcc_lo
	global_load_b32 v7, v[7:8], off
	s_mov_b32 s75, 0
	global_load_b32 v8, v[5:6], off
	s_waitcnt vmcnt(1)
	v_subrev_nc_u32_e32 v22, s66, v7
	s_waitcnt vmcnt(0)
	v_sub_nc_u32_e32 v48, v8, v7
	s_delay_alu instid0(VALU_DEP_2) | instskip(NEXT) | instid1(VALU_DEP_2)
	v_ashrrev_i32_e32 v23, 31, v22
	v_cmp_lt_i32_e64 s12, 0, v48
	s_delay_alu instid0(VALU_DEP_2) | instskip(SKIP_1) | instid1(VALU_DEP_2)
	v_lshlrev_b64 v[5:6], 2, v[22:23]
	v_lshlrev_b64 v[7:8], 4, v[22:23]
	v_add_co_u32 v49, vcc_lo, s28, v5
	s_delay_alu instid0(VALU_DEP_3) | instskip(NEXT) | instid1(VALU_DEP_3)
	v_add_co_ci_u32_e32 v50, vcc_lo, s29, v6, vcc_lo
	v_add_co_u32 v51, vcc_lo, s30, v7
	s_delay_alu instid0(VALU_DEP_4)
	v_add_co_ci_u32_e32 v52, vcc_lo, s31, v8, vcc_lo
	s_branch .LBB50_12
.LBB50_10:                              ;   in Loop: Header=BB50_12 Depth=3
	s_or_b32 exec_lo, exec_lo, s13
.LBB50_11:                              ;   in Loop: Header=BB50_12 Depth=3
	s_delay_alu instid0(SALU_CYCLE_1) | instskip(SKIP_1) | instid1(VALU_DEP_1)
	s_or_b32 exec_lo, exec_lo, s14
	v_add_nc_u32_e32 v20, 2, v20
	v_cmp_ge_i32_e32 vcc_lo, v20, v47
	s_or_b32 s75, vcc_lo, s75
	s_delay_alu instid0(SALU_CYCLE_1)
	s_and_not1_b32 exec_lo, exec_lo, s75
	s_cbranch_execz .LBB50_4
.LBB50_12:                              ;   Parent Loop BB50_3 Depth=1
                                        ;     Parent Loop BB50_7 Depth=2
                                        ; =>    This Loop Header: Depth=3
                                        ;         Child Loop BB50_16 Depth 4
                                        ;         Child Loop BB50_51 Depth 4
	;; [unrolled: 1-line block ×5, first 2 shown]
	v_ashrrev_i32_e32 v21, 31, v20
	v_mov_b32_e32 v25, 0
	v_dual_mov_b32 v26, 0 :: v_dual_mov_b32 v17, 0
	v_mov_b32_e32 v31, 0
	s_delay_alu instid0(VALU_DEP_4) | instskip(NEXT) | instid1(VALU_DEP_3)
	v_lshlrev_b64 v[5:6], 2, v[20:21]
	v_dual_mov_b32 v28, v26 :: v_dual_mov_b32 v27, v25
	s_delay_alu instid0(VALU_DEP_2) | instskip(NEXT) | instid1(VALU_DEP_3)
	v_add_co_u32 v5, vcc_lo, s40, v5
	v_add_co_ci_u32_e32 v6, vcc_lo, s41, v6, vcc_lo
	global_load_b32 v5, v[5:6], off
	s_waitcnt vmcnt(0)
	v_subrev_nc_u32_e32 v23, s65, v5
	s_delay_alu instid0(VALU_DEP_1) | instskip(NEXT) | instid1(VALU_DEP_1)
	v_ashrrev_i32_e32 v24, 31, v23
	v_lshlrev_b64 v[5:6], 2, v[23:24]
	s_delay_alu instid0(VALU_DEP_1) | instskip(NEXT) | instid1(VALU_DEP_2)
	v_add_co_u32 v7, vcc_lo, s16, v5
	v_add_co_ci_u32_e32 v8, vcc_lo, s17, v6, vcc_lo
	v_add_co_u32 v5, vcc_lo, s18, v5
	v_add_co_ci_u32_e32 v6, vcc_lo, s19, v6, vcc_lo
	global_load_b32 v7, v[7:8], off
	global_load_b32 v5, v[5:6], off
	s_waitcnt vmcnt(1)
	v_subrev_nc_u32_e32 v29, s67, v7
	s_waitcnt vmcnt(0)
	v_sub_nc_u32_e32 v53, v5, v7
	s_and_saveexec_b32 s14, s12
	s_cbranch_execz .LBB50_20
; %bb.13:                               ;   in Loop: Header=BB50_12 Depth=3
	v_ashrrev_i32_e32 v30, 31, v29
	v_mov_b32_e32 v25, 0
	v_dual_mov_b32 v31, 0 :: v_dual_mov_b32 v26, 0
	s_mov_b32 s76, 0
	s_delay_alu instid0(VALU_DEP_3) | instskip(SKIP_1) | instid1(VALU_DEP_3)
	v_lshlrev_b64 v[5:6], 2, v[29:30]
	v_lshlrev_b64 v[7:8], 4, v[29:30]
	v_dual_mov_b32 v17, v31 :: v_dual_mov_b32 v28, v26
	v_mov_b32_e32 v27, v25
                                        ; implicit-def: $sgpr77
	s_delay_alu instid0(VALU_DEP_4)
	v_add_co_u32 v5, vcc_lo, s20, v5
	v_add_co_ci_u32_e32 v6, vcc_lo, s21, v6, vcc_lo
	v_add_co_u32 v7, vcc_lo, s22, v7
	v_add_co_ci_u32_e32 v8, vcc_lo, s23, v8, vcc_lo
	s_branch .LBB50_16
.LBB50_14:                              ;   in Loop: Header=BB50_16 Depth=4
	s_or_b32 exec_lo, exec_lo, s13
	v_cmp_le_i32_e32 vcc_lo, v9, v10
	v_cmp_ge_i32_e64 s13, v9, v10
	v_add_co_ci_u32_e32 v17, vcc_lo, 0, v17, vcc_lo
	s_delay_alu instid0(VALU_DEP_2) | instskip(SKIP_1) | instid1(VALU_DEP_2)
	v_add_co_ci_u32_e64 v31, s13, 0, v31, s13
	s_and_not1_b32 s13, s77, exec_lo
	v_cmp_ge_i32_e32 vcc_lo, v17, v48
	s_and_b32 s77, vcc_lo, exec_lo
	s_delay_alu instid0(SALU_CYCLE_1)
	s_or_b32 s77, s13, s77
.LBB50_15:                              ;   in Loop: Header=BB50_16 Depth=4
	s_or_b32 exec_lo, exec_lo, s78
	s_delay_alu instid0(SALU_CYCLE_1) | instskip(NEXT) | instid1(SALU_CYCLE_1)
	s_and_b32 s13, exec_lo, s77
	s_or_b32 s76, s13, s76
	s_delay_alu instid0(SALU_CYCLE_1)
	s_and_not1_b32 exec_lo, exec_lo, s76
	s_cbranch_execz .LBB50_19
.LBB50_16:                              ;   Parent Loop BB50_3 Depth=1
                                        ;     Parent Loop BB50_7 Depth=2
                                        ;       Parent Loop BB50_12 Depth=3
                                        ; =>      This Inner Loop Header: Depth=4
	s_or_b32 s77, s77, exec_lo
	s_mov_b32 s78, exec_lo
	v_cmpx_lt_i32_e64 v31, v53
	s_cbranch_execz .LBB50_15
; %bb.17:                               ;   in Loop: Header=BB50_16 Depth=4
	v_mov_b32_e32 v32, v18
	v_lshlrev_b64 v[9:10], 2, v[17:18]
	s_mov_b32 s13, exec_lo
	s_delay_alu instid0(VALU_DEP_2) | instskip(NEXT) | instid1(VALU_DEP_2)
	v_lshlrev_b64 v[11:12], 2, v[31:32]
	v_add_co_u32 v9, vcc_lo, v49, v9
	s_delay_alu instid0(VALU_DEP_3) | instskip(NEXT) | instid1(VALU_DEP_3)
	v_add_co_ci_u32_e32 v10, vcc_lo, v50, v10, vcc_lo
	v_add_co_u32 v11, vcc_lo, v5, v11
	s_delay_alu instid0(VALU_DEP_4)
	v_add_co_ci_u32_e32 v12, vcc_lo, v6, v12, vcc_lo
	global_load_b32 v9, v[9:10], off
	global_load_b32 v10, v[11:12], off
	s_waitcnt vmcnt(1)
	v_subrev_nc_u32_e32 v9, s66, v9
	s_waitcnt vmcnt(0)
	v_subrev_nc_u32_e32 v10, s67, v10
	s_delay_alu instid0(VALU_DEP_1)
	v_cmpx_eq_u32_e64 v9, v10
	s_cbranch_execz .LBB50_14
; %bb.18:                               ;   in Loop: Header=BB50_16 Depth=4
	v_lshlrev_b64 v[11:12], 4, v[17:18]
	v_lshlrev_b64 v[13:14], 4, v[31:32]
	s_delay_alu instid0(VALU_DEP_2) | instskip(NEXT) | instid1(VALU_DEP_3)
	v_add_co_u32 v11, vcc_lo, v51, v11
	v_add_co_ci_u32_e32 v12, vcc_lo, v52, v12, vcc_lo
	s_delay_alu instid0(VALU_DEP_3) | instskip(NEXT) | instid1(VALU_DEP_4)
	v_add_co_u32 v15, vcc_lo, v7, v13
	v_add_co_ci_u32_e32 v16, vcc_lo, v8, v14, vcc_lo
	global_load_b128 v[11:14], v[11:12], off
	global_load_b128 v[32:35], v[15:16], off
	s_waitcnt vmcnt(0)
	v_fma_f64 v[15:16], v[11:12], v[32:33], v[25:26]
	v_fma_f64 v[27:28], v[13:14], v[32:33], v[27:28]
	s_delay_alu instid0(VALU_DEP_2) | instskip(NEXT) | instid1(VALU_DEP_2)
	v_fma_f64 v[25:26], -v[13:14], v[34:35], v[15:16]
	v_fma_f64 v[27:28], v[11:12], v[34:35], v[27:28]
	s_branch .LBB50_14
.LBB50_19:                              ;   in Loop: Header=BB50_12 Depth=3
	s_or_b32 exec_lo, exec_lo, s76
.LBB50_20:                              ;   in Loop: Header=BB50_12 Depth=3
	s_delay_alu instid0(SALU_CYCLE_1) | instskip(SKIP_3) | instid1(VALU_DEP_2)
	s_or_b32 exec_lo, exec_lo, s14
	v_lshlrev_b64 v[5:6], 4, v[20:21]
	v_cmp_le_i32_e64 s13, v19, v23
	s_mov_b32 s14, exec_lo
	v_add_co_u32 v5, vcc_lo, s42, v5
	s_delay_alu instid0(VALU_DEP_3)
	v_add_co_ci_u32_e32 v6, vcc_lo, s43, v6, vcc_lo
	global_load_b128 v[5:8], v[5:6], off
	s_waitcnt vmcnt(0)
	v_add_f64 v[9:10], v[5:6], -v[25:26]
	v_add_f64 v[11:12], v[7:8], -v[27:28]
	v_cmpx_gt_i32_e64 v19, v23
	s_cbranch_execz .LBB50_30
; %bb.21:                               ;   in Loop: Header=BB50_12 Depth=3
	v_lshlrev_b64 v[13:14], 4, v[23:24]
	s_mov_b32 s76, exec_lo
                                        ; implicit-def: $vgpr36_vgpr37
	s_delay_alu instid0(VALU_DEP_1) | instskip(NEXT) | instid1(VALU_DEP_2)
	v_add_co_u32 v13, vcc_lo, s52, v13
	v_add_co_ci_u32_e32 v14, vcc_lo, s53, v14, vcc_lo
	global_load_b128 v[13:16], v[13:14], off
	s_waitcnt vmcnt(0)
	v_cmp_gt_f64_e32 vcc_lo, 0, v[13:14]
	v_xor_b32_e32 v21, 0x80000000, v14
	v_mov_b32_e32 v32, v13
	v_xor_b32_e32 v30, 0x80000000, v16
	s_delay_alu instid0(VALU_DEP_3) | instskip(SKIP_1) | instid1(VALU_DEP_3)
	v_dual_mov_b32 v34, v15 :: v_dual_cndmask_b32 v33, v14, v21
	v_cmp_gt_f64_e32 vcc_lo, 0, v[15:16]
	v_cndmask_b32_e32 v35, v16, v30, vcc_lo
	s_delay_alu instid0(VALU_DEP_1)
	v_cmpx_ngt_f64_e32 v[32:33], v[34:35]
	s_xor_b32 s76, exec_lo, s76
	s_cbranch_execz .LBB50_25
; %bb.22:                               ;   in Loop: Header=BB50_12 Depth=3
	v_mov_b32_e32 v36, 0
	v_mov_b32_e32 v37, 0
	s_mov_b32 s77, exec_lo
	v_cmpx_neq_f64_e32 0, v[15:16]
	s_cbranch_execz .LBB50_24
; %bb.23:                               ;   in Loop: Header=BB50_12 Depth=3
	v_div_scale_f64 v[36:37], null, v[34:35], v[34:35], v[32:33]
	v_div_scale_f64 v[58:59], vcc_lo, v[32:33], v[34:35], v[32:33]
	s_delay_alu instid0(VALU_DEP_2) | instskip(SKIP_2) | instid1(VALU_DEP_1)
	v_rcp_f64_e32 v[54:55], v[36:37]
	s_waitcnt_depctr 0xfff
	v_fma_f64 v[56:57], -v[36:37], v[54:55], 1.0
	v_fma_f64 v[54:55], v[54:55], v[56:57], v[54:55]
	s_delay_alu instid0(VALU_DEP_1) | instskip(NEXT) | instid1(VALU_DEP_1)
	v_fma_f64 v[56:57], -v[36:37], v[54:55], 1.0
	v_fma_f64 v[54:55], v[54:55], v[56:57], v[54:55]
	s_delay_alu instid0(VALU_DEP_1) | instskip(NEXT) | instid1(VALU_DEP_1)
	v_mul_f64 v[56:57], v[58:59], v[54:55]
	v_fma_f64 v[36:37], -v[36:37], v[56:57], v[58:59]
	s_delay_alu instid0(VALU_DEP_1) | instskip(NEXT) | instid1(VALU_DEP_1)
	v_div_fmas_f64 v[36:37], v[36:37], v[54:55], v[56:57]
	v_div_fixup_f64 v[32:33], v[36:37], v[34:35], v[32:33]
	s_delay_alu instid0(VALU_DEP_1) | instskip(NEXT) | instid1(VALU_DEP_1)
	v_fma_f64 v[32:33], v[32:33], v[32:33], 1.0
	v_cmp_gt_f64_e32 vcc_lo, 0x10000000, v[32:33]
	v_cndmask_b32_e64 v21, 0, 1, vcc_lo
	s_delay_alu instid0(VALU_DEP_1) | instskip(NEXT) | instid1(VALU_DEP_1)
	v_lshlrev_b32_e32 v21, 8, v21
	v_ldexp_f64 v[32:33], v[32:33], v21
	v_cndmask_b32_e64 v21, 0, 0xffffff80, vcc_lo
	s_delay_alu instid0(VALU_DEP_2) | instskip(SKIP_4) | instid1(VALU_DEP_1)
	v_rsq_f64_e32 v[36:37], v[32:33]
	v_cmp_class_f64_e64 vcc_lo, v[32:33], 0x260
	s_waitcnt_depctr 0xfff
	v_mul_f64 v[54:55], v[32:33], v[36:37]
	v_mul_f64 v[36:37], v[36:37], 0.5
	v_fma_f64 v[56:57], -v[36:37], v[54:55], 0.5
	s_delay_alu instid0(VALU_DEP_1) | instskip(SKIP_1) | instid1(VALU_DEP_2)
	v_fma_f64 v[54:55], v[54:55], v[56:57], v[54:55]
	v_fma_f64 v[36:37], v[36:37], v[56:57], v[36:37]
	v_fma_f64 v[56:57], -v[54:55], v[54:55], v[32:33]
	s_delay_alu instid0(VALU_DEP_1) | instskip(NEXT) | instid1(VALU_DEP_1)
	v_fma_f64 v[54:55], v[56:57], v[36:37], v[54:55]
	v_fma_f64 v[56:57], -v[54:55], v[54:55], v[32:33]
	s_delay_alu instid0(VALU_DEP_1) | instskip(NEXT) | instid1(VALU_DEP_1)
	v_fma_f64 v[36:37], v[56:57], v[36:37], v[54:55]
	v_ldexp_f64 v[36:37], v[36:37], v21
	s_delay_alu instid0(VALU_DEP_1) | instskip(NEXT) | instid1(VALU_DEP_1)
	v_dual_cndmask_b32 v32, v36, v32 :: v_dual_cndmask_b32 v33, v37, v33
	v_mul_f64 v[36:37], v[34:35], v[32:33]
.LBB50_24:                              ;   in Loop: Header=BB50_12 Depth=3
	s_or_b32 exec_lo, exec_lo, s77
                                        ; implicit-def: $vgpr32_vgpr33
                                        ; implicit-def: $vgpr34_vgpr35
.LBB50_25:                              ;   in Loop: Header=BB50_12 Depth=3
	s_and_not1_saveexec_b32 s76, s76
	s_cbranch_execz .LBB50_27
; %bb.26:                               ;   in Loop: Header=BB50_12 Depth=3
	v_div_scale_f64 v[36:37], null, v[32:33], v[32:33], v[34:35]
	v_div_scale_f64 v[58:59], vcc_lo, v[34:35], v[32:33], v[34:35]
	s_delay_alu instid0(VALU_DEP_2) | instskip(SKIP_2) | instid1(VALU_DEP_1)
	v_rcp_f64_e32 v[54:55], v[36:37]
	s_waitcnt_depctr 0xfff
	v_fma_f64 v[56:57], -v[36:37], v[54:55], 1.0
	v_fma_f64 v[54:55], v[54:55], v[56:57], v[54:55]
	s_delay_alu instid0(VALU_DEP_1) | instskip(NEXT) | instid1(VALU_DEP_1)
	v_fma_f64 v[56:57], -v[36:37], v[54:55], 1.0
	v_fma_f64 v[54:55], v[54:55], v[56:57], v[54:55]
	s_delay_alu instid0(VALU_DEP_1) | instskip(NEXT) | instid1(VALU_DEP_1)
	v_mul_f64 v[56:57], v[58:59], v[54:55]
	v_fma_f64 v[36:37], -v[36:37], v[56:57], v[58:59]
	s_delay_alu instid0(VALU_DEP_1) | instskip(NEXT) | instid1(VALU_DEP_1)
	v_div_fmas_f64 v[36:37], v[36:37], v[54:55], v[56:57]
	v_div_fixup_f64 v[34:35], v[36:37], v[32:33], v[34:35]
	s_delay_alu instid0(VALU_DEP_1) | instskip(NEXT) | instid1(VALU_DEP_1)
	v_fma_f64 v[34:35], v[34:35], v[34:35], 1.0
	v_cmp_gt_f64_e32 vcc_lo, 0x10000000, v[34:35]
	v_cndmask_b32_e64 v21, 0, 1, vcc_lo
	s_delay_alu instid0(VALU_DEP_1) | instskip(NEXT) | instid1(VALU_DEP_1)
	v_lshlrev_b32_e32 v21, 8, v21
	v_ldexp_f64 v[34:35], v[34:35], v21
	v_cndmask_b32_e64 v21, 0, 0xffffff80, vcc_lo
	s_delay_alu instid0(VALU_DEP_2) | instskip(SKIP_4) | instid1(VALU_DEP_1)
	v_rsq_f64_e32 v[36:37], v[34:35]
	v_cmp_class_f64_e64 vcc_lo, v[34:35], 0x260
	s_waitcnt_depctr 0xfff
	v_mul_f64 v[54:55], v[34:35], v[36:37]
	v_mul_f64 v[36:37], v[36:37], 0.5
	v_fma_f64 v[56:57], -v[36:37], v[54:55], 0.5
	s_delay_alu instid0(VALU_DEP_1) | instskip(SKIP_1) | instid1(VALU_DEP_2)
	v_fma_f64 v[54:55], v[54:55], v[56:57], v[54:55]
	v_fma_f64 v[36:37], v[36:37], v[56:57], v[36:37]
	v_fma_f64 v[56:57], -v[54:55], v[54:55], v[34:35]
	s_delay_alu instid0(VALU_DEP_1) | instskip(NEXT) | instid1(VALU_DEP_1)
	v_fma_f64 v[54:55], v[56:57], v[36:37], v[54:55]
	v_fma_f64 v[56:57], -v[54:55], v[54:55], v[34:35]
	s_delay_alu instid0(VALU_DEP_1) | instskip(NEXT) | instid1(VALU_DEP_1)
	v_fma_f64 v[36:37], v[56:57], v[36:37], v[54:55]
	v_ldexp_f64 v[36:37], v[36:37], v21
	s_delay_alu instid0(VALU_DEP_1) | instskip(NEXT) | instid1(VALU_DEP_1)
	v_dual_cndmask_b32 v34, v36, v34 :: v_dual_cndmask_b32 v35, v37, v35
	v_mul_f64 v[36:37], v[32:33], v[34:35]
.LBB50_27:                              ;   in Loop: Header=BB50_12 Depth=3
	s_or_b32 exec_lo, exec_lo, s76
	v_mov_b32_e32 v32, 0
	v_mov_b32_e32 v33, 0
	s_mov_b32 s76, exec_lo
	s_delay_alu instid0(VALU_DEP_1) | instskip(NEXT) | instid1(VALU_DEP_4)
	v_dual_mov_b32 v35, v33 :: v_dual_mov_b32 v34, v32
	v_cmpx_lt_f64_e32 0, v[36:37]
	s_cbranch_execz .LBB50_29
; %bb.28:                               ;   in Loop: Header=BB50_12 Depth=3
	v_mul_f64 v[32:33], v[15:16], v[15:16]
	s_delay_alu instid0(VALU_DEP_1) | instskip(NEXT) | instid1(VALU_DEP_1)
	v_fma_f64 v[32:33], v[13:14], v[13:14], v[32:33]
	v_div_scale_f64 v[34:35], null, v[32:33], v[32:33], 1.0
	v_div_scale_f64 v[56:57], vcc_lo, 1.0, v[32:33], 1.0
	s_delay_alu instid0(VALU_DEP_2) | instskip(SKIP_2) | instid1(VALU_DEP_1)
	v_rcp_f64_e32 v[36:37], v[34:35]
	s_waitcnt_depctr 0xfff
	v_fma_f64 v[54:55], -v[34:35], v[36:37], 1.0
	v_fma_f64 v[36:37], v[36:37], v[54:55], v[36:37]
	s_delay_alu instid0(VALU_DEP_1) | instskip(NEXT) | instid1(VALU_DEP_1)
	v_fma_f64 v[54:55], -v[34:35], v[36:37], 1.0
	v_fma_f64 v[36:37], v[36:37], v[54:55], v[36:37]
	s_delay_alu instid0(VALU_DEP_1) | instskip(NEXT) | instid1(VALU_DEP_1)
	v_mul_f64 v[54:55], v[56:57], v[36:37]
	v_fma_f64 v[34:35], -v[34:35], v[54:55], v[56:57]
	v_mul_f64 v[56:57], v[11:12], v[15:16]
	v_mul_f64 v[15:16], v[15:16], -v[9:10]
	s_delay_alu instid0(VALU_DEP_3) | instskip(NEXT) | instid1(VALU_DEP_3)
	v_div_fmas_f64 v[34:35], v[34:35], v[36:37], v[54:55]
	v_fma_f64 v[9:10], v[9:10], v[13:14], v[56:57]
	s_delay_alu instid0(VALU_DEP_3) | instskip(NEXT) | instid1(VALU_DEP_3)
	v_fma_f64 v[11:12], v[11:12], v[13:14], v[15:16]
	v_div_fixup_f64 v[32:33], v[34:35], v[32:33], 1.0
	s_delay_alu instid0(VALU_DEP_1) | instskip(NEXT) | instid1(VALU_DEP_3)
	v_mul_f64 v[34:35], v[9:10], v[32:33]
	v_mul_f64 v[32:33], v[11:12], v[32:33]
.LBB50_29:                              ;   in Loop: Header=BB50_12 Depth=3
	s_or_b32 exec_lo, exec_lo, s76
	s_delay_alu instid0(VALU_DEP_1) | instskip(NEXT) | instid1(VALU_DEP_3)
	v_dual_mov_b32 v11, v32 :: v_dual_mov_b32 v12, v33
	v_dual_mov_b32 v9, v34 :: v_dual_mov_b32 v10, v35
.LBB50_30:                              ;   in Loop: Header=BB50_12 Depth=3
	s_or_b32 exec_lo, exec_lo, s14
	s_delay_alu instid0(VALU_DEP_1) | instskip(NEXT) | instid1(VALU_DEP_3)
	v_cmp_gt_f64_e32 vcc_lo, 0, v[9:10]
	v_cmp_gt_f64_e64 s14, 0, v[11:12]
	v_xor_b32_e32 v13, 0x80000000, v10
	v_xor_b32_e32 v15, 0x80000000, v12
                                        ; implicit-def: $vgpr32_vgpr33
	s_delay_alu instid0(VALU_DEP_2) | instskip(NEXT) | instid1(VALU_DEP_2)
	v_cndmask_b32_e32 v14, v10, v13, vcc_lo
	v_cndmask_b32_e64 v16, v12, v15, s14
	v_cndmask_b32_e32 v13, v9, v9, vcc_lo
	v_cndmask_b32_e64 v15, v11, v11, s14
	s_mov_b32 s14, exec_lo
	s_delay_alu instid0(VALU_DEP_1)
	v_cmpx_ngt_f64_e32 v[13:14], v[15:16]
	s_xor_b32 s14, exec_lo, s14
	s_cbranch_execnz .LBB50_34
; %bb.31:                               ;   in Loop: Header=BB50_12 Depth=3
	s_and_not1_saveexec_b32 s14, s14
	s_cbranch_execnz .LBB50_37
.LBB50_32:                              ;   in Loop: Header=BB50_12 Depth=3
	s_or_b32 exec_lo, exec_lo, s14
	s_delay_alu instid0(VALU_DEP_1) | instskip(NEXT) | instid1(VALU_DEP_1)
	v_cmp_class_f64_e64 s14, v[32:33], 0x1f8
	s_and_saveexec_b32 s76, s14
	s_cbranch_execnz .LBB50_38
.LBB50_33:                              ;   in Loop: Header=BB50_12 Depth=3
	s_or_b32 exec_lo, exec_lo, s76
	s_and_b32 s13, s14, s33
	s_delay_alu instid0(SALU_CYCLE_1)
	s_and_saveexec_b32 s14, s13
	s_cbranch_execz .LBB50_11
	s_branch .LBB50_79
.LBB50_34:                              ;   in Loop: Header=BB50_12 Depth=3
	v_mov_b32_e32 v32, 0
	v_mov_b32_e32 v33, 0
	s_mov_b32 s76, exec_lo
	v_cmpx_neq_f64_e32 0, v[11:12]
	s_cbranch_execz .LBB50_36
; %bb.35:                               ;   in Loop: Header=BB50_12 Depth=3
	v_div_scale_f64 v[32:33], null, v[15:16], v[15:16], v[13:14]
	v_div_scale_f64 v[54:55], vcc_lo, v[13:14], v[15:16], v[13:14]
	s_delay_alu instid0(VALU_DEP_2) | instskip(SKIP_2) | instid1(VALU_DEP_1)
	v_rcp_f64_e32 v[34:35], v[32:33]
	s_waitcnt_depctr 0xfff
	v_fma_f64 v[36:37], -v[32:33], v[34:35], 1.0
	v_fma_f64 v[34:35], v[34:35], v[36:37], v[34:35]
	s_delay_alu instid0(VALU_DEP_1) | instskip(NEXT) | instid1(VALU_DEP_1)
	v_fma_f64 v[36:37], -v[32:33], v[34:35], 1.0
	v_fma_f64 v[34:35], v[34:35], v[36:37], v[34:35]
	s_delay_alu instid0(VALU_DEP_1) | instskip(NEXT) | instid1(VALU_DEP_1)
	v_mul_f64 v[36:37], v[54:55], v[34:35]
	v_fma_f64 v[32:33], -v[32:33], v[36:37], v[54:55]
	s_delay_alu instid0(VALU_DEP_1) | instskip(NEXT) | instid1(VALU_DEP_1)
	v_div_fmas_f64 v[32:33], v[32:33], v[34:35], v[36:37]
	v_div_fixup_f64 v[13:14], v[32:33], v[15:16], v[13:14]
	s_delay_alu instid0(VALU_DEP_1) | instskip(NEXT) | instid1(VALU_DEP_1)
	v_fma_f64 v[13:14], v[13:14], v[13:14], 1.0
	v_cmp_gt_f64_e32 vcc_lo, 0x10000000, v[13:14]
	v_cndmask_b32_e64 v21, 0, 1, vcc_lo
	s_delay_alu instid0(VALU_DEP_1) | instskip(NEXT) | instid1(VALU_DEP_1)
	v_lshlrev_b32_e32 v21, 8, v21
	v_ldexp_f64 v[13:14], v[13:14], v21
	v_cndmask_b32_e64 v21, 0, 0xffffff80, vcc_lo
	s_delay_alu instid0(VALU_DEP_2) | instskip(SKIP_4) | instid1(VALU_DEP_1)
	v_rsq_f64_e32 v[32:33], v[13:14]
	v_cmp_class_f64_e64 vcc_lo, v[13:14], 0x260
	s_waitcnt_depctr 0xfff
	v_mul_f64 v[34:35], v[13:14], v[32:33]
	v_mul_f64 v[32:33], v[32:33], 0.5
	v_fma_f64 v[36:37], -v[32:33], v[34:35], 0.5
	s_delay_alu instid0(VALU_DEP_1) | instskip(SKIP_1) | instid1(VALU_DEP_2)
	v_fma_f64 v[34:35], v[34:35], v[36:37], v[34:35]
	v_fma_f64 v[32:33], v[32:33], v[36:37], v[32:33]
	v_fma_f64 v[36:37], -v[34:35], v[34:35], v[13:14]
	s_delay_alu instid0(VALU_DEP_1) | instskip(NEXT) | instid1(VALU_DEP_1)
	v_fma_f64 v[34:35], v[36:37], v[32:33], v[34:35]
	v_fma_f64 v[36:37], -v[34:35], v[34:35], v[13:14]
	s_delay_alu instid0(VALU_DEP_1) | instskip(NEXT) | instid1(VALU_DEP_1)
	v_fma_f64 v[32:33], v[36:37], v[32:33], v[34:35]
	v_ldexp_f64 v[32:33], v[32:33], v21
	s_delay_alu instid0(VALU_DEP_1) | instskip(NEXT) | instid1(VALU_DEP_1)
	v_dual_cndmask_b32 v14, v33, v14 :: v_dual_cndmask_b32 v13, v32, v13
	v_mul_f64 v[32:33], v[15:16], v[13:14]
.LBB50_36:                              ;   in Loop: Header=BB50_12 Depth=3
	s_or_b32 exec_lo, exec_lo, s76
                                        ; implicit-def: $vgpr13_vgpr14
                                        ; implicit-def: $vgpr15_vgpr16
	s_and_not1_saveexec_b32 s14, s14
	s_cbranch_execz .LBB50_32
.LBB50_37:                              ;   in Loop: Header=BB50_12 Depth=3
	v_div_scale_f64 v[32:33], null, v[13:14], v[13:14], v[15:16]
	v_div_scale_f64 v[54:55], vcc_lo, v[15:16], v[13:14], v[15:16]
	s_delay_alu instid0(VALU_DEP_2) | instskip(SKIP_2) | instid1(VALU_DEP_1)
	v_rcp_f64_e32 v[34:35], v[32:33]
	s_waitcnt_depctr 0xfff
	v_fma_f64 v[36:37], -v[32:33], v[34:35], 1.0
	v_fma_f64 v[34:35], v[34:35], v[36:37], v[34:35]
	s_delay_alu instid0(VALU_DEP_1) | instskip(NEXT) | instid1(VALU_DEP_1)
	v_fma_f64 v[36:37], -v[32:33], v[34:35], 1.0
	v_fma_f64 v[34:35], v[34:35], v[36:37], v[34:35]
	s_delay_alu instid0(VALU_DEP_1) | instskip(NEXT) | instid1(VALU_DEP_1)
	v_mul_f64 v[36:37], v[54:55], v[34:35]
	v_fma_f64 v[32:33], -v[32:33], v[36:37], v[54:55]
	s_delay_alu instid0(VALU_DEP_1) | instskip(NEXT) | instid1(VALU_DEP_1)
	v_div_fmas_f64 v[32:33], v[32:33], v[34:35], v[36:37]
	v_div_fixup_f64 v[15:16], v[32:33], v[13:14], v[15:16]
	s_delay_alu instid0(VALU_DEP_1) | instskip(NEXT) | instid1(VALU_DEP_1)
	v_fma_f64 v[15:16], v[15:16], v[15:16], 1.0
	v_cmp_gt_f64_e32 vcc_lo, 0x10000000, v[15:16]
	v_cndmask_b32_e64 v21, 0, 1, vcc_lo
	s_delay_alu instid0(VALU_DEP_1) | instskip(NEXT) | instid1(VALU_DEP_1)
	v_lshlrev_b32_e32 v21, 8, v21
	v_ldexp_f64 v[15:16], v[15:16], v21
	v_cndmask_b32_e64 v21, 0, 0xffffff80, vcc_lo
	s_delay_alu instid0(VALU_DEP_2) | instskip(SKIP_4) | instid1(VALU_DEP_1)
	v_rsq_f64_e32 v[32:33], v[15:16]
	v_cmp_class_f64_e64 vcc_lo, v[15:16], 0x260
	s_waitcnt_depctr 0xfff
	v_mul_f64 v[34:35], v[15:16], v[32:33]
	v_mul_f64 v[32:33], v[32:33], 0.5
	v_fma_f64 v[36:37], -v[32:33], v[34:35], 0.5
	s_delay_alu instid0(VALU_DEP_1) | instskip(SKIP_1) | instid1(VALU_DEP_2)
	v_fma_f64 v[34:35], v[34:35], v[36:37], v[34:35]
	v_fma_f64 v[32:33], v[32:33], v[36:37], v[32:33]
	v_fma_f64 v[36:37], -v[34:35], v[34:35], v[15:16]
	s_delay_alu instid0(VALU_DEP_1) | instskip(NEXT) | instid1(VALU_DEP_1)
	v_fma_f64 v[34:35], v[36:37], v[32:33], v[34:35]
	v_fma_f64 v[36:37], -v[34:35], v[34:35], v[15:16]
	s_delay_alu instid0(VALU_DEP_1) | instskip(NEXT) | instid1(VALU_DEP_1)
	v_fma_f64 v[32:33], v[36:37], v[32:33], v[34:35]
	v_ldexp_f64 v[32:33], v[32:33], v21
	s_delay_alu instid0(VALU_DEP_1) | instskip(NEXT) | instid1(VALU_DEP_1)
	v_dual_cndmask_b32 v16, v33, v16 :: v_dual_cndmask_b32 v15, v32, v15
	v_mul_f64 v[32:33], v[13:14], v[15:16]
	s_or_b32 exec_lo, exec_lo, s14
	s_delay_alu instid0(VALU_DEP_1) | instskip(NEXT) | instid1(VALU_DEP_1)
	v_cmp_class_f64_e64 s14, v[32:33], 0x1f8
	s_and_saveexec_b32 s76, s14
	s_cbranch_execz .LBB50_33
.LBB50_38:                              ;   in Loop: Header=BB50_12 Depth=3
	s_and_saveexec_b32 s77, s13
	s_delay_alu instid0(SALU_CYCLE_1)
	s_xor_b32 s77, exec_lo, s77
	s_cbranch_execz .LBB50_63
; %bb.39:                               ;   in Loop: Header=BB50_12 Depth=3
	s_mov_b32 s13, exec_lo
	v_cmpx_ge_i32_e64 v19, v23
	s_xor_b32 s78, exec_lo, s13
	s_cbranch_execz .LBB50_47
; %bb.40:                               ;   in Loop: Header=BB50_12 Depth=3
	v_lshlrev_b64 v[13:14], 4, v[23:24]
	s_delay_alu instid0(VALU_DEP_1) | instskip(NEXT) | instid1(VALU_DEP_2)
	v_add_co_u32 v15, vcc_lo, s54, v13
	v_add_co_ci_u32_e32 v16, vcc_lo, s55, v14, vcc_lo
	s_and_not1_b32 vcc_lo, exec_lo, s62
	global_store_b128 v[15:16], v[9:12], off
	s_cbranch_vccnz .LBB50_46
; %bb.41:                               ;   in Loop: Header=BB50_12 Depth=3
	v_add_co_u32 v13, vcc_lo, s52, v13
	v_add_co_ci_u32_e32 v14, vcc_lo, s53, v14, vcc_lo
	global_load_b128 v[13:16], v[13:14], off
	s_waitcnt vmcnt(0)
	v_add_f64 v[9:10], v[13:14], -v[9:10]
	v_add_f64 v[15:16], v[15:16], -v[11:12]
                                        ; implicit-def: $vgpr13_vgpr14
	s_delay_alu instid0(VALU_DEP_2) | instskip(NEXT) | instid1(VALU_DEP_2)
	v_cmp_gt_f64_e32 vcc_lo, 0, v[9:10]
	v_cmp_gt_f64_e64 s13, 0, v[15:16]
	v_xor_b32_e32 v11, 0x80000000, v10
	v_xor_b32_e32 v12, 0x80000000, v16
	s_delay_alu instid0(VALU_DEP_2) | instskip(NEXT) | instid1(VALU_DEP_2)
	v_dual_cndmask_b32 v10, v10, v11 :: v_dual_cndmask_b32 v9, v9, v9
	v_cndmask_b32_e64 v12, v16, v12, s13
	v_cndmask_b32_e64 v11, v15, v15, s13
	s_mov_b32 s13, exec_lo
	s_delay_alu instid0(VALU_DEP_1)
	v_cmpx_ngt_f64_e32 v[9:10], v[11:12]
	s_xor_b32 s13, exec_lo, s13
	s_cbranch_execnz .LBB50_107
; %bb.42:                               ;   in Loop: Header=BB50_12 Depth=3
	s_and_not1_saveexec_b32 s13, s13
	s_cbranch_execnz .LBB50_110
.LBB50_43:                              ;   in Loop: Header=BB50_12 Depth=3
	s_or_b32 exec_lo, exec_lo, s13
	s_delay_alu instid0(VALU_DEP_1) | instskip(NEXT) | instid1(VALU_DEP_1)
	v_cmp_class_f64_e64 s79, v[13:14], 0x1f8
	s_and_saveexec_b32 s13, s79
.LBB50_44:                              ;   in Loop: Header=BB50_12 Depth=3
	v_cmp_lt_f64_e32 vcc_lo, v[3:4], v[13:14]
	v_dual_cndmask_b32 v4, v4, v14 :: v_dual_cndmask_b32 v3, v3, v13
.LBB50_45:                              ;   in Loop: Header=BB50_12 Depth=3
	s_or_b32 exec_lo, exec_lo, s13
.LBB50_46:                              ;   in Loop: Header=BB50_12 Depth=3
                                        ; implicit-def: $vgpr9_vgpr10
.LBB50_47:                              ;   in Loop: Header=BB50_12 Depth=3
	s_and_not1_saveexec_b32 s78, s78
	s_cbranch_execz .LBB50_62
; %bb.48:                               ;   in Loop: Header=BB50_12 Depth=3
	s_mov_b32 s79, exec_lo
	v_cmpx_lt_i32_e64 v31, v53
	s_cbranch_execz .LBB50_61
; %bb.49:                               ;   in Loop: Header=BB50_12 Depth=3
	v_mov_b32_e32 v15, v31
	s_mov_b32 s13, 0
                                        ; implicit-def: $sgpr80
                                        ; implicit-def: $sgpr82
                                        ; implicit-def: $sgpr81
	s_set_inst_prefetch_distance 0x1
	s_branch .LBB50_51
	.p2align	6
.LBB50_50:                              ;   in Loop: Header=BB50_51 Depth=4
	s_or_b32 exec_lo, exec_lo, s83
	s_delay_alu instid0(SALU_CYCLE_1) | instskip(NEXT) | instid1(SALU_CYCLE_1)
	s_and_b32 s83, exec_lo, s82
	s_or_b32 s13, s83, s13
	s_and_not1_b32 s80, s80, exec_lo
	s_and_b32 s83, s81, exec_lo
	s_delay_alu instid0(SALU_CYCLE_1)
	s_or_b32 s80, s80, s83
	s_and_not1_b32 exec_lo, exec_lo, s13
	s_cbranch_execz .LBB50_53
.LBB50_51:                              ;   Parent Loop BB50_3 Depth=1
                                        ;     Parent Loop BB50_7 Depth=2
                                        ;       Parent Loop BB50_12 Depth=3
                                        ; =>      This Inner Loop Header: Depth=4
	s_delay_alu instid0(VALU_DEP_1) | instskip(SKIP_3) | instid1(VALU_DEP_1)
	v_add_nc_u32_e32 v13, v29, v15
	s_or_b32 s81, s81, exec_lo
	s_or_b32 s82, s82, exec_lo
	s_mov_b32 s83, exec_lo
	v_ashrrev_i32_e32 v14, 31, v13
	s_delay_alu instid0(VALU_DEP_1) | instskip(NEXT) | instid1(VALU_DEP_1)
	v_lshlrev_b64 v[32:33], 2, v[13:14]
	v_add_co_u32 v32, vcc_lo, s20, v32
	s_delay_alu instid0(VALU_DEP_2) | instskip(SKIP_3) | instid1(VALU_DEP_1)
	v_add_co_ci_u32_e32 v33, vcc_lo, s21, v33, vcc_lo
	global_load_b32 v16, v[32:33], off
	s_waitcnt vmcnt(0)
	v_subrev_nc_u32_e32 v16, s67, v16
	v_cmpx_ne_u32_e64 v16, v19
	s_cbranch_execz .LBB50_50
; %bb.52:                               ;   in Loop: Header=BB50_51 Depth=4
	v_add_nc_u32_e32 v15, 1, v15
	s_and_not1_b32 s82, s82, exec_lo
	s_and_not1_b32 s81, s81, exec_lo
	s_delay_alu instid0(VALU_DEP_1) | instskip(SKIP_1) | instid1(SALU_CYCLE_1)
	v_cmp_ge_i32_e32 vcc_lo, v15, v53
	s_and_b32 s84, vcc_lo, exec_lo
	s_or_b32 s82, s82, s84
	s_branch .LBB50_50
.LBB50_53:                              ;   in Loop: Header=BB50_12 Depth=3
	s_set_inst_prefetch_distance 0x2
	s_or_b32 exec_lo, exec_lo, s13
	s_and_saveexec_b32 s13, s80
	s_delay_alu instid0(SALU_CYCLE_1)
	s_xor_b32 s80, exec_lo, s13
	s_cbranch_execz .LBB50_60
; %bb.54:                               ;   in Loop: Header=BB50_12 Depth=3
	v_lshlrev_b64 v[13:14], 4, v[13:14]
	s_delay_alu instid0(VALU_DEP_1) | instskip(NEXT) | instid1(VALU_DEP_2)
	v_add_co_u32 v15, vcc_lo, s60, v13
	v_add_co_ci_u32_e32 v16, vcc_lo, s61, v14, vcc_lo
	s_and_not1_b32 vcc_lo, exec_lo, s62
	global_store_b128 v[15:16], v[9:12], off
	s_cbranch_vccnz .LBB50_60
; %bb.55:                               ;   in Loop: Header=BB50_12 Depth=3
	v_add_co_u32 v13, vcc_lo, s22, v13
	v_add_co_ci_u32_e32 v14, vcc_lo, s23, v14, vcc_lo
	global_load_b128 v[13:16], v[13:14], off
	s_waitcnt vmcnt(0)
	v_add_f64 v[9:10], v[13:14], -v[9:10]
	v_add_f64 v[15:16], v[15:16], -v[11:12]
                                        ; implicit-def: $vgpr13_vgpr14
	s_delay_alu instid0(VALU_DEP_2) | instskip(NEXT) | instid1(VALU_DEP_2)
	v_cmp_gt_f64_e32 vcc_lo, 0, v[9:10]
	v_cmp_gt_f64_e64 s13, 0, v[15:16]
	v_xor_b32_e32 v11, 0x80000000, v10
	v_xor_b32_e32 v12, 0x80000000, v16
	s_delay_alu instid0(VALU_DEP_2) | instskip(NEXT) | instid1(VALU_DEP_2)
	v_dual_cndmask_b32 v10, v10, v11 :: v_dual_cndmask_b32 v9, v9, v9
	v_cndmask_b32_e64 v12, v16, v12, s13
	v_cndmask_b32_e64 v11, v15, v15, s13
	s_mov_b32 s13, exec_lo
	s_delay_alu instid0(VALU_DEP_1)
	v_cmpx_ngt_f64_e32 v[9:10], v[11:12]
	s_xor_b32 s13, exec_lo, s13
	s_cbranch_execnz .LBB50_115
; %bb.56:                               ;   in Loop: Header=BB50_12 Depth=3
	s_and_not1_saveexec_b32 s13, s13
	s_cbranch_execnz .LBB50_118
.LBB50_57:                              ;   in Loop: Header=BB50_12 Depth=3
	s_or_b32 exec_lo, exec_lo, s13
	s_delay_alu instid0(VALU_DEP_1) | instskip(NEXT) | instid1(VALU_DEP_1)
	v_cmp_class_f64_e64 s81, v[13:14], 0x1f8
	s_and_saveexec_b32 s13, s81
.LBB50_58:                              ;   in Loop: Header=BB50_12 Depth=3
	v_cmp_lt_f64_e32 vcc_lo, v[3:4], v[13:14]
	v_dual_cndmask_b32 v4, v4, v14 :: v_dual_cndmask_b32 v3, v3, v13
.LBB50_59:                              ;   in Loop: Header=BB50_12 Depth=3
	s_or_b32 exec_lo, exec_lo, s13
.LBB50_60:                              ;   in Loop: Header=BB50_12 Depth=3
	s_delay_alu instid0(SALU_CYCLE_1)
	s_or_b32 exec_lo, exec_lo, s80
.LBB50_61:                              ;   in Loop: Header=BB50_12 Depth=3
	s_delay_alu instid0(SALU_CYCLE_1)
	s_or_b32 exec_lo, exec_lo, s79
.LBB50_62:                              ;   in Loop: Header=BB50_12 Depth=3
	s_delay_alu instid0(SALU_CYCLE_1)
	s_or_b32 exec_lo, exec_lo, s78
                                        ; implicit-def: $vgpr9_vgpr10
.LBB50_63:                              ;   in Loop: Header=BB50_12 Depth=3
	s_and_not1_saveexec_b32 s77, s77
	s_cbranch_execz .LBB50_78
; %bb.64:                               ;   in Loop: Header=BB50_12 Depth=3
	s_mov_b32 s78, exec_lo
	v_cmpx_lt_i32_e64 v17, v48
	s_cbranch_execz .LBB50_77
; %bb.65:                               ;   in Loop: Header=BB50_12 Depth=3
	v_mov_b32_e32 v15, v17
	s_mov_b32 s13, 0
                                        ; implicit-def: $sgpr79
                                        ; implicit-def: $sgpr81
                                        ; implicit-def: $sgpr80
	s_set_inst_prefetch_distance 0x1
	s_branch .LBB50_67
	.p2align	6
.LBB50_66:                              ;   in Loop: Header=BB50_67 Depth=4
	s_or_b32 exec_lo, exec_lo, s82
	s_delay_alu instid0(SALU_CYCLE_1) | instskip(NEXT) | instid1(SALU_CYCLE_1)
	s_and_b32 s82, exec_lo, s81
	s_or_b32 s13, s82, s13
	s_and_not1_b32 s79, s79, exec_lo
	s_and_b32 s82, s80, exec_lo
	s_delay_alu instid0(SALU_CYCLE_1)
	s_or_b32 s79, s79, s82
	s_and_not1_b32 exec_lo, exec_lo, s13
	s_cbranch_execz .LBB50_69
.LBB50_67:                              ;   Parent Loop BB50_3 Depth=1
                                        ;     Parent Loop BB50_7 Depth=2
                                        ;       Parent Loop BB50_12 Depth=3
                                        ; =>      This Inner Loop Header: Depth=4
	s_delay_alu instid0(VALU_DEP_1) | instskip(SKIP_3) | instid1(VALU_DEP_1)
	v_add_nc_u32_e32 v13, v22, v15
	s_or_b32 s80, s80, exec_lo
	s_or_b32 s81, s81, exec_lo
	s_mov_b32 s82, exec_lo
	v_ashrrev_i32_e32 v14, 31, v13
	s_delay_alu instid0(VALU_DEP_1) | instskip(NEXT) | instid1(VALU_DEP_1)
	v_lshlrev_b64 v[32:33], 2, v[13:14]
	v_add_co_u32 v32, vcc_lo, s28, v32
	s_delay_alu instid0(VALU_DEP_2) | instskip(SKIP_3) | instid1(VALU_DEP_1)
	v_add_co_ci_u32_e32 v33, vcc_lo, s29, v33, vcc_lo
	global_load_b32 v16, v[32:33], off
	s_waitcnt vmcnt(0)
	v_subrev_nc_u32_e32 v16, s66, v16
	v_cmpx_ne_u32_e64 v16, v23
	s_cbranch_execz .LBB50_66
; %bb.68:                               ;   in Loop: Header=BB50_67 Depth=4
	v_add_nc_u32_e32 v15, 1, v15
	s_and_not1_b32 s81, s81, exec_lo
	s_and_not1_b32 s80, s80, exec_lo
	s_delay_alu instid0(VALU_DEP_1) | instskip(SKIP_1) | instid1(SALU_CYCLE_1)
	v_cmp_ge_i32_e32 vcc_lo, v15, v48
	s_and_b32 s83, vcc_lo, exec_lo
	s_or_b32 s81, s81, s83
	s_branch .LBB50_66
.LBB50_69:                              ;   in Loop: Header=BB50_12 Depth=3
	s_set_inst_prefetch_distance 0x2
	s_or_b32 exec_lo, exec_lo, s13
	s_and_saveexec_b32 s13, s79
	s_delay_alu instid0(SALU_CYCLE_1)
	s_xor_b32 s79, exec_lo, s13
	s_cbranch_execz .LBB50_76
; %bb.70:                               ;   in Loop: Header=BB50_12 Depth=3
	v_lshlrev_b64 v[13:14], 4, v[13:14]
	s_delay_alu instid0(VALU_DEP_1) | instskip(NEXT) | instid1(VALU_DEP_2)
	v_add_co_u32 v15, vcc_lo, s58, v13
	v_add_co_ci_u32_e32 v16, vcc_lo, s59, v14, vcc_lo
	s_and_not1_b32 vcc_lo, exec_lo, s62
	global_store_b128 v[15:16], v[9:12], off
	s_cbranch_vccnz .LBB50_76
; %bb.71:                               ;   in Loop: Header=BB50_12 Depth=3
	v_add_co_u32 v13, vcc_lo, s30, v13
	v_add_co_ci_u32_e32 v14, vcc_lo, s31, v14, vcc_lo
	global_load_b128 v[13:16], v[13:14], off
	s_waitcnt vmcnt(0)
	v_add_f64 v[9:10], v[13:14], -v[9:10]
	v_add_f64 v[15:16], v[15:16], -v[11:12]
                                        ; implicit-def: $vgpr13_vgpr14
	s_delay_alu instid0(VALU_DEP_2) | instskip(NEXT) | instid1(VALU_DEP_2)
	v_cmp_gt_f64_e32 vcc_lo, 0, v[9:10]
	v_cmp_gt_f64_e64 s13, 0, v[15:16]
	v_xor_b32_e32 v11, 0x80000000, v10
	v_xor_b32_e32 v12, 0x80000000, v16
	s_delay_alu instid0(VALU_DEP_2) | instskip(NEXT) | instid1(VALU_DEP_2)
	v_dual_cndmask_b32 v10, v10, v11 :: v_dual_cndmask_b32 v9, v9, v9
	v_cndmask_b32_e64 v12, v16, v12, s13
	v_cndmask_b32_e64 v11, v15, v15, s13
	s_mov_b32 s13, exec_lo
	s_delay_alu instid0(VALU_DEP_1)
	v_cmpx_ngt_f64_e32 v[9:10], v[11:12]
	s_xor_b32 s13, exec_lo, s13
	s_cbranch_execnz .LBB50_111
; %bb.72:                               ;   in Loop: Header=BB50_12 Depth=3
	s_and_not1_saveexec_b32 s13, s13
	s_cbranch_execnz .LBB50_114
.LBB50_73:                              ;   in Loop: Header=BB50_12 Depth=3
	s_or_b32 exec_lo, exec_lo, s13
	s_delay_alu instid0(VALU_DEP_1) | instskip(NEXT) | instid1(VALU_DEP_1)
	v_cmp_class_f64_e64 s80, v[13:14], 0x1f8
	s_and_saveexec_b32 s13, s80
.LBB50_74:                              ;   in Loop: Header=BB50_12 Depth=3
	v_cmp_lt_f64_e32 vcc_lo, v[3:4], v[13:14]
	v_dual_cndmask_b32 v4, v4, v14 :: v_dual_cndmask_b32 v3, v3, v13
.LBB50_75:                              ;   in Loop: Header=BB50_12 Depth=3
	s_or_b32 exec_lo, exec_lo, s13
.LBB50_76:                              ;   in Loop: Header=BB50_12 Depth=3
	s_delay_alu instid0(SALU_CYCLE_1)
	s_or_b32 exec_lo, exec_lo, s79
.LBB50_77:                              ;   in Loop: Header=BB50_12 Depth=3
	s_delay_alu instid0(SALU_CYCLE_1)
	s_or_b32 exec_lo, exec_lo, s78
.LBB50_78:                              ;   in Loop: Header=BB50_12 Depth=3
	s_delay_alu instid0(SALU_CYCLE_1) | instskip(NEXT) | instid1(SALU_CYCLE_1)
	s_or_b32 exec_lo, exec_lo, s77
	s_or_b32 exec_lo, exec_lo, s76
	s_and_b32 s13, s14, s33
	s_delay_alu instid0(SALU_CYCLE_1)
	s_and_saveexec_b32 s14, s13
	s_cbranch_execz .LBB50_11
.LBB50_79:                              ;   in Loop: Header=BB50_12 Depth=3
	s_mov_b32 s13, exec_lo
	v_cmpx_ge_i32_e64 v31, v53
	s_xor_b32 s13, exec_lo, s13
	s_cbranch_execnz .LBB50_86
; %bb.80:                               ;   in Loop: Header=BB50_12 Depth=3
	s_and_not1_saveexec_b32 s13, s13
	s_cbranch_execnz .LBB50_100
.LBB50_81:                              ;   in Loop: Header=BB50_12 Depth=3
	s_or_b32 exec_lo, exec_lo, s13
	s_delay_alu instid0(SALU_CYCLE_1)
	s_mov_b32 s13, exec_lo
	v_cmpx_eq_u32_e64 v19, v23
	s_cbranch_execz .LBB50_83
.LBB50_82:                              ;   in Loop: Header=BB50_12 Depth=3
	v_lshlrev_b64 v[9:10], 4, v[23:24]
	s_delay_alu instid0(VALU_DEP_1) | instskip(NEXT) | instid1(VALU_DEP_2)
	v_add_co_u32 v9, vcc_lo, s52, v9
	v_add_co_ci_u32_e32 v10, vcc_lo, s53, v10, vcc_lo
	global_load_b128 v[9:12], v[9:10], off
	s_waitcnt vmcnt(0)
	v_add_f64 v[25:26], v[25:26], v[9:10]
	v_add_f64 v[27:28], v[27:28], v[11:12]
.LBB50_83:                              ;   in Loop: Header=BB50_12 Depth=3
	s_or_b32 exec_lo, exec_lo, s13
	s_delay_alu instid0(VALU_DEP_2) | instskip(NEXT) | instid1(VALU_DEP_2)
	v_add_f64 v[5:6], v[5:6], -v[25:26]
	v_add_f64 v[11:12], v[7:8], -v[27:28]
                                        ; implicit-def: $vgpr9_vgpr10
	s_delay_alu instid0(VALU_DEP_2) | instskip(NEXT) | instid1(VALU_DEP_2)
	v_cmp_gt_f64_e32 vcc_lo, 0, v[5:6]
	v_cmp_gt_f64_e64 s13, 0, v[11:12]
	v_xor_b32_e32 v7, 0x80000000, v6
	v_xor_b32_e32 v8, 0x80000000, v12
	s_delay_alu instid0(VALU_DEP_2) | instskip(NEXT) | instid1(VALU_DEP_2)
	v_dual_cndmask_b32 v6, v6, v7 :: v_dual_cndmask_b32 v5, v5, v5
	v_cndmask_b32_e64 v8, v12, v8, s13
	v_cndmask_b32_e64 v7, v11, v11, s13
	s_mov_b32 s13, exec_lo
	s_delay_alu instid0(VALU_DEP_1)
	v_cmpx_ngt_f64_e32 v[5:6], v[7:8]
	s_xor_b32 s13, exec_lo, s13
	s_cbranch_execnz .LBB50_91
; %bb.84:                               ;   in Loop: Header=BB50_12 Depth=3
	s_and_not1_saveexec_b32 s13, s13
	s_cbranch_execnz .LBB50_94
.LBB50_85:                              ;   in Loop: Header=BB50_12 Depth=3
	s_or_b32 exec_lo, exec_lo, s13
	s_delay_alu instid0(VALU_DEP_1) | instskip(NEXT) | instid1(VALU_DEP_1)
	v_cmp_class_f64_e64 s76, v[9:10], 0x1f8
	s_and_saveexec_b32 s13, s76
	s_cbranch_execz .LBB50_10
	s_branch .LBB50_95
.LBB50_86:                              ;   in Loop: Header=BB50_12 Depth=3
	s_mov_b32 s76, exec_lo
	v_cmpx_lt_i32_e64 v17, v48
	s_cbranch_execz .LBB50_99
; %bb.87:                               ;   in Loop: Header=BB50_12 Depth=3
	s_mov_b32 s78, 0
                                        ; implicit-def: $sgpr77
                                        ; implicit-def: $sgpr80
                                        ; implicit-def: $sgpr79
	s_set_inst_prefetch_distance 0x1
	s_branch .LBB50_89
	.p2align	6
.LBB50_88:                              ;   in Loop: Header=BB50_89 Depth=4
	s_or_b32 exec_lo, exec_lo, s81
	s_delay_alu instid0(SALU_CYCLE_1) | instskip(NEXT) | instid1(SALU_CYCLE_1)
	s_and_b32 s81, exec_lo, s80
	s_or_b32 s78, s81, s78
	s_and_not1_b32 s77, s77, exec_lo
	s_and_b32 s81, s79, exec_lo
	s_delay_alu instid0(SALU_CYCLE_1)
	s_or_b32 s77, s77, s81
	s_and_not1_b32 exec_lo, exec_lo, s78
	s_cbranch_execz .LBB50_96
.LBB50_89:                              ;   Parent Loop BB50_3 Depth=1
                                        ;     Parent Loop BB50_7 Depth=2
                                        ;       Parent Loop BB50_12 Depth=3
                                        ; =>      This Inner Loop Header: Depth=4
	v_add_nc_u32_e32 v9, v22, v17
	s_or_b32 s79, s79, exec_lo
	s_or_b32 s80, s80, exec_lo
	s_mov_b32 s81, exec_lo
	s_delay_alu instid0(VALU_DEP_1) | instskip(NEXT) | instid1(VALU_DEP_1)
	v_ashrrev_i32_e32 v10, 31, v9
	v_lshlrev_b64 v[11:12], 2, v[9:10]
	s_delay_alu instid0(VALU_DEP_1) | instskip(NEXT) | instid1(VALU_DEP_2)
	v_add_co_u32 v11, vcc_lo, s28, v11
	v_add_co_ci_u32_e32 v12, vcc_lo, s29, v12, vcc_lo
	global_load_b32 v11, v[11:12], off
	s_waitcnt vmcnt(0)
	v_subrev_nc_u32_e32 v11, s66, v11
	s_delay_alu instid0(VALU_DEP_1)
	v_cmpx_ne_u32_e64 v11, v23
	s_cbranch_execz .LBB50_88
; %bb.90:                               ;   in Loop: Header=BB50_89 Depth=4
	v_add_nc_u32_e32 v17, 1, v17
	s_and_not1_b32 s80, s80, exec_lo
	s_and_not1_b32 s79, s79, exec_lo
	s_delay_alu instid0(VALU_DEP_1) | instskip(SKIP_1) | instid1(SALU_CYCLE_1)
	v_cmp_ge_i32_e32 vcc_lo, v17, v48
	s_and_b32 s82, vcc_lo, exec_lo
	s_or_b32 s80, s80, s82
	s_branch .LBB50_88
.LBB50_91:                              ;   in Loop: Header=BB50_12 Depth=3
	v_mov_b32_e32 v9, 0
	v_mov_b32_e32 v10, 0
	s_mov_b32 s76, exec_lo
	v_cmpx_neq_f64_e32 0, v[11:12]
	s_cbranch_execz .LBB50_93
; %bb.92:                               ;   in Loop: Header=BB50_12 Depth=3
	v_div_scale_f64 v[9:10], null, v[7:8], v[7:8], v[5:6]
	v_div_scale_f64 v[15:16], vcc_lo, v[5:6], v[7:8], v[5:6]
	s_delay_alu instid0(VALU_DEP_2) | instskip(SKIP_2) | instid1(VALU_DEP_1)
	v_rcp_f64_e32 v[11:12], v[9:10]
	s_waitcnt_depctr 0xfff
	v_fma_f64 v[13:14], -v[9:10], v[11:12], 1.0
	v_fma_f64 v[11:12], v[11:12], v[13:14], v[11:12]
	s_delay_alu instid0(VALU_DEP_1) | instskip(NEXT) | instid1(VALU_DEP_1)
	v_fma_f64 v[13:14], -v[9:10], v[11:12], 1.0
	v_fma_f64 v[11:12], v[11:12], v[13:14], v[11:12]
	s_delay_alu instid0(VALU_DEP_1) | instskip(NEXT) | instid1(VALU_DEP_1)
	v_mul_f64 v[13:14], v[15:16], v[11:12]
	v_fma_f64 v[9:10], -v[9:10], v[13:14], v[15:16]
	s_delay_alu instid0(VALU_DEP_1) | instskip(NEXT) | instid1(VALU_DEP_1)
	v_div_fmas_f64 v[9:10], v[9:10], v[11:12], v[13:14]
	v_div_fixup_f64 v[5:6], v[9:10], v[7:8], v[5:6]
	s_delay_alu instid0(VALU_DEP_1) | instskip(NEXT) | instid1(VALU_DEP_1)
	v_fma_f64 v[5:6], v[5:6], v[5:6], 1.0
	v_cmp_gt_f64_e32 vcc_lo, 0x10000000, v[5:6]
	v_cndmask_b32_e64 v9, 0, 1, vcc_lo
	s_delay_alu instid0(VALU_DEP_1) | instskip(NEXT) | instid1(VALU_DEP_1)
	v_lshlrev_b32_e32 v9, 8, v9
	v_ldexp_f64 v[5:6], v[5:6], v9
	s_delay_alu instid0(VALU_DEP_1) | instskip(SKIP_3) | instid1(VALU_DEP_1)
	v_rsq_f64_e32 v[9:10], v[5:6]
	s_waitcnt_depctr 0xfff
	v_mul_f64 v[11:12], v[5:6], v[9:10]
	v_mul_f64 v[9:10], v[9:10], 0.5
	v_fma_f64 v[13:14], -v[9:10], v[11:12], 0.5
	s_delay_alu instid0(VALU_DEP_1) | instskip(SKIP_1) | instid1(VALU_DEP_2)
	v_fma_f64 v[11:12], v[11:12], v[13:14], v[11:12]
	v_fma_f64 v[9:10], v[9:10], v[13:14], v[9:10]
	v_fma_f64 v[13:14], -v[11:12], v[11:12], v[5:6]
	s_delay_alu instid0(VALU_DEP_1) | instskip(NEXT) | instid1(VALU_DEP_1)
	v_fma_f64 v[11:12], v[13:14], v[9:10], v[11:12]
	v_fma_f64 v[13:14], -v[11:12], v[11:12], v[5:6]
	s_delay_alu instid0(VALU_DEP_1) | instskip(SKIP_2) | instid1(VALU_DEP_2)
	v_fma_f64 v[9:10], v[13:14], v[9:10], v[11:12]
	v_cndmask_b32_e64 v11, 0, 0xffffff80, vcc_lo
	v_cmp_class_f64_e64 vcc_lo, v[5:6], 0x260
	v_ldexp_f64 v[9:10], v[9:10], v11
	s_delay_alu instid0(VALU_DEP_1) | instskip(NEXT) | instid1(VALU_DEP_1)
	v_dual_cndmask_b32 v6, v10, v6 :: v_dual_cndmask_b32 v5, v9, v5
	v_mul_f64 v[9:10], v[7:8], v[5:6]
.LBB50_93:                              ;   in Loop: Header=BB50_12 Depth=3
	s_or_b32 exec_lo, exec_lo, s76
                                        ; implicit-def: $vgpr5_vgpr6
                                        ; implicit-def: $vgpr7_vgpr8
	s_and_not1_saveexec_b32 s13, s13
	s_cbranch_execz .LBB50_85
.LBB50_94:                              ;   in Loop: Header=BB50_12 Depth=3
	v_div_scale_f64 v[9:10], null, v[5:6], v[5:6], v[7:8]
	v_div_scale_f64 v[15:16], vcc_lo, v[7:8], v[5:6], v[7:8]
	s_delay_alu instid0(VALU_DEP_2) | instskip(SKIP_2) | instid1(VALU_DEP_1)
	v_rcp_f64_e32 v[11:12], v[9:10]
	s_waitcnt_depctr 0xfff
	v_fma_f64 v[13:14], -v[9:10], v[11:12], 1.0
	v_fma_f64 v[11:12], v[11:12], v[13:14], v[11:12]
	s_delay_alu instid0(VALU_DEP_1) | instskip(NEXT) | instid1(VALU_DEP_1)
	v_fma_f64 v[13:14], -v[9:10], v[11:12], 1.0
	v_fma_f64 v[11:12], v[11:12], v[13:14], v[11:12]
	s_delay_alu instid0(VALU_DEP_1) | instskip(NEXT) | instid1(VALU_DEP_1)
	v_mul_f64 v[13:14], v[15:16], v[11:12]
	v_fma_f64 v[9:10], -v[9:10], v[13:14], v[15:16]
	s_delay_alu instid0(VALU_DEP_1) | instskip(NEXT) | instid1(VALU_DEP_1)
	v_div_fmas_f64 v[9:10], v[9:10], v[11:12], v[13:14]
	v_div_fixup_f64 v[7:8], v[9:10], v[5:6], v[7:8]
	s_delay_alu instid0(VALU_DEP_1) | instskip(NEXT) | instid1(VALU_DEP_1)
	v_fma_f64 v[7:8], v[7:8], v[7:8], 1.0
	v_cmp_gt_f64_e32 vcc_lo, 0x10000000, v[7:8]
	v_cndmask_b32_e64 v9, 0, 1, vcc_lo
	s_delay_alu instid0(VALU_DEP_1) | instskip(NEXT) | instid1(VALU_DEP_1)
	v_lshlrev_b32_e32 v9, 8, v9
	v_ldexp_f64 v[7:8], v[7:8], v9
	s_delay_alu instid0(VALU_DEP_1) | instskip(SKIP_3) | instid1(VALU_DEP_1)
	v_rsq_f64_e32 v[9:10], v[7:8]
	s_waitcnt_depctr 0xfff
	v_mul_f64 v[11:12], v[7:8], v[9:10]
	v_mul_f64 v[9:10], v[9:10], 0.5
	v_fma_f64 v[13:14], -v[9:10], v[11:12], 0.5
	s_delay_alu instid0(VALU_DEP_1) | instskip(SKIP_1) | instid1(VALU_DEP_2)
	v_fma_f64 v[11:12], v[11:12], v[13:14], v[11:12]
	v_fma_f64 v[9:10], v[9:10], v[13:14], v[9:10]
	v_fma_f64 v[13:14], -v[11:12], v[11:12], v[7:8]
	s_delay_alu instid0(VALU_DEP_1) | instskip(NEXT) | instid1(VALU_DEP_1)
	v_fma_f64 v[11:12], v[13:14], v[9:10], v[11:12]
	v_fma_f64 v[13:14], -v[11:12], v[11:12], v[7:8]
	s_delay_alu instid0(VALU_DEP_1) | instskip(SKIP_2) | instid1(VALU_DEP_2)
	v_fma_f64 v[9:10], v[13:14], v[9:10], v[11:12]
	v_cndmask_b32_e64 v11, 0, 0xffffff80, vcc_lo
	v_cmp_class_f64_e64 vcc_lo, v[7:8], 0x260
	v_ldexp_f64 v[9:10], v[9:10], v11
	s_delay_alu instid0(VALU_DEP_1) | instskip(NEXT) | instid1(VALU_DEP_1)
	v_dual_cndmask_b32 v8, v10, v8 :: v_dual_cndmask_b32 v7, v9, v7
	v_mul_f64 v[9:10], v[5:6], v[7:8]
	s_or_b32 exec_lo, exec_lo, s13
	s_delay_alu instid0(VALU_DEP_1) | instskip(NEXT) | instid1(VALU_DEP_1)
	v_cmp_class_f64_e64 s76, v[9:10], 0x1f8
	s_and_saveexec_b32 s13, s76
	s_cbranch_execz .LBB50_10
.LBB50_95:                              ;   in Loop: Header=BB50_12 Depth=3
	v_cmp_lt_f64_e32 vcc_lo, v[1:2], v[9:10]
	v_dual_cndmask_b32 v2, v2, v10 :: v_dual_cndmask_b32 v1, v1, v9
	s_branch .LBB50_10
.LBB50_96:                              ;   in Loop: Header=BB50_12 Depth=3
	s_set_inst_prefetch_distance 0x2
	s_or_b32 exec_lo, exec_lo, s78
	s_and_saveexec_b32 s78, s77
	s_delay_alu instid0(SALU_CYCLE_1)
	s_xor_b32 s77, exec_lo, s78
	s_cbranch_execz .LBB50_98
; %bb.97:                               ;   in Loop: Header=BB50_12 Depth=3
	v_lshlrev_b64 v[11:12], 4, v[23:24]
	v_lshlrev_b64 v[9:10], 4, v[9:10]
	s_delay_alu instid0(VALU_DEP_2) | instskip(NEXT) | instid1(VALU_DEP_3)
	v_add_co_u32 v11, vcc_lo, s52, v11
	v_add_co_ci_u32_e32 v12, vcc_lo, s53, v12, vcc_lo
	s_delay_alu instid0(VALU_DEP_3) | instskip(NEXT) | instid1(VALU_DEP_4)
	v_add_co_u32 v13, vcc_lo, s30, v9
	v_add_co_ci_u32_e32 v14, vcc_lo, s31, v10, vcc_lo
	global_load_b128 v[9:12], v[11:12], off
	global_load_b128 v[13:16], v[13:14], off
	s_waitcnt vmcnt(0)
	v_mul_f64 v[29:30], v[11:12], -v[15:16]
	v_mul_f64 v[11:12], v[11:12], v[13:14]
	s_delay_alu instid0(VALU_DEP_2) | instskip(NEXT) | instid1(VALU_DEP_2)
	v_fma_f64 v[13:14], v[13:14], v[9:10], v[29:30]
	v_fma_f64 v[9:10], v[15:16], v[9:10], v[11:12]
	s_delay_alu instid0(VALU_DEP_2) | instskip(NEXT) | instid1(VALU_DEP_2)
	v_add_f64 v[25:26], v[25:26], v[13:14]
	v_add_f64 v[27:28], v[27:28], v[9:10]
.LBB50_98:                              ;   in Loop: Header=BB50_12 Depth=3
	s_or_b32 exec_lo, exec_lo, s77
.LBB50_99:                              ;   in Loop: Header=BB50_12 Depth=3
	s_delay_alu instid0(SALU_CYCLE_1)
	s_or_b32 exec_lo, exec_lo, s76
                                        ; implicit-def: $vgpr31
                                        ; implicit-def: $vgpr29
                                        ; implicit-def: $vgpr53
	s_and_not1_saveexec_b32 s13, s13
	s_cbranch_execz .LBB50_81
.LBB50_100:                             ;   in Loop: Header=BB50_12 Depth=3
	s_mov_b32 s77, 0
                                        ; implicit-def: $sgpr76
                                        ; implicit-def: $sgpr79
                                        ; implicit-def: $sgpr78
	s_set_inst_prefetch_distance 0x1
	s_branch .LBB50_102
	.p2align	6
.LBB50_101:                             ;   in Loop: Header=BB50_102 Depth=4
	s_or_b32 exec_lo, exec_lo, s80
	s_delay_alu instid0(SALU_CYCLE_1) | instskip(NEXT) | instid1(SALU_CYCLE_1)
	s_and_b32 s80, exec_lo, s79
	s_or_b32 s77, s80, s77
	s_and_not1_b32 s76, s76, exec_lo
	s_and_b32 s80, s78, exec_lo
	s_delay_alu instid0(SALU_CYCLE_1)
	s_or_b32 s76, s76, s80
	s_and_not1_b32 exec_lo, exec_lo, s77
	s_cbranch_execz .LBB50_104
.LBB50_102:                             ;   Parent Loop BB50_3 Depth=1
                                        ;     Parent Loop BB50_7 Depth=2
                                        ;       Parent Loop BB50_12 Depth=3
                                        ; =>      This Inner Loop Header: Depth=4
	v_add_nc_u32_e32 v9, v29, v31
	s_or_b32 s78, s78, exec_lo
	s_or_b32 s79, s79, exec_lo
	s_mov_b32 s80, exec_lo
	s_delay_alu instid0(VALU_DEP_1) | instskip(NEXT) | instid1(VALU_DEP_1)
	v_ashrrev_i32_e32 v10, 31, v9
	v_lshlrev_b64 v[11:12], 2, v[9:10]
	s_delay_alu instid0(VALU_DEP_1) | instskip(NEXT) | instid1(VALU_DEP_2)
	v_add_co_u32 v11, vcc_lo, s20, v11
	v_add_co_ci_u32_e32 v12, vcc_lo, s21, v12, vcc_lo
	global_load_b32 v11, v[11:12], off
	s_waitcnt vmcnt(0)
	v_subrev_nc_u32_e32 v11, s67, v11
	s_delay_alu instid0(VALU_DEP_1)
	v_cmpx_ne_u32_e64 v11, v19
	s_cbranch_execz .LBB50_101
; %bb.103:                              ;   in Loop: Header=BB50_102 Depth=4
	v_add_nc_u32_e32 v31, 1, v31
	s_and_not1_b32 s79, s79, exec_lo
	s_and_not1_b32 s78, s78, exec_lo
	s_delay_alu instid0(VALU_DEP_1) | instskip(SKIP_1) | instid1(SALU_CYCLE_1)
	v_cmp_ge_i32_e32 vcc_lo, v31, v53
	s_and_b32 s81, vcc_lo, exec_lo
	s_or_b32 s79, s79, s81
	s_branch .LBB50_101
.LBB50_104:                             ;   in Loop: Header=BB50_12 Depth=3
	s_set_inst_prefetch_distance 0x2
	s_or_b32 exec_lo, exec_lo, s77
	s_and_saveexec_b32 s77, s76
	s_delay_alu instid0(SALU_CYCLE_1)
	s_xor_b32 s76, exec_lo, s77
	s_cbranch_execz .LBB50_106
; %bb.105:                              ;   in Loop: Header=BB50_12 Depth=3
	v_lshlrev_b64 v[9:10], 4, v[9:10]
	s_delay_alu instid0(VALU_DEP_1) | instskip(NEXT) | instid1(VALU_DEP_2)
	v_add_co_u32 v9, vcc_lo, s22, v9
	v_add_co_ci_u32_e32 v10, vcc_lo, s23, v10, vcc_lo
	global_load_b128 v[9:12], v[9:10], off
	s_waitcnt vmcnt(0)
	v_add_f64 v[25:26], v[25:26], v[9:10]
	v_add_f64 v[27:28], v[27:28], v[11:12]
.LBB50_106:                             ;   in Loop: Header=BB50_12 Depth=3
	s_or_b32 exec_lo, exec_lo, s76
	s_delay_alu instid0(SALU_CYCLE_1) | instskip(NEXT) | instid1(SALU_CYCLE_1)
	s_or_b32 exec_lo, exec_lo, s13
	s_mov_b32 s13, exec_lo
	v_cmpx_eq_u32_e64 v19, v23
	s_cbranch_execnz .LBB50_82
	s_branch .LBB50_83
.LBB50_107:                             ;   in Loop: Header=BB50_12 Depth=3
	v_mov_b32_e32 v13, 0
	v_mov_b32_e32 v14, 0
	s_mov_b32 s79, exec_lo
	v_cmpx_neq_f64_e32 0, v[15:16]
	s_cbranch_execz .LBB50_109
; %bb.108:                              ;   in Loop: Header=BB50_12 Depth=3
	v_div_scale_f64 v[13:14], null, v[11:12], v[11:12], v[9:10]
	v_div_scale_f64 v[34:35], vcc_lo, v[9:10], v[11:12], v[9:10]
	s_delay_alu instid0(VALU_DEP_2) | instskip(SKIP_2) | instid1(VALU_DEP_1)
	v_rcp_f64_e32 v[15:16], v[13:14]
	s_waitcnt_depctr 0xfff
	v_fma_f64 v[32:33], -v[13:14], v[15:16], 1.0
	v_fma_f64 v[15:16], v[15:16], v[32:33], v[15:16]
	s_delay_alu instid0(VALU_DEP_1) | instskip(NEXT) | instid1(VALU_DEP_1)
	v_fma_f64 v[32:33], -v[13:14], v[15:16], 1.0
	v_fma_f64 v[15:16], v[15:16], v[32:33], v[15:16]
	s_delay_alu instid0(VALU_DEP_1) | instskip(NEXT) | instid1(VALU_DEP_1)
	v_mul_f64 v[32:33], v[34:35], v[15:16]
	v_fma_f64 v[13:14], -v[13:14], v[32:33], v[34:35]
	s_delay_alu instid0(VALU_DEP_1) | instskip(NEXT) | instid1(VALU_DEP_1)
	v_div_fmas_f64 v[13:14], v[13:14], v[15:16], v[32:33]
	v_div_fixup_f64 v[9:10], v[13:14], v[11:12], v[9:10]
	s_delay_alu instid0(VALU_DEP_1) | instskip(NEXT) | instid1(VALU_DEP_1)
	v_fma_f64 v[9:10], v[9:10], v[9:10], 1.0
	v_cmp_gt_f64_e32 vcc_lo, 0x10000000, v[9:10]
	v_cndmask_b32_e64 v13, 0, 1, vcc_lo
	s_delay_alu instid0(VALU_DEP_1) | instskip(NEXT) | instid1(VALU_DEP_1)
	v_lshlrev_b32_e32 v13, 8, v13
	v_ldexp_f64 v[9:10], v[9:10], v13
	s_delay_alu instid0(VALU_DEP_1) | instskip(SKIP_3) | instid1(VALU_DEP_1)
	v_rsq_f64_e32 v[13:14], v[9:10]
	s_waitcnt_depctr 0xfff
	v_mul_f64 v[15:16], v[9:10], v[13:14]
	v_mul_f64 v[13:14], v[13:14], 0.5
	v_fma_f64 v[32:33], -v[13:14], v[15:16], 0.5
	s_delay_alu instid0(VALU_DEP_1) | instskip(SKIP_1) | instid1(VALU_DEP_2)
	v_fma_f64 v[15:16], v[15:16], v[32:33], v[15:16]
	v_fma_f64 v[13:14], v[13:14], v[32:33], v[13:14]
	v_fma_f64 v[32:33], -v[15:16], v[15:16], v[9:10]
	s_delay_alu instid0(VALU_DEP_1) | instskip(NEXT) | instid1(VALU_DEP_1)
	v_fma_f64 v[15:16], v[32:33], v[13:14], v[15:16]
	v_fma_f64 v[32:33], -v[15:16], v[15:16], v[9:10]
	s_delay_alu instid0(VALU_DEP_1) | instskip(SKIP_2) | instid1(VALU_DEP_2)
	v_fma_f64 v[13:14], v[32:33], v[13:14], v[15:16]
	v_cndmask_b32_e64 v15, 0, 0xffffff80, vcc_lo
	v_cmp_class_f64_e64 vcc_lo, v[9:10], 0x260
	v_ldexp_f64 v[13:14], v[13:14], v15
	s_delay_alu instid0(VALU_DEP_1) | instskip(NEXT) | instid1(VALU_DEP_1)
	v_dual_cndmask_b32 v10, v14, v10 :: v_dual_cndmask_b32 v9, v13, v9
	v_mul_f64 v[13:14], v[11:12], v[9:10]
.LBB50_109:                             ;   in Loop: Header=BB50_12 Depth=3
	s_or_b32 exec_lo, exec_lo, s79
                                        ; implicit-def: $vgpr9_vgpr10
                                        ; implicit-def: $vgpr11_vgpr12
	s_and_not1_saveexec_b32 s13, s13
	s_cbranch_execz .LBB50_43
.LBB50_110:                             ;   in Loop: Header=BB50_12 Depth=3
	v_div_scale_f64 v[13:14], null, v[9:10], v[9:10], v[11:12]
	v_div_scale_f64 v[34:35], vcc_lo, v[11:12], v[9:10], v[11:12]
	s_delay_alu instid0(VALU_DEP_2) | instskip(SKIP_2) | instid1(VALU_DEP_1)
	v_rcp_f64_e32 v[15:16], v[13:14]
	s_waitcnt_depctr 0xfff
	v_fma_f64 v[32:33], -v[13:14], v[15:16], 1.0
	v_fma_f64 v[15:16], v[15:16], v[32:33], v[15:16]
	s_delay_alu instid0(VALU_DEP_1) | instskip(NEXT) | instid1(VALU_DEP_1)
	v_fma_f64 v[32:33], -v[13:14], v[15:16], 1.0
	v_fma_f64 v[15:16], v[15:16], v[32:33], v[15:16]
	s_delay_alu instid0(VALU_DEP_1) | instskip(NEXT) | instid1(VALU_DEP_1)
	v_mul_f64 v[32:33], v[34:35], v[15:16]
	v_fma_f64 v[13:14], -v[13:14], v[32:33], v[34:35]
	s_delay_alu instid0(VALU_DEP_1) | instskip(NEXT) | instid1(VALU_DEP_1)
	v_div_fmas_f64 v[13:14], v[13:14], v[15:16], v[32:33]
	v_div_fixup_f64 v[11:12], v[13:14], v[9:10], v[11:12]
	s_delay_alu instid0(VALU_DEP_1) | instskip(NEXT) | instid1(VALU_DEP_1)
	v_fma_f64 v[11:12], v[11:12], v[11:12], 1.0
	v_cmp_gt_f64_e32 vcc_lo, 0x10000000, v[11:12]
	v_cndmask_b32_e64 v13, 0, 1, vcc_lo
	s_delay_alu instid0(VALU_DEP_1) | instskip(NEXT) | instid1(VALU_DEP_1)
	v_lshlrev_b32_e32 v13, 8, v13
	v_ldexp_f64 v[11:12], v[11:12], v13
	s_delay_alu instid0(VALU_DEP_1) | instskip(SKIP_3) | instid1(VALU_DEP_1)
	v_rsq_f64_e32 v[13:14], v[11:12]
	s_waitcnt_depctr 0xfff
	v_mul_f64 v[15:16], v[11:12], v[13:14]
	v_mul_f64 v[13:14], v[13:14], 0.5
	v_fma_f64 v[32:33], -v[13:14], v[15:16], 0.5
	s_delay_alu instid0(VALU_DEP_1) | instskip(SKIP_1) | instid1(VALU_DEP_2)
	v_fma_f64 v[15:16], v[15:16], v[32:33], v[15:16]
	v_fma_f64 v[13:14], v[13:14], v[32:33], v[13:14]
	v_fma_f64 v[32:33], -v[15:16], v[15:16], v[11:12]
	s_delay_alu instid0(VALU_DEP_1) | instskip(NEXT) | instid1(VALU_DEP_1)
	v_fma_f64 v[15:16], v[32:33], v[13:14], v[15:16]
	v_fma_f64 v[32:33], -v[15:16], v[15:16], v[11:12]
	s_delay_alu instid0(VALU_DEP_1) | instskip(SKIP_2) | instid1(VALU_DEP_2)
	v_fma_f64 v[13:14], v[32:33], v[13:14], v[15:16]
	v_cndmask_b32_e64 v15, 0, 0xffffff80, vcc_lo
	v_cmp_class_f64_e64 vcc_lo, v[11:12], 0x260
	v_ldexp_f64 v[13:14], v[13:14], v15
	s_delay_alu instid0(VALU_DEP_1) | instskip(NEXT) | instid1(VALU_DEP_1)
	v_dual_cndmask_b32 v12, v14, v12 :: v_dual_cndmask_b32 v11, v13, v11
	v_mul_f64 v[13:14], v[9:10], v[11:12]
	s_or_b32 exec_lo, exec_lo, s13
	s_delay_alu instid0(VALU_DEP_1) | instskip(NEXT) | instid1(VALU_DEP_1)
	v_cmp_class_f64_e64 s79, v[13:14], 0x1f8
	s_and_saveexec_b32 s13, s79
	s_cbranch_execnz .LBB50_44
	s_branch .LBB50_45
.LBB50_111:                             ;   in Loop: Header=BB50_12 Depth=3
	v_mov_b32_e32 v13, 0
	v_mov_b32_e32 v14, 0
	s_mov_b32 s80, exec_lo
	v_cmpx_neq_f64_e32 0, v[15:16]
	s_cbranch_execz .LBB50_113
; %bb.112:                              ;   in Loop: Header=BB50_12 Depth=3
	v_div_scale_f64 v[13:14], null, v[11:12], v[11:12], v[9:10]
	v_div_scale_f64 v[34:35], vcc_lo, v[9:10], v[11:12], v[9:10]
	s_delay_alu instid0(VALU_DEP_2) | instskip(SKIP_2) | instid1(VALU_DEP_1)
	v_rcp_f64_e32 v[15:16], v[13:14]
	s_waitcnt_depctr 0xfff
	v_fma_f64 v[32:33], -v[13:14], v[15:16], 1.0
	v_fma_f64 v[15:16], v[15:16], v[32:33], v[15:16]
	s_delay_alu instid0(VALU_DEP_1) | instskip(NEXT) | instid1(VALU_DEP_1)
	v_fma_f64 v[32:33], -v[13:14], v[15:16], 1.0
	v_fma_f64 v[15:16], v[15:16], v[32:33], v[15:16]
	s_delay_alu instid0(VALU_DEP_1) | instskip(NEXT) | instid1(VALU_DEP_1)
	v_mul_f64 v[32:33], v[34:35], v[15:16]
	v_fma_f64 v[13:14], -v[13:14], v[32:33], v[34:35]
	s_delay_alu instid0(VALU_DEP_1) | instskip(NEXT) | instid1(VALU_DEP_1)
	v_div_fmas_f64 v[13:14], v[13:14], v[15:16], v[32:33]
	v_div_fixup_f64 v[9:10], v[13:14], v[11:12], v[9:10]
	s_delay_alu instid0(VALU_DEP_1) | instskip(NEXT) | instid1(VALU_DEP_1)
	v_fma_f64 v[9:10], v[9:10], v[9:10], 1.0
	v_cmp_gt_f64_e32 vcc_lo, 0x10000000, v[9:10]
	v_cndmask_b32_e64 v13, 0, 1, vcc_lo
	s_delay_alu instid0(VALU_DEP_1) | instskip(NEXT) | instid1(VALU_DEP_1)
	v_lshlrev_b32_e32 v13, 8, v13
	v_ldexp_f64 v[9:10], v[9:10], v13
	s_delay_alu instid0(VALU_DEP_1) | instskip(SKIP_3) | instid1(VALU_DEP_1)
	v_rsq_f64_e32 v[13:14], v[9:10]
	s_waitcnt_depctr 0xfff
	v_mul_f64 v[15:16], v[9:10], v[13:14]
	v_mul_f64 v[13:14], v[13:14], 0.5
	v_fma_f64 v[32:33], -v[13:14], v[15:16], 0.5
	s_delay_alu instid0(VALU_DEP_1) | instskip(SKIP_1) | instid1(VALU_DEP_2)
	v_fma_f64 v[15:16], v[15:16], v[32:33], v[15:16]
	v_fma_f64 v[13:14], v[13:14], v[32:33], v[13:14]
	v_fma_f64 v[32:33], -v[15:16], v[15:16], v[9:10]
	s_delay_alu instid0(VALU_DEP_1) | instskip(NEXT) | instid1(VALU_DEP_1)
	v_fma_f64 v[15:16], v[32:33], v[13:14], v[15:16]
	v_fma_f64 v[32:33], -v[15:16], v[15:16], v[9:10]
	s_delay_alu instid0(VALU_DEP_1) | instskip(SKIP_2) | instid1(VALU_DEP_2)
	v_fma_f64 v[13:14], v[32:33], v[13:14], v[15:16]
	v_cndmask_b32_e64 v15, 0, 0xffffff80, vcc_lo
	v_cmp_class_f64_e64 vcc_lo, v[9:10], 0x260
	v_ldexp_f64 v[13:14], v[13:14], v15
	s_delay_alu instid0(VALU_DEP_1) | instskip(NEXT) | instid1(VALU_DEP_1)
	v_dual_cndmask_b32 v10, v14, v10 :: v_dual_cndmask_b32 v9, v13, v9
	v_mul_f64 v[13:14], v[11:12], v[9:10]
.LBB50_113:                             ;   in Loop: Header=BB50_12 Depth=3
	s_or_b32 exec_lo, exec_lo, s80
                                        ; implicit-def: $vgpr9_vgpr10
                                        ; implicit-def: $vgpr11_vgpr12
	s_and_not1_saveexec_b32 s13, s13
	s_cbranch_execz .LBB50_73
.LBB50_114:                             ;   in Loop: Header=BB50_12 Depth=3
	v_div_scale_f64 v[13:14], null, v[9:10], v[9:10], v[11:12]
	v_div_scale_f64 v[34:35], vcc_lo, v[11:12], v[9:10], v[11:12]
	s_delay_alu instid0(VALU_DEP_2) | instskip(SKIP_2) | instid1(VALU_DEP_1)
	v_rcp_f64_e32 v[15:16], v[13:14]
	s_waitcnt_depctr 0xfff
	v_fma_f64 v[32:33], -v[13:14], v[15:16], 1.0
	v_fma_f64 v[15:16], v[15:16], v[32:33], v[15:16]
	s_delay_alu instid0(VALU_DEP_1) | instskip(NEXT) | instid1(VALU_DEP_1)
	v_fma_f64 v[32:33], -v[13:14], v[15:16], 1.0
	v_fma_f64 v[15:16], v[15:16], v[32:33], v[15:16]
	s_delay_alu instid0(VALU_DEP_1) | instskip(NEXT) | instid1(VALU_DEP_1)
	v_mul_f64 v[32:33], v[34:35], v[15:16]
	v_fma_f64 v[13:14], -v[13:14], v[32:33], v[34:35]
	s_delay_alu instid0(VALU_DEP_1) | instskip(NEXT) | instid1(VALU_DEP_1)
	v_div_fmas_f64 v[13:14], v[13:14], v[15:16], v[32:33]
	v_div_fixup_f64 v[11:12], v[13:14], v[9:10], v[11:12]
	s_delay_alu instid0(VALU_DEP_1) | instskip(NEXT) | instid1(VALU_DEP_1)
	v_fma_f64 v[11:12], v[11:12], v[11:12], 1.0
	v_cmp_gt_f64_e32 vcc_lo, 0x10000000, v[11:12]
	v_cndmask_b32_e64 v13, 0, 1, vcc_lo
	s_delay_alu instid0(VALU_DEP_1) | instskip(NEXT) | instid1(VALU_DEP_1)
	v_lshlrev_b32_e32 v13, 8, v13
	v_ldexp_f64 v[11:12], v[11:12], v13
	s_delay_alu instid0(VALU_DEP_1) | instskip(SKIP_3) | instid1(VALU_DEP_1)
	v_rsq_f64_e32 v[13:14], v[11:12]
	s_waitcnt_depctr 0xfff
	v_mul_f64 v[15:16], v[11:12], v[13:14]
	v_mul_f64 v[13:14], v[13:14], 0.5
	v_fma_f64 v[32:33], -v[13:14], v[15:16], 0.5
	s_delay_alu instid0(VALU_DEP_1) | instskip(SKIP_1) | instid1(VALU_DEP_2)
	v_fma_f64 v[15:16], v[15:16], v[32:33], v[15:16]
	v_fma_f64 v[13:14], v[13:14], v[32:33], v[13:14]
	v_fma_f64 v[32:33], -v[15:16], v[15:16], v[11:12]
	s_delay_alu instid0(VALU_DEP_1) | instskip(NEXT) | instid1(VALU_DEP_1)
	v_fma_f64 v[15:16], v[32:33], v[13:14], v[15:16]
	v_fma_f64 v[32:33], -v[15:16], v[15:16], v[11:12]
	s_delay_alu instid0(VALU_DEP_1) | instskip(SKIP_2) | instid1(VALU_DEP_2)
	v_fma_f64 v[13:14], v[32:33], v[13:14], v[15:16]
	v_cndmask_b32_e64 v15, 0, 0xffffff80, vcc_lo
	v_cmp_class_f64_e64 vcc_lo, v[11:12], 0x260
	v_ldexp_f64 v[13:14], v[13:14], v15
	s_delay_alu instid0(VALU_DEP_1) | instskip(NEXT) | instid1(VALU_DEP_1)
	v_dual_cndmask_b32 v12, v14, v12 :: v_dual_cndmask_b32 v11, v13, v11
	v_mul_f64 v[13:14], v[9:10], v[11:12]
	s_or_b32 exec_lo, exec_lo, s13
	s_delay_alu instid0(VALU_DEP_1) | instskip(NEXT) | instid1(VALU_DEP_1)
	v_cmp_class_f64_e64 s80, v[13:14], 0x1f8
	s_and_saveexec_b32 s13, s80
	s_cbranch_execnz .LBB50_74
	s_branch .LBB50_75
.LBB50_115:                             ;   in Loop: Header=BB50_12 Depth=3
	v_mov_b32_e32 v13, 0
	v_mov_b32_e32 v14, 0
	s_mov_b32 s81, exec_lo
	v_cmpx_neq_f64_e32 0, v[15:16]
	s_cbranch_execz .LBB50_117
; %bb.116:                              ;   in Loop: Header=BB50_12 Depth=3
	v_div_scale_f64 v[13:14], null, v[11:12], v[11:12], v[9:10]
	v_div_scale_f64 v[34:35], vcc_lo, v[9:10], v[11:12], v[9:10]
	s_delay_alu instid0(VALU_DEP_2) | instskip(SKIP_2) | instid1(VALU_DEP_1)
	v_rcp_f64_e32 v[15:16], v[13:14]
	s_waitcnt_depctr 0xfff
	v_fma_f64 v[32:33], -v[13:14], v[15:16], 1.0
	v_fma_f64 v[15:16], v[15:16], v[32:33], v[15:16]
	s_delay_alu instid0(VALU_DEP_1) | instskip(NEXT) | instid1(VALU_DEP_1)
	v_fma_f64 v[32:33], -v[13:14], v[15:16], 1.0
	v_fma_f64 v[15:16], v[15:16], v[32:33], v[15:16]
	s_delay_alu instid0(VALU_DEP_1) | instskip(NEXT) | instid1(VALU_DEP_1)
	v_mul_f64 v[32:33], v[34:35], v[15:16]
	v_fma_f64 v[13:14], -v[13:14], v[32:33], v[34:35]
	s_delay_alu instid0(VALU_DEP_1) | instskip(NEXT) | instid1(VALU_DEP_1)
	v_div_fmas_f64 v[13:14], v[13:14], v[15:16], v[32:33]
	v_div_fixup_f64 v[9:10], v[13:14], v[11:12], v[9:10]
	s_delay_alu instid0(VALU_DEP_1) | instskip(NEXT) | instid1(VALU_DEP_1)
	v_fma_f64 v[9:10], v[9:10], v[9:10], 1.0
	v_cmp_gt_f64_e32 vcc_lo, 0x10000000, v[9:10]
	v_cndmask_b32_e64 v13, 0, 1, vcc_lo
	s_delay_alu instid0(VALU_DEP_1) | instskip(NEXT) | instid1(VALU_DEP_1)
	v_lshlrev_b32_e32 v13, 8, v13
	v_ldexp_f64 v[9:10], v[9:10], v13
	s_delay_alu instid0(VALU_DEP_1) | instskip(SKIP_3) | instid1(VALU_DEP_1)
	v_rsq_f64_e32 v[13:14], v[9:10]
	s_waitcnt_depctr 0xfff
	v_mul_f64 v[15:16], v[9:10], v[13:14]
	v_mul_f64 v[13:14], v[13:14], 0.5
	v_fma_f64 v[32:33], -v[13:14], v[15:16], 0.5
	s_delay_alu instid0(VALU_DEP_1) | instskip(SKIP_1) | instid1(VALU_DEP_2)
	v_fma_f64 v[15:16], v[15:16], v[32:33], v[15:16]
	v_fma_f64 v[13:14], v[13:14], v[32:33], v[13:14]
	v_fma_f64 v[32:33], -v[15:16], v[15:16], v[9:10]
	s_delay_alu instid0(VALU_DEP_1) | instskip(NEXT) | instid1(VALU_DEP_1)
	v_fma_f64 v[15:16], v[32:33], v[13:14], v[15:16]
	v_fma_f64 v[32:33], -v[15:16], v[15:16], v[9:10]
	s_delay_alu instid0(VALU_DEP_1) | instskip(SKIP_2) | instid1(VALU_DEP_2)
	v_fma_f64 v[13:14], v[32:33], v[13:14], v[15:16]
	v_cndmask_b32_e64 v15, 0, 0xffffff80, vcc_lo
	v_cmp_class_f64_e64 vcc_lo, v[9:10], 0x260
	v_ldexp_f64 v[13:14], v[13:14], v15
	s_delay_alu instid0(VALU_DEP_1) | instskip(NEXT) | instid1(VALU_DEP_1)
	v_dual_cndmask_b32 v10, v14, v10 :: v_dual_cndmask_b32 v9, v13, v9
	v_mul_f64 v[13:14], v[11:12], v[9:10]
.LBB50_117:                             ;   in Loop: Header=BB50_12 Depth=3
	s_or_b32 exec_lo, exec_lo, s81
                                        ; implicit-def: $vgpr9_vgpr10
                                        ; implicit-def: $vgpr11_vgpr12
	s_and_not1_saveexec_b32 s13, s13
	s_cbranch_execz .LBB50_57
.LBB50_118:                             ;   in Loop: Header=BB50_12 Depth=3
	v_div_scale_f64 v[13:14], null, v[9:10], v[9:10], v[11:12]
	v_div_scale_f64 v[34:35], vcc_lo, v[11:12], v[9:10], v[11:12]
	s_delay_alu instid0(VALU_DEP_2) | instskip(SKIP_2) | instid1(VALU_DEP_1)
	v_rcp_f64_e32 v[15:16], v[13:14]
	s_waitcnt_depctr 0xfff
	v_fma_f64 v[32:33], -v[13:14], v[15:16], 1.0
	v_fma_f64 v[15:16], v[15:16], v[32:33], v[15:16]
	s_delay_alu instid0(VALU_DEP_1) | instskip(NEXT) | instid1(VALU_DEP_1)
	v_fma_f64 v[32:33], -v[13:14], v[15:16], 1.0
	v_fma_f64 v[15:16], v[15:16], v[32:33], v[15:16]
	s_delay_alu instid0(VALU_DEP_1) | instskip(NEXT) | instid1(VALU_DEP_1)
	v_mul_f64 v[32:33], v[34:35], v[15:16]
	v_fma_f64 v[13:14], -v[13:14], v[32:33], v[34:35]
	s_delay_alu instid0(VALU_DEP_1) | instskip(NEXT) | instid1(VALU_DEP_1)
	v_div_fmas_f64 v[13:14], v[13:14], v[15:16], v[32:33]
	v_div_fixup_f64 v[11:12], v[13:14], v[9:10], v[11:12]
	s_delay_alu instid0(VALU_DEP_1) | instskip(NEXT) | instid1(VALU_DEP_1)
	v_fma_f64 v[11:12], v[11:12], v[11:12], 1.0
	v_cmp_gt_f64_e32 vcc_lo, 0x10000000, v[11:12]
	v_cndmask_b32_e64 v13, 0, 1, vcc_lo
	s_delay_alu instid0(VALU_DEP_1) | instskip(NEXT) | instid1(VALU_DEP_1)
	v_lshlrev_b32_e32 v13, 8, v13
	v_ldexp_f64 v[11:12], v[11:12], v13
	s_delay_alu instid0(VALU_DEP_1) | instskip(SKIP_3) | instid1(VALU_DEP_1)
	v_rsq_f64_e32 v[13:14], v[11:12]
	s_waitcnt_depctr 0xfff
	v_mul_f64 v[15:16], v[11:12], v[13:14]
	v_mul_f64 v[13:14], v[13:14], 0.5
	v_fma_f64 v[32:33], -v[13:14], v[15:16], 0.5
	s_delay_alu instid0(VALU_DEP_1) | instskip(SKIP_1) | instid1(VALU_DEP_2)
	v_fma_f64 v[15:16], v[15:16], v[32:33], v[15:16]
	v_fma_f64 v[13:14], v[13:14], v[32:33], v[13:14]
	v_fma_f64 v[32:33], -v[15:16], v[15:16], v[11:12]
	s_delay_alu instid0(VALU_DEP_1) | instskip(NEXT) | instid1(VALU_DEP_1)
	v_fma_f64 v[15:16], v[32:33], v[13:14], v[15:16]
	v_fma_f64 v[32:33], -v[15:16], v[15:16], v[11:12]
	s_delay_alu instid0(VALU_DEP_1) | instskip(SKIP_2) | instid1(VALU_DEP_2)
	v_fma_f64 v[13:14], v[32:33], v[13:14], v[15:16]
	v_cndmask_b32_e64 v15, 0, 0xffffff80, vcc_lo
	v_cmp_class_f64_e64 vcc_lo, v[11:12], 0x260
	v_ldexp_f64 v[13:14], v[13:14], v15
	s_delay_alu instid0(VALU_DEP_1) | instskip(NEXT) | instid1(VALU_DEP_1)
	v_dual_cndmask_b32 v12, v14, v12 :: v_dual_cndmask_b32 v11, v13, v11
	v_mul_f64 v[13:14], v[9:10], v[11:12]
	s_or_b32 exec_lo, exec_lo, s13
	s_delay_alu instid0(VALU_DEP_1) | instskip(NEXT) | instid1(VALU_DEP_1)
	v_cmp_class_f64_e64 s81, v[13:14], 0x1f8
	s_and_saveexec_b32 s13, s81
	s_cbranch_execnz .LBB50_58
	s_branch .LBB50_59
.LBB50_119:                             ;   in Loop: Header=BB50_3 Depth=1
	v_xor_b32_e32 v7, 1, v41
	s_and_b32 vcc_lo, exec_lo, s62
	s_cbranch_vccnz .LBB50_122
; %bb.120:                              ;   in Loop: Header=BB50_3 Depth=1
	s_and_not1_b32 vcc_lo, exec_lo, s33
	s_cbranch_vccz .LBB50_143
.LBB50_121:                             ;   in Loop: Header=BB50_3 Depth=1
	s_and_saveexec_b32 s13, s7
	s_cbranch_execnz .LBB50_164
	s_branch .LBB50_175
.LBB50_122:                             ;   in Loop: Header=BB50_3 Depth=1
	s_delay_alu instid0(VALU_DEP_1) | instskip(SKIP_1) | instid1(VALU_DEP_1)
	v_cmp_gt_i32_e32 vcc_lo, 32, v7
	v_cndmask_b32_e32 v5, v41, v7, vcc_lo
	v_lshlrev_b32_e32 v6, 2, v5
	ds_bpermute_b32 v5, v6, v3
	ds_bpermute_b32 v6, v6, v4
	s_and_saveexec_b32 s12, s1
	s_cbranch_execz .LBB50_124
; %bb.123:                              ;   in Loop: Header=BB50_3 Depth=1
	s_waitcnt lgkmcnt(0)
	v_cmp_lt_f64_e32 vcc_lo, v[3:4], v[5:6]
	v_dual_cndmask_b32 v4, v4, v6 :: v_dual_cndmask_b32 v3, v3, v5
	ds_store_b64 v43, v[3:4]
.LBB50_124:                             ;   in Loop: Header=BB50_3 Depth=1
	s_or_b32 exec_lo, exec_lo, s12
	s_waitcnt lgkmcnt(0)
	s_waitcnt_vscnt null, 0x0
	s_barrier
	buffer_gl0_inv
	s_and_saveexec_b32 s12, s2
	s_cbranch_execz .LBB50_126
; %bb.125:                              ;   in Loop: Header=BB50_3 Depth=1
	ds_load_2addr_stride64_b64 v[3:6], v40 offset1:4
	s_waitcnt lgkmcnt(0)
	v_cmp_lt_f64_e32 vcc_lo, v[3:4], v[5:6]
	v_dual_cndmask_b32 v4, v4, v6 :: v_dual_cndmask_b32 v3, v3, v5
	ds_store_b64 v40, v[3:4]
.LBB50_126:                             ;   in Loop: Header=BB50_3 Depth=1
	s_or_b32 exec_lo, exec_lo, s12
	s_waitcnt lgkmcnt(0)
	s_barrier
	buffer_gl0_inv
	s_and_saveexec_b32 s12, s3
	s_cbranch_execz .LBB50_128
; %bb.127:                              ;   in Loop: Header=BB50_3 Depth=1
	ds_load_2addr_stride64_b64 v[3:6], v40 offset1:2
	s_waitcnt lgkmcnt(0)
	v_cmp_lt_f64_e32 vcc_lo, v[3:4], v[5:6]
	v_dual_cndmask_b32 v4, v4, v6 :: v_dual_cndmask_b32 v3, v3, v5
	ds_store_b64 v40, v[3:4]
.LBB50_128:                             ;   in Loop: Header=BB50_3 Depth=1
	s_or_b32 exec_lo, exec_lo, s12
	s_waitcnt lgkmcnt(0)
	;; [unrolled: 13-line block ×3, first 2 shown]
	s_barrier
	buffer_gl0_inv
	s_and_saveexec_b32 s12, s5
	s_cbranch_execz .LBB50_132
; %bb.131:                              ;   in Loop: Header=BB50_3 Depth=1
	ds_load_2addr_b64 v[3:6], v40 offset1:32
	s_waitcnt lgkmcnt(0)
	v_cmp_lt_f64_e32 vcc_lo, v[3:4], v[5:6]
	v_dual_cndmask_b32 v4, v4, v6 :: v_dual_cndmask_b32 v3, v3, v5
	ds_store_b64 v40, v[3:4]
.LBB50_132:                             ;   in Loop: Header=BB50_3 Depth=1
	s_or_b32 exec_lo, exec_lo, s12
	s_waitcnt lgkmcnt(0)
	s_barrier
	buffer_gl0_inv
	s_and_saveexec_b32 s12, s6
	s_cbranch_execz .LBB50_134
; %bb.133:                              ;   in Loop: Header=BB50_3 Depth=1
	ds_load_2addr_b64 v[3:6], v40 offset1:16
	s_waitcnt lgkmcnt(0)
	v_cmp_lt_f64_e32 vcc_lo, v[3:4], v[5:6]
	v_dual_cndmask_b32 v4, v4, v6 :: v_dual_cndmask_b32 v3, v3, v5
	ds_store_b64 v40, v[3:4]
.LBB50_134:                             ;   in Loop: Header=BB50_3 Depth=1
	s_or_b32 exec_lo, exec_lo, s12
	s_waitcnt lgkmcnt(0)
	;; [unrolled: 13-line block ×5, first 2 shown]
	s_barrier
	buffer_gl0_inv
	s_and_saveexec_b32 s12, s11
	s_cbranch_execz .LBB50_142
; %bb.141:                              ;   in Loop: Header=BB50_3 Depth=1
	ds_load_b128 v[3:6], v18
	s_waitcnt lgkmcnt(0)
	v_cmp_lt_f64_e32 vcc_lo, v[3:4], v[5:6]
	v_dual_cndmask_b32 v4, v4, v6 :: v_dual_cndmask_b32 v3, v3, v5
	ds_store_b64 v18, v[3:4]
.LBB50_142:                             ;   in Loop: Header=BB50_3 Depth=1
	s_or_b32 exec_lo, exec_lo, s12
	s_waitcnt lgkmcnt(0)
	s_barrier
	buffer_gl0_inv
	ds_load_b64 v[3:4], v18
	s_load_b64 s[12:13], s[56:57], 0x0
	s_waitcnt lgkmcnt(0)
	v_div_scale_f64 v[5:6], null, s[12:13], s[12:13], v[3:4]
	s_delay_alu instid0(VALU_DEP_1) | instskip(SKIP_2) | instid1(VALU_DEP_1)
	v_rcp_f64_e32 v[8:9], v[5:6]
	s_waitcnt_depctr 0xfff
	v_fma_f64 v[10:11], -v[5:6], v[8:9], 1.0
	v_fma_f64 v[8:9], v[8:9], v[10:11], v[8:9]
	s_delay_alu instid0(VALU_DEP_1) | instskip(NEXT) | instid1(VALU_DEP_1)
	v_fma_f64 v[10:11], -v[5:6], v[8:9], 1.0
	v_fma_f64 v[8:9], v[8:9], v[10:11], v[8:9]
	v_div_scale_f64 v[10:11], vcc_lo, v[3:4], s[12:13], v[3:4]
	s_delay_alu instid0(VALU_DEP_1) | instskip(NEXT) | instid1(VALU_DEP_1)
	v_mul_f64 v[12:13], v[10:11], v[8:9]
	v_fma_f64 v[5:6], -v[5:6], v[12:13], v[10:11]
	s_delay_alu instid0(VALU_DEP_1) | instskip(NEXT) | instid1(VALU_DEP_1)
	v_div_fmas_f64 v[5:6], v[5:6], v[8:9], v[12:13]
	v_div_fixup_f64 v[3:4], v[5:6], s[12:13], v[3:4]
	s_and_not1_b32 vcc_lo, exec_lo, s33
	s_cbranch_vccnz .LBB50_121
.LBB50_143:                             ;   in Loop: Header=BB50_3 Depth=1
	v_cmp_gt_i32_e32 vcc_lo, 32, v7
	v_cndmask_b32_e32 v5, v41, v7, vcc_lo
	s_delay_alu instid0(VALU_DEP_1)
	v_lshlrev_b32_e32 v6, 2, v5
	ds_bpermute_b32 v5, v6, v1
	ds_bpermute_b32 v6, v6, v2
	s_and_saveexec_b32 s12, s1
	s_cbranch_execz .LBB50_145
; %bb.144:                              ;   in Loop: Header=BB50_3 Depth=1
	s_waitcnt lgkmcnt(0)
	v_cmp_lt_f64_e32 vcc_lo, v[1:2], v[5:6]
	v_dual_cndmask_b32 v2, v2, v6 :: v_dual_cndmask_b32 v1, v1, v5
	ds_store_b64 v43, v[1:2]
.LBB50_145:                             ;   in Loop: Header=BB50_3 Depth=1
	s_or_b32 exec_lo, exec_lo, s12
	s_waitcnt lgkmcnt(0)
	s_waitcnt_vscnt null, 0x0
	s_barrier
	buffer_gl0_inv
	s_and_saveexec_b32 s12, s2
	s_cbranch_execz .LBB50_147
; %bb.146:                              ;   in Loop: Header=BB50_3 Depth=1
	ds_load_2addr_stride64_b64 v[5:8], v40 offset1:4
	s_waitcnt lgkmcnt(0)
	v_cmp_lt_f64_e32 vcc_lo, v[5:6], v[7:8]
	v_dual_cndmask_b32 v2, v6, v8 :: v_dual_cndmask_b32 v1, v5, v7
	ds_store_b64 v40, v[1:2]
.LBB50_147:                             ;   in Loop: Header=BB50_3 Depth=1
	s_or_b32 exec_lo, exec_lo, s12
	s_waitcnt lgkmcnt(0)
	s_barrier
	buffer_gl0_inv
	s_and_saveexec_b32 s12, s3
	s_cbranch_execz .LBB50_149
; %bb.148:                              ;   in Loop: Header=BB50_3 Depth=1
	ds_load_2addr_stride64_b64 v[5:8], v40 offset1:2
	s_waitcnt lgkmcnt(0)
	v_cmp_lt_f64_e32 vcc_lo, v[5:6], v[7:8]
	v_dual_cndmask_b32 v2, v6, v8 :: v_dual_cndmask_b32 v1, v5, v7
	ds_store_b64 v40, v[1:2]
.LBB50_149:                             ;   in Loop: Header=BB50_3 Depth=1
	s_or_b32 exec_lo, exec_lo, s12
	s_waitcnt lgkmcnt(0)
	;; [unrolled: 13-line block ×3, first 2 shown]
	s_barrier
	buffer_gl0_inv
	s_and_saveexec_b32 s12, s5
	s_cbranch_execz .LBB50_153
; %bb.152:                              ;   in Loop: Header=BB50_3 Depth=1
	ds_load_2addr_b64 v[5:8], v40 offset1:32
	s_waitcnt lgkmcnt(0)
	v_cmp_lt_f64_e32 vcc_lo, v[5:6], v[7:8]
	v_dual_cndmask_b32 v2, v6, v8 :: v_dual_cndmask_b32 v1, v5, v7
	ds_store_b64 v40, v[1:2]
.LBB50_153:                             ;   in Loop: Header=BB50_3 Depth=1
	s_or_b32 exec_lo, exec_lo, s12
	s_waitcnt lgkmcnt(0)
	s_barrier
	buffer_gl0_inv
	s_and_saveexec_b32 s12, s6
	s_cbranch_execz .LBB50_155
; %bb.154:                              ;   in Loop: Header=BB50_3 Depth=1
	ds_load_2addr_b64 v[5:8], v40 offset1:16
	s_waitcnt lgkmcnt(0)
	v_cmp_lt_f64_e32 vcc_lo, v[5:6], v[7:8]
	v_dual_cndmask_b32 v2, v6, v8 :: v_dual_cndmask_b32 v1, v5, v7
	ds_store_b64 v40, v[1:2]
.LBB50_155:                             ;   in Loop: Header=BB50_3 Depth=1
	s_or_b32 exec_lo, exec_lo, s12
	s_waitcnt lgkmcnt(0)
	;; [unrolled: 13-line block ×5, first 2 shown]
	s_barrier
	buffer_gl0_inv
	s_and_saveexec_b32 s12, s11
	s_cbranch_execz .LBB50_163
; %bb.162:                              ;   in Loop: Header=BB50_3 Depth=1
	ds_load_b128 v[5:8], v18
	s_waitcnt lgkmcnt(0)
	v_cmp_lt_f64_e32 vcc_lo, v[5:6], v[7:8]
	v_dual_cndmask_b32 v2, v6, v8 :: v_dual_cndmask_b32 v1, v5, v7
	ds_store_b64 v18, v[1:2]
.LBB50_163:                             ;   in Loop: Header=BB50_3 Depth=1
	s_or_b32 exec_lo, exec_lo, s12
	s_waitcnt lgkmcnt(0)
	s_barrier
	buffer_gl0_inv
	ds_load_b64 v[1:2], v18
	s_load_b64 s[12:13], s[56:57], 0x0
	s_waitcnt lgkmcnt(0)
	v_div_scale_f64 v[5:6], null, s[12:13], s[12:13], v[1:2]
	s_delay_alu instid0(VALU_DEP_1) | instskip(SKIP_2) | instid1(VALU_DEP_1)
	v_rcp_f64_e32 v[7:8], v[5:6]
	s_waitcnt_depctr 0xfff
	v_fma_f64 v[9:10], -v[5:6], v[7:8], 1.0
	v_fma_f64 v[7:8], v[7:8], v[9:10], v[7:8]
	s_delay_alu instid0(VALU_DEP_1) | instskip(NEXT) | instid1(VALU_DEP_1)
	v_fma_f64 v[9:10], -v[5:6], v[7:8], 1.0
	v_fma_f64 v[7:8], v[7:8], v[9:10], v[7:8]
	v_div_scale_f64 v[9:10], vcc_lo, v[1:2], s[12:13], v[1:2]
	s_delay_alu instid0(VALU_DEP_1) | instskip(NEXT) | instid1(VALU_DEP_1)
	v_mul_f64 v[11:12], v[9:10], v[7:8]
	v_fma_f64 v[5:6], -v[5:6], v[11:12], v[9:10]
	s_delay_alu instid0(VALU_DEP_1) | instskip(NEXT) | instid1(VALU_DEP_1)
	v_div_fmas_f64 v[5:6], v[5:6], v[7:8], v[11:12]
	v_div_fixup_f64 v[1:2], v[5:6], s[12:13], v[1:2]
	s_and_saveexec_b32 s13, s7
	s_cbranch_execz .LBB50_175
.LBB50_164:                             ;   in Loop: Header=BB50_3 Depth=1
	v_mov_b32_e32 v5, v42
	s_mov_b32 s14, 0
	s_branch .LBB50_166
.LBB50_165:                             ;   in Loop: Header=BB50_166 Depth=2
	s_or_b32 exec_lo, exec_lo, s72
	v_add_nc_u32_e32 v5, 0x200, v5
	s_delay_alu instid0(VALU_DEP_1) | instskip(SKIP_1) | instid1(SALU_CYCLE_1)
	v_cmp_le_u32_e32 vcc_lo, s68, v5
	s_or_b32 s14, vcc_lo, s14
	s_and_not1_b32 exec_lo, exec_lo, s14
	s_cbranch_execz .LBB50_175
.LBB50_166:                             ;   Parent Loop BB50_3 Depth=1
                                        ; =>  This Loop Header: Depth=2
                                        ;       Child Loop BB50_169 Depth 3
                                        ;       Child Loop BB50_172 Depth 3
	s_mov_b32 s72, exec_lo
	s_delay_alu instid0(VALU_DEP_1)
	v_cmpx_gt_i32_e64 s63, v5
	s_cbranch_execz .LBB50_165
; %bb.167:                              ;   in Loop: Header=BB50_166 Depth=2
	v_ashrrev_i32_e32 v6, 31, v5
	s_mov_b32 s73, exec_lo
	s_delay_alu instid0(VALU_DEP_1) | instskip(NEXT) | instid1(VALU_DEP_1)
	v_lshlrev_b64 v[7:8], 2, v[5:6]
	v_add_co_u32 v9, vcc_lo, s24, v7
	s_delay_alu instid0(VALU_DEP_2)
	v_add_co_ci_u32_e32 v10, vcc_lo, s25, v8, vcc_lo
	v_add_co_u32 v11, vcc_lo, s26, v7
	v_add_co_ci_u32_e32 v12, vcc_lo, s27, v8, vcc_lo
	global_load_b32 v9, v[9:10], off
	global_load_b32 v10, v[11:12], off
	s_waitcnt vmcnt(1)
	v_add_nc_u32_e32 v9, v45, v9
	s_waitcnt vmcnt(0)
	v_subrev_nc_u32_e32 v14, s66, v10
	s_delay_alu instid0(VALU_DEP_1)
	v_cmpx_lt_i32_e64 v9, v14
	s_cbranch_execz .LBB50_170
; %bb.168:                              ;   in Loop: Header=BB50_166 Depth=2
	v_ashrrev_i32_e32 v10, 31, v9
	s_mov_b32 s74, 0
	s_delay_alu instid0(VALU_DEP_1) | instskip(NEXT) | instid1(VALU_DEP_1)
	v_lshlrev_b64 v[12:13], 4, v[9:10]
	v_add_co_u32 v10, vcc_lo, s30, v12
	s_delay_alu instid0(VALU_DEP_2)
	v_add_co_ci_u32_e32 v11, vcc_lo, s31, v13, vcc_lo
	v_add_co_u32 v12, vcc_lo, s58, v12
	v_add_co_ci_u32_e32 v13, vcc_lo, s59, v13, vcc_lo
.LBB50_169:                             ;   Parent Loop BB50_3 Depth=1
                                        ;     Parent Loop BB50_166 Depth=2
                                        ; =>    This Inner Loop Header: Depth=3
	global_load_b128 v[19:22], v[12:13], off
	v_add_nc_u32_e32 v9, 2, v9
	v_add_co_u32 v12, vcc_lo, v12, 32
	v_add_co_ci_u32_e32 v13, vcc_lo, 0, v13, vcc_lo
	s_delay_alu instid0(VALU_DEP_3) | instskip(SKIP_4) | instid1(VALU_DEP_1)
	v_cmp_ge_i32_e32 vcc_lo, v9, v14
	s_or_b32 s74, vcc_lo, s74
	s_waitcnt vmcnt(0)
	global_store_b128 v[10:11], v[19:22], off
	v_add_co_u32 v10, s12, v10, 32
	v_add_co_ci_u32_e64 v11, s12, 0, v11, s12
	s_and_not1_b32 exec_lo, exec_lo, s74
	s_cbranch_execnz .LBB50_169
.LBB50_170:                             ;   in Loop: Header=BB50_166 Depth=2
	s_or_b32 exec_lo, exec_lo, s73
	v_add_co_u32 v9, vcc_lo, s16, v7
	v_add_co_ci_u32_e32 v10, vcc_lo, s17, v8, vcc_lo
	v_add_co_u32 v7, vcc_lo, s18, v7
	v_add_co_ci_u32_e32 v8, vcc_lo, s19, v8, vcc_lo
	s_mov_b32 s73, exec_lo
	global_load_b32 v9, v[9:10], off
	global_load_b32 v8, v[7:8], off
	s_waitcnt vmcnt(1)
	v_add_nc_u32_e32 v7, v46, v9
	s_waitcnt vmcnt(0)
	v_subrev_nc_u32_e32 v12, s67, v8
	s_delay_alu instid0(VALU_DEP_1)
	v_cmpx_lt_i32_e64 v7, v12
	s_cbranch_execz .LBB50_173
; %bb.171:                              ;   in Loop: Header=BB50_166 Depth=2
	v_ashrrev_i32_e32 v8, 31, v7
	s_mov_b32 s74, 0
	s_delay_alu instid0(VALU_DEP_1) | instskip(NEXT) | instid1(VALU_DEP_1)
	v_lshlrev_b64 v[10:11], 4, v[7:8]
	v_add_co_u32 v8, vcc_lo, s22, v10
	s_delay_alu instid0(VALU_DEP_2)
	v_add_co_ci_u32_e32 v9, vcc_lo, s23, v11, vcc_lo
	v_add_co_u32 v10, vcc_lo, s60, v10
	v_add_co_ci_u32_e32 v11, vcc_lo, s61, v11, vcc_lo
.LBB50_172:                             ;   Parent Loop BB50_3 Depth=1
                                        ;     Parent Loop BB50_166 Depth=2
                                        ; =>    This Inner Loop Header: Depth=3
	global_load_b128 v[13:16], v[10:11], off
	v_add_nc_u32_e32 v7, 2, v7
	v_add_co_u32 v10, vcc_lo, v10, 32
	v_add_co_ci_u32_e32 v11, vcc_lo, 0, v11, vcc_lo
	s_delay_alu instid0(VALU_DEP_3) | instskip(SKIP_4) | instid1(VALU_DEP_1)
	v_cmp_ge_i32_e32 vcc_lo, v7, v12
	s_or_b32 s74, vcc_lo, s74
	s_waitcnt vmcnt(0)
	global_store_b128 v[8:9], v[13:16], off
	v_add_co_u32 v8, s12, v8, 32
	v_add_co_ci_u32_e64 v9, s12, 0, v9, s12
	s_and_not1_b32 exec_lo, exec_lo, s74
	s_cbranch_execnz .LBB50_172
.LBB50_173:                             ;   in Loop: Header=BB50_166 Depth=2
	s_or_b32 exec_lo, exec_lo, s73
	s_delay_alu instid0(SALU_CYCLE_1)
	s_and_b32 exec_lo, exec_lo, s0
	s_cbranch_execz .LBB50_165
; %bb.174:                              ;   in Loop: Header=BB50_166 Depth=2
	v_lshlrev_b64 v[10:11], 4, v[5:6]
	s_delay_alu instid0(VALU_DEP_1) | instskip(NEXT) | instid1(VALU_DEP_2)
	v_add_co_u32 v6, vcc_lo, s54, v10
	v_add_co_ci_u32_e32 v7, vcc_lo, s55, v11, vcc_lo
	v_add_co_u32 v10, vcc_lo, s52, v10
	v_add_co_ci_u32_e32 v11, vcc_lo, s53, v11, vcc_lo
	global_load_b128 v[6:9], v[6:7], off
	s_waitcnt vmcnt(0)
	global_store_b128 v[10:11], v[6:9], off
	s_branch .LBB50_165
.LBB50_175:                             ;   in Loop: Header=BB50_3 Depth=1
	s_or_b32 exec_lo, exec_lo, s13
	s_delay_alu instid0(SALU_CYCLE_1)
	s_and_b32 vcc_lo, exec_lo, s64
	s_mov_b32 s13, -1
	s_cbranch_vccz .LBB50_185
; %bb.176:                              ;   in Loop: Header=BB50_3 Depth=1
	s_and_b32 vcc_lo, exec_lo, s70
	s_mov_b32 s12, -1
                                        ; implicit-def: $sgpr14
	s_cbranch_vccz .LBB50_182
; %bb.177:                              ;   in Loop: Header=BB50_3 Depth=1
	s_and_b32 vcc_lo, exec_lo, s69
                                        ; implicit-def: $sgpr14
	s_cbranch_vccz .LBB50_179
; %bb.178:                              ;   in Loop: Header=BB50_3 Depth=1
	s_delay_alu instid0(VALU_DEP_1)
	v_cmp_ge_f64_e32 vcc_lo, s[50:51], v[1:2]
	s_mov_b32 s12, 0
	s_and_b32 s14, vcc_lo, exec_lo
.LBB50_179:                             ;   in Loop: Header=BB50_3 Depth=1
	s_and_not1_b32 vcc_lo, exec_lo, s12
	s_cbranch_vccnz .LBB50_181
; %bb.180:                              ;   in Loop: Header=BB50_3 Depth=1
	s_delay_alu instid0(VALU_DEP_1) | instskip(SKIP_2) | instid1(SALU_CYCLE_1)
	v_cmp_ge_f64_e32 vcc_lo, s[50:51], v[3:4]
	s_and_not1_b32 s12, s14, exec_lo
	s_and_b32 s14, vcc_lo, exec_lo
	s_or_b32 s14, s12, s14
.LBB50_181:                             ;   in Loop: Header=BB50_3 Depth=1
	s_mov_b32 s12, 0
.LBB50_182:                             ;   in Loop: Header=BB50_3 Depth=1
	s_delay_alu instid0(SALU_CYCLE_1)
	s_and_not1_b32 vcc_lo, exec_lo, s12
	s_cbranch_vccnz .LBB50_184
; %bb.183:                              ;   in Loop: Header=BB50_3 Depth=1
	s_delay_alu instid0(VALU_DEP_1) | instskip(NEXT) | instid1(VALU_DEP_2)
	v_cmp_ge_f64_e32 vcc_lo, s[50:51], v[3:4]
	v_cmp_ge_f64_e64 s12, s[50:51], v[1:2]
	s_and_not1_b32 s14, s14, exec_lo
	s_delay_alu instid0(VALU_DEP_1) | instskip(NEXT) | instid1(SALU_CYCLE_1)
	s_and_b32 s12, vcc_lo, s12
	s_and_b32 s12, s12, exec_lo
	s_delay_alu instid0(SALU_CYCLE_1)
	s_or_b32 s14, s14, s12
.LBB50_184:                             ;   in Loop: Header=BB50_3 Depth=1
	s_delay_alu instid0(SALU_CYCLE_1)
	s_xor_b32 s12, s14, -1
	v_mov_b32_e32 v5, s71
	s_and_saveexec_b32 s14, s12
	s_cbranch_execz .LBB50_2
	s_branch .LBB50_186
.LBB50_185:                             ;   in Loop: Header=BB50_3 Depth=1
	s_mov_b32 s12, -1
	v_mov_b32_e32 v5, s71
	s_and_saveexec_b32 s14, s12
	s_cbranch_execz .LBB50_2
.LBB50_186:                             ;   in Loop: Header=BB50_3 Depth=1
	s_add_i32 s71, s71, 1
	v_mov_b32_e32 v5, s35
	s_cmp_eq_u32 s71, s35
	s_cselect_b32 s12, -1, 0
	s_delay_alu instid0(SALU_CYCLE_1)
	s_or_not1_b32 s13, s12, exec_lo
	s_branch .LBB50_2
.LBB50_187:
	s_or_b32 exec_lo, exec_lo, s15
.LBB50_188:
	s_delay_alu instid0(SALU_CYCLE_1) | instskip(NEXT) | instid1(SALU_CYCLE_1)
	s_or_b32 exec_lo, exec_lo, s34
	s_and_not1_b32 vcc_lo, exec_lo, s64
	s_cbranch_vccnz .LBB50_213
; %bb.189:
	v_xor_b32_e32 v6, 1, v41
	s_mov_b32 s0, exec_lo
	s_delay_alu instid0(VALU_DEP_1) | instskip(SKIP_1) | instid1(VALU_DEP_1)
	v_cmp_gt_i32_e32 vcc_lo, 32, v6
	v_cndmask_b32_e32 v6, v41, v6, vcc_lo
	v_lshlrev_b32_e32 v6, 2, v6
	ds_bpermute_b32 v6, v6, v5
	v_cmpx_ne_u32_e32 0, v39
	s_cbranch_execz .LBB50_191
; %bb.190:
	v_lshlrev_b32_e32 v7, 2, v38
	s_waitcnt lgkmcnt(0)
	v_max_i32_e32 v5, v5, v6
	ds_store_b32 v7, v5 offset:4096
.LBB50_191:
	s_or_b32 exec_lo, exec_lo, s0
	v_lshlrev_b32_e32 v5, 2, v0
	s_mov_b32 s0, exec_lo
	s_waitcnt lgkmcnt(0)
	s_waitcnt_vscnt null, 0x0
	s_barrier
	buffer_gl0_inv
	v_cmpx_gt_u32_e32 0x100, v0
	s_cbranch_execz .LBB50_193
; %bb.192:
	ds_load_2addr_stride64_b32 v[6:7], v5 offset0:16 offset1:20
	s_waitcnt lgkmcnt(0)
	v_max_i32_e32 v6, v6, v7
	ds_store_b32 v5, v6 offset:4096
.LBB50_193:
	s_or_b32 exec_lo, exec_lo, s0
	s_delay_alu instid0(SALU_CYCLE_1)
	s_mov_b32 s0, exec_lo
	s_waitcnt lgkmcnt(0)
	s_barrier
	buffer_gl0_inv
	v_cmpx_gt_u32_e32 0x80, v0
	s_cbranch_execz .LBB50_195
; %bb.194:
	ds_load_2addr_stride64_b32 v[6:7], v5 offset0:16 offset1:18
	s_waitcnt lgkmcnt(0)
	v_max_i32_e32 v6, v6, v7
	ds_store_b32 v5, v6 offset:4096
.LBB50_195:
	s_or_b32 exec_lo, exec_lo, s0
	s_delay_alu instid0(SALU_CYCLE_1)
	s_mov_b32 s0, exec_lo
	s_waitcnt lgkmcnt(0)
	;; [unrolled: 14-line block ×3, first 2 shown]
	s_barrier
	buffer_gl0_inv
	v_cmpx_gt_u32_e32 32, v0
	s_cbranch_execz .LBB50_199
; %bb.198:
	v_add_nc_u32_e32 v6, 0x1000, v5
	ds_load_2addr_b32 v[6:7], v6 offset1:32
	s_waitcnt lgkmcnt(0)
	v_max_i32_e32 v6, v6, v7
	ds_store_b32 v5, v6 offset:4096
.LBB50_199:
	s_or_b32 exec_lo, exec_lo, s0
	s_delay_alu instid0(SALU_CYCLE_1)
	s_mov_b32 s0, exec_lo
	s_waitcnt lgkmcnt(0)
	s_barrier
	buffer_gl0_inv
	v_cmpx_gt_u32_e32 16, v0
	s_cbranch_execz .LBB50_201
; %bb.200:
	v_add_nc_u32_e32 v6, 0x1000, v5
	ds_load_2addr_b32 v[6:7], v6 offset1:16
	s_waitcnt lgkmcnt(0)
	v_max_i32_e32 v6, v6, v7
	ds_store_b32 v5, v6 offset:4096
.LBB50_201:
	s_or_b32 exec_lo, exec_lo, s0
	s_delay_alu instid0(SALU_CYCLE_1)
	s_mov_b32 s0, exec_lo
	s_waitcnt lgkmcnt(0)
	;; [unrolled: 15-line block ×4, first 2 shown]
	s_barrier
	buffer_gl0_inv
	v_cmpx_gt_u32_e32 2, v0
	s_cbranch_execz .LBB50_207
; %bb.206:
	v_add_nc_u32_e32 v6, 0x1000, v5
	ds_load_2addr_b32 v[6:7], v6 offset1:2
	s_waitcnt lgkmcnt(0)
	v_max_i32_e32 v6, v6, v7
	ds_store_b32 v5, v6 offset:4096
.LBB50_207:
	s_or_b32 exec_lo, exec_lo, s0
	v_cmp_eq_u32_e32 vcc_lo, 0, v0
	s_waitcnt lgkmcnt(0)
	s_barrier
	buffer_gl0_inv
	s_and_saveexec_b32 s0, vcc_lo
	s_cbranch_execz .LBB50_209
; %bb.208:
	v_mov_b32_e32 v7, 0
	ds_load_b64 v[5:6], v7 offset:4096
	s_waitcnt lgkmcnt(0)
	v_max_i32_e32 v5, v5, v6
	ds_store_b32 v7, v5 offset:4096
.LBB50_209:
	s_or_b32 exec_lo, exec_lo, s0
	s_waitcnt lgkmcnt(0)
	s_barrier
	buffer_gl0_inv
	s_and_saveexec_b32 s0, vcc_lo
	s_cbranch_execz .LBB50_212
; %bb.210:
	v_mbcnt_lo_u32_b32 v5, exec_lo, 0
	s_delay_alu instid0(VALU_DEP_1)
	v_cmp_eq_u32_e32 vcc_lo, 0, v5
	s_and_b32 exec_lo, exec_lo, vcc_lo
	s_cbranch_execz .LBB50_212
; %bb.211:
	v_mov_b32_e32 v5, 0
	ds_load_b32 v6, v5 offset:4096
	s_waitcnt lgkmcnt(0)
	v_add_nc_u32_e32 v6, 1, v6
	global_atomic_max_i32 v5, v6, s[48:49]
.LBB50_212:
	s_or_b32 exec_lo, exec_lo, s0
.LBB50_213:
	v_cmp_eq_u32_e32 vcc_lo, 0, v0
	s_mov_b32 s2, 0
	s_and_b32 s0, vcc_lo, s62
	s_delay_alu instid0(SALU_CYCLE_1)
	s_and_saveexec_b32 s4, s0
	s_cbranch_execz .LBB50_218
; %bb.214:
	v_mov_b32_e32 v0, 0
	s_delay_alu instid0(VALU_DEP_4)
	v_cmp_eq_f64_e64 s0, 0, v[3:4]
	s_brev_b32 s3, 1
                                        ; implicit-def: $sgpr5
	global_load_b64 v[5:6], v0, s[44:45] glc
	s_waitcnt vmcnt(0)
	v_cmp_eq_u64_e64 s6, s[2:3], v[5:6]
                                        ; implicit-def: $sgpr3
	s_set_inst_prefetch_distance 0x1
	s_branch .LBB50_216
	.p2align	6
.LBB50_215:                             ;   in Loop: Header=BB50_216 Depth=1
	s_or_b32 exec_lo, exec_lo, s7
	s_delay_alu instid0(SALU_CYCLE_1) | instskip(NEXT) | instid1(SALU_CYCLE_1)
	s_and_b32 s1, exec_lo, s3
	s_or_b32 s2, s1, s2
	s_and_not1_b32 s1, s6, exec_lo
	s_and_b32 s6, s5, exec_lo
	s_delay_alu instid0(SALU_CYCLE_1)
	s_or_b32 s6, s1, s6
	s_and_not1_b32 exec_lo, exec_lo, s2
	s_cbranch_execz .LBB50_218
.LBB50_216:                             ; =>This Inner Loop Header: Depth=1
	v_cmp_lt_f64_e64 s1, v[5:6], v[3:4]
	s_delay_alu instid0(VALU_DEP_2) | instskip(SKIP_2) | instid1(VALU_DEP_1)
	s_and_b32 s7, s0, s6
	s_and_not1_b32 s5, s5, exec_lo
	s_or_b32 s3, s3, exec_lo
	s_or_b32 s1, s1, s7
	s_delay_alu instid0(SALU_CYCLE_1)
	s_and_saveexec_b32 s7, s1
	s_cbranch_execz .LBB50_215
; %bb.217:                              ;   in Loop: Header=BB50_216 Depth=1
	global_atomic_cmpswap_b64 v[7:8], v0, v[3:6], s[44:45] glc
	s_and_not1_b32 s5, s5, exec_lo
	s_and_not1_b32 s3, s3, exec_lo
	s_waitcnt vmcnt(0)
	v_cmp_eq_u64_e64 s1, v[7:8], v[5:6]
	s_delay_alu instid0(VALU_DEP_1) | instskip(SKIP_2) | instid1(SALU_CYCLE_1)
	v_cndmask_b32_e64 v6, v8, v6, s1
	v_cndmask_b32_e64 v5, v7, v5, s1
	s_and_b32 s1, s1, exec_lo
	s_or_b32 s3, s3, s1
	s_delay_alu instid0(VALU_DEP_1) | instskip(SKIP_1) | instid1(VALU_DEP_2)
	v_cmp_class_f64_e64 s6, v[5:6], 32
	v_dual_mov_b32 v5, v7 :: v_dual_mov_b32 v6, v8
	s_and_b32 s6, s6, exec_lo
	s_delay_alu instid0(SALU_CYCLE_1)
	s_or_b32 s5, s5, s6
                                        ; implicit-def: $sgpr6
	s_branch .LBB50_215
.LBB50_218:
	s_set_inst_prefetch_distance 0x2
	s_or_b32 exec_lo, exec_lo, s4
	s_and_b32 s0, vcc_lo, s33
	s_delay_alu instid0(SALU_CYCLE_1)
	s_and_saveexec_b32 s1, s0
	s_cbranch_execz .LBB50_223
; %bb.219:
	v_mov_b32_e32 v0, 0
	s_delay_alu instid0(VALU_DEP_4)
	v_cmp_eq_f64_e32 vcc_lo, 0, v[1:2]
	s_brev_b32 s3, 1
	s_mov_b32 s2, 0
                                        ; implicit-def: $sgpr1
	global_load_b64 v[3:4], v0, s[46:47] glc
	s_waitcnt vmcnt(0)
	v_cmp_eq_u64_e64 s4, s[2:3], v[3:4]
                                        ; implicit-def: $sgpr3
	s_set_inst_prefetch_distance 0x1
	s_branch .LBB50_221
	.p2align	6
.LBB50_220:                             ;   in Loop: Header=BB50_221 Depth=1
	s_or_b32 exec_lo, exec_lo, s5
	s_delay_alu instid0(SALU_CYCLE_1) | instskip(NEXT) | instid1(SALU_CYCLE_1)
	s_and_b32 s0, exec_lo, s1
	s_or_b32 s2, s0, s2
	s_and_not1_b32 s0, s4, exec_lo
	s_and_b32 s4, s3, exec_lo
	s_delay_alu instid0(SALU_CYCLE_1)
	s_or_b32 s4, s0, s4
	s_and_not1_b32 exec_lo, exec_lo, s2
	s_cbranch_execz .LBB50_223
.LBB50_221:                             ; =>This Inner Loop Header: Depth=1
	v_cmp_lt_f64_e64 s0, v[3:4], v[1:2]
	s_delay_alu instid0(VALU_DEP_2) | instskip(SKIP_2) | instid1(VALU_DEP_1)
	s_and_b32 s5, vcc_lo, s4
	s_and_not1_b32 s3, s3, exec_lo
	s_or_b32 s1, s1, exec_lo
	s_or_b32 s0, s0, s5
	s_delay_alu instid0(SALU_CYCLE_1)
	s_and_saveexec_b32 s5, s0
	s_cbranch_execz .LBB50_220
; %bb.222:                              ;   in Loop: Header=BB50_221 Depth=1
	global_atomic_cmpswap_b64 v[5:6], v0, v[1:4], s[46:47] glc
	s_and_not1_b32 s3, s3, exec_lo
	s_and_not1_b32 s1, s1, exec_lo
	s_waitcnt vmcnt(0)
	v_cmp_eq_u64_e64 s0, v[5:6], v[3:4]
	s_delay_alu instid0(VALU_DEP_1) | instskip(SKIP_2) | instid1(SALU_CYCLE_1)
	v_cndmask_b32_e64 v4, v6, v4, s0
	v_cndmask_b32_e64 v3, v5, v3, s0
	s_and_b32 s0, s0, exec_lo
	s_or_b32 s1, s1, s0
	s_delay_alu instid0(VALU_DEP_1) | instskip(SKIP_1) | instid1(VALU_DEP_2)
	v_cmp_class_f64_e64 s4, v[3:4], 32
	v_dual_mov_b32 v3, v5 :: v_dual_mov_b32 v4, v6
	s_and_b32 s4, s4, exec_lo
	s_delay_alu instid0(SALU_CYCLE_1)
	s_or_b32 s3, s3, s4
                                        ; implicit-def: $sgpr4
	s_branch .LBB50_220
.LBB50_223:
	s_set_inst_prefetch_distance 0x2
	s_nop 0
	s_sendmsg sendmsg(MSG_DEALLOC_VGPRS)
	s_endpgm
	.section	.rodata,"a",@progbits
	.p2align	6, 0x0
	.amdhsa_kernel _ZN9rocsparseL6kernelILi1024ELi2E21rocsparse_complex_numIdEiiEEvbbbT3_PS3_NS_15floating_traitsIT1_E6data_tES3_T2_PKS9_SB_PKS3_PKS6_21rocsparse_index_base_SB_SB_SD_PS6_SH_SG_SB_SB_SD_SH_SH_SG_SH_SH_PS8_SI_PKS8_
		.amdhsa_group_segment_fixed_size 6144
		.amdhsa_private_segment_fixed_size 0
		.amdhsa_kernarg_size 208
		.amdhsa_user_sgpr_count 15
		.amdhsa_user_sgpr_dispatch_ptr 0
		.amdhsa_user_sgpr_queue_ptr 0
		.amdhsa_user_sgpr_kernarg_segment_ptr 1
		.amdhsa_user_sgpr_dispatch_id 0
		.amdhsa_user_sgpr_private_segment_size 0
		.amdhsa_wavefront_size32 1
		.amdhsa_uses_dynamic_stack 0
		.amdhsa_enable_private_segment 0
		.amdhsa_system_sgpr_workgroup_id_x 1
		.amdhsa_system_sgpr_workgroup_id_y 0
		.amdhsa_system_sgpr_workgroup_id_z 0
		.amdhsa_system_sgpr_workgroup_info 0
		.amdhsa_system_vgpr_workitem_id 0
		.amdhsa_next_free_vgpr 60
		.amdhsa_next_free_sgpr 85
		.amdhsa_reserve_vcc 1
		.amdhsa_float_round_mode_32 0
		.amdhsa_float_round_mode_16_64 0
		.amdhsa_float_denorm_mode_32 3
		.amdhsa_float_denorm_mode_16_64 3
		.amdhsa_dx10_clamp 1
		.amdhsa_ieee_mode 1
		.amdhsa_fp16_overflow 0
		.amdhsa_workgroup_processor_mode 1
		.amdhsa_memory_ordered 1
		.amdhsa_forward_progress 0
		.amdhsa_shared_vgpr_count 0
		.amdhsa_exception_fp_ieee_invalid_op 0
		.amdhsa_exception_fp_denorm_src 0
		.amdhsa_exception_fp_ieee_div_zero 0
		.amdhsa_exception_fp_ieee_overflow 0
		.amdhsa_exception_fp_ieee_underflow 0
		.amdhsa_exception_fp_ieee_inexact 0
		.amdhsa_exception_int_div_zero 0
	.end_amdhsa_kernel
	.section	.text._ZN9rocsparseL6kernelILi1024ELi2E21rocsparse_complex_numIdEiiEEvbbbT3_PS3_NS_15floating_traitsIT1_E6data_tES3_T2_PKS9_SB_PKS3_PKS6_21rocsparse_index_base_SB_SB_SD_PS6_SH_SG_SB_SB_SD_SH_SH_SG_SH_SH_PS8_SI_PKS8_,"axG",@progbits,_ZN9rocsparseL6kernelILi1024ELi2E21rocsparse_complex_numIdEiiEEvbbbT3_PS3_NS_15floating_traitsIT1_E6data_tES3_T2_PKS9_SB_PKS3_PKS6_21rocsparse_index_base_SB_SB_SD_PS6_SH_SG_SB_SB_SD_SH_SH_SG_SH_SH_PS8_SI_PKS8_,comdat
.Lfunc_end50:
	.size	_ZN9rocsparseL6kernelILi1024ELi2E21rocsparse_complex_numIdEiiEEvbbbT3_PS3_NS_15floating_traitsIT1_E6data_tES3_T2_PKS9_SB_PKS3_PKS6_21rocsparse_index_base_SB_SB_SD_PS6_SH_SG_SB_SB_SD_SH_SH_SG_SH_SH_PS8_SI_PKS8_, .Lfunc_end50-_ZN9rocsparseL6kernelILi1024ELi2E21rocsparse_complex_numIdEiiEEvbbbT3_PS3_NS_15floating_traitsIT1_E6data_tES3_T2_PKS9_SB_PKS3_PKS6_21rocsparse_index_base_SB_SB_SD_PS6_SH_SG_SB_SB_SD_SH_SH_SG_SH_SH_PS8_SI_PKS8_
                                        ; -- End function
	.section	.AMDGPU.csdata,"",@progbits
; Kernel info:
; codeLenInByte = 11484
; NumSgprs: 87
; NumVgprs: 60
; ScratchSize: 0
; MemoryBound: 1
; FloatMode: 240
; IeeeMode: 1
; LDSByteSize: 6144 bytes/workgroup (compile time only)
; SGPRBlocks: 10
; VGPRBlocks: 7
; NumSGPRsForWavesPerEU: 87
; NumVGPRsForWavesPerEU: 60
; Occupancy: 16
; WaveLimiterHint : 1
; COMPUTE_PGM_RSRC2:SCRATCH_EN: 0
; COMPUTE_PGM_RSRC2:USER_SGPR: 15
; COMPUTE_PGM_RSRC2:TRAP_HANDLER: 0
; COMPUTE_PGM_RSRC2:TGID_X_EN: 1
; COMPUTE_PGM_RSRC2:TGID_Y_EN: 0
; COMPUTE_PGM_RSRC2:TGID_Z_EN: 0
; COMPUTE_PGM_RSRC2:TIDIG_COMP_CNT: 0
	.section	.text._ZN9rocsparseL6kernelILi1024ELi4E21rocsparse_complex_numIdEiiEEvbbbT3_PS3_NS_15floating_traitsIT1_E6data_tES3_T2_PKS9_SB_PKS3_PKS6_21rocsparse_index_base_SB_SB_SD_PS6_SH_SG_SB_SB_SD_SH_SH_SG_SH_SH_PS8_SI_PKS8_,"axG",@progbits,_ZN9rocsparseL6kernelILi1024ELi4E21rocsparse_complex_numIdEiiEEvbbbT3_PS3_NS_15floating_traitsIT1_E6data_tES3_T2_PKS9_SB_PKS3_PKS6_21rocsparse_index_base_SB_SB_SD_PS6_SH_SG_SB_SB_SD_SH_SH_SG_SH_SH_PS8_SI_PKS8_,comdat
	.globl	_ZN9rocsparseL6kernelILi1024ELi4E21rocsparse_complex_numIdEiiEEvbbbT3_PS3_NS_15floating_traitsIT1_E6data_tES3_T2_PKS9_SB_PKS3_PKS6_21rocsparse_index_base_SB_SB_SD_PS6_SH_SG_SB_SB_SD_SH_SH_SG_SH_SH_PS8_SI_PKS8_ ; -- Begin function _ZN9rocsparseL6kernelILi1024ELi4E21rocsparse_complex_numIdEiiEEvbbbT3_PS3_NS_15floating_traitsIT1_E6data_tES3_T2_PKS9_SB_PKS3_PKS6_21rocsparse_index_base_SB_SB_SD_PS6_SH_SG_SB_SB_SD_SH_SH_SG_SH_SH_PS8_SI_PKS8_
	.p2align	8
	.type	_ZN9rocsparseL6kernelILi1024ELi4E21rocsparse_complex_numIdEiiEEvbbbT3_PS3_NS_15floating_traitsIT1_E6data_tES3_T2_PKS9_SB_PKS3_PKS6_21rocsparse_index_base_SB_SB_SD_PS6_SH_SG_SB_SB_SD_SH_SH_SG_SH_SH_PS8_SI_PKS8_,@function
_ZN9rocsparseL6kernelILi1024ELi4E21rocsparse_complex_numIdEiiEEvbbbT3_PS3_NS_15floating_traitsIT1_E6data_tES3_T2_PKS9_SB_PKS3_PKS6_21rocsparse_index_base_SB_SB_SD_PS6_SH_SG_SB_SB_SD_SH_SH_SG_SH_SH_PS8_SI_PKS8_: ; @_ZN9rocsparseL6kernelILi1024ELi4E21rocsparse_complex_numIdEiiEEvbbbT3_PS3_NS_15floating_traitsIT1_E6data_tES3_T2_PKS9_SB_PKS3_PKS6_21rocsparse_index_base_SB_SB_SD_PS6_SH_SG_SB_SB_SD_SH_SH_SG_SH_SH_PS8_SI_PKS8_
; %bb.0:
	s_clause 0x4
	s_load_b32 s2, s[0:1], 0x0
	s_load_b64 s[34:35], s[0:1], 0x0
	s_load_b32 s61, s[0:1], 0x18
	s_load_b128 s[48:51], s[0:1], 0x8
	s_load_b128 s[44:47], s[0:1], 0xb8
	v_lshrrev_b32_e32 v38, 2, v0
	v_mov_b32_e32 v3, 0
	v_dual_mov_b32 v5, 0 :: v_dual_mov_b32 v4, 0
	s_delay_alu instid0(VALU_DEP_2) | instskip(SKIP_1) | instid1(VALU_DEP_3)
	v_mov_b32_e32 v1, v3
	v_lshlrev_b32_e32 v41, 3, v0
	v_dual_mov_b32 v6, v5 :: v_dual_and_b32 v39, 3, v0
	s_delay_alu instid0(VALU_DEP_4)
	v_mov_b32_e32 v2, v4
	v_mbcnt_lo_u32_b32 v40, -1, 0
	ds_store_b64 v41, v[5:6]
	s_waitcnt lgkmcnt(0)
	s_barrier
	s_bitcmp1_b32 s2, 0
	buffer_gl0_inv
	s_cselect_b32 s62, -1, 0
	s_bitcmp1_b32 s2, 8
	s_cselect_b32 s60, -1, 0
	s_bitcmp1_b32 s34, 16
	s_mov_b32 s34, 0
	s_cselect_b32 s33, -1, 0
	s_lshl_b32 s67, s15, 10
	s_cmp_gt_i32 s35, 0
	v_or_b32_e32 v42, s67, v38
	s_cselect_b32 s2, -1, 0
	s_delay_alu instid0(VALU_DEP_1) | instskip(SKIP_1) | instid1(SALU_CYCLE_1)
	v_cmp_gt_i32_e32 vcc_lo, s61, v42
	s_and_b32 s2, s2, vcc_lo
	s_and_saveexec_b32 s63, s2
	s_cbranch_execz .LBB51_184
; %bb.1:
	s_clause 0x9
	s_load_b32 s64, s[0:1], 0x40
	s_load_b64 s[14:15], s[0:1], 0x68
	s_load_b32 s65, s[0:1], 0x70
	s_load_b64 s[56:57], s[0:1], 0x98
	;; [unrolled: 2-line block ×3, first 2 shown]
	s_load_b128 s[52:55], s[0:1], 0xa8
	s_load_b256 s[16:23], s[0:1], 0x78
	s_load_b256 s[24:31], s[0:1], 0x48
	;; [unrolled: 1-line block ×3, first 2 shown]
	v_dual_mov_b32 v1, 0 :: v_dual_mov_b32 v18, 0
	v_dual_mov_b32 v2, 0 :: v_dual_lshlrev_b32 v43, 3, v38
	s_addk_i32 s67, 0x400
	v_cmp_eq_u32_e64 s0, 3, v39
	v_cmp_gt_u32_e64 s1, 0x80, v0
	v_cmp_gt_u32_e64 s2, 64, v0
	;; [unrolled: 1-line block ×7, first 2 shown]
	s_waitcnt lgkmcnt(0)
	v_subrev_nc_u32_e32 v44, s64, v39
	v_cmp_gt_u32_e64 s8, 2, v0
	v_cmp_eq_u32_e64 s9, 0, v0
	v_subrev_nc_u32_e32 v45, s65, v39
	v_subrev_nc_u32_e32 v46, s66, v39
	v_cmp_eq_u32_e64 s10, 0, v39
	v_dual_mov_b32 v4, v2 :: v_dual_mov_b32 v3, v1
	s_and_b32 s11, s60, s33
	s_xor_b32 s68, s60, -1
	s_xor_b32 s69, s11, -1
	s_mov_b32 s70, 0
	s_branch .LBB51_3
.LBB51_2:                               ;   in Loop: Header=BB51_3 Depth=1
	s_or_b32 exec_lo, exec_lo, s13
	s_delay_alu instid0(SALU_CYCLE_1) | instskip(NEXT) | instid1(SALU_CYCLE_1)
	s_and_b32 s11, exec_lo, s12
	s_or_b32 s34, s11, s34
	s_delay_alu instid0(SALU_CYCLE_1)
	s_and_not1_b32 exec_lo, exec_lo, s34
	s_cbranch_execz .LBB51_183
.LBB51_3:                               ; =>This Loop Header: Depth=1
                                        ;     Child Loop BB51_7 Depth 2
                                        ;       Child Loop BB51_12 Depth 3
                                        ;         Child Loop BB51_16 Depth 4
                                        ;         Child Loop BB51_51 Depth 4
	;; [unrolled: 1-line block ×5, first 2 shown]
                                        ;     Child Loop BB51_162 Depth 2
                                        ;       Child Loop BB51_165 Depth 3
                                        ;       Child Loop BB51_168 Depth 3
	s_delay_alu instid0(VALU_DEP_2) | instskip(NEXT) | instid1(VALU_DEP_3)
	v_cndmask_b32_e64 v4, v4, 0, s60
	v_cndmask_b32_e64 v3, v3, 0, s60
	s_delay_alu instid0(VALU_DEP_4)
	v_cndmask_b32_e64 v2, v2, 0, s33
	v_cndmask_b32_e64 v1, v1, 0, s33
	s_mov_b32 s71, 0
	s_branch .LBB51_7
.LBB51_4:                               ;   in Loop: Header=BB51_7 Depth=2
	s_or_b32 exec_lo, exec_lo, s74
.LBB51_5:                               ;   in Loop: Header=BB51_7 Depth=2
	s_delay_alu instid0(SALU_CYCLE_1)
	s_or_b32 exec_lo, exec_lo, s73
.LBB51_6:                               ;   in Loop: Header=BB51_7 Depth=2
	s_delay_alu instid0(SALU_CYCLE_1) | instskip(SKIP_1) | instid1(SALU_CYCLE_1)
	s_or_b32 exec_lo, exec_lo, s72
	s_add_i32 s71, s71, 1
	s_cmp_eq_u32 s71, 4
	s_cbranch_scc1 .LBB51_119
.LBB51_7:                               ;   Parent Loop BB51_3 Depth=1
                                        ; =>  This Loop Header: Depth=2
                                        ;       Child Loop BB51_12 Depth 3
                                        ;         Child Loop BB51_16 Depth 4
                                        ;         Child Loop BB51_51 Depth 4
	;; [unrolled: 1-line block ×5, first 2 shown]
	v_lshl_add_u32 v19, s71, 8, v42
	s_mov_b32 s72, exec_lo
	s_delay_alu instid0(VALU_DEP_1)
	v_cmpx_gt_i32_e64 s61, v19
	s_cbranch_execz .LBB51_6
; %bb.8:                                ;   in Loop: Header=BB51_7 Depth=2
	v_ashrrev_i32_e32 v20, 31, v19
	s_mov_b32 s73, exec_lo
	s_delay_alu instid0(VALU_DEP_1) | instskip(NEXT) | instid1(VALU_DEP_1)
	v_lshlrev_b64 v[5:6], 2, v[19:20]
	v_add_co_u32 v7, vcc_lo, s36, v5
	s_delay_alu instid0(VALU_DEP_2)
	v_add_co_ci_u32_e32 v8, vcc_lo, s37, v6, vcc_lo
	v_add_co_u32 v9, vcc_lo, s38, v5
	v_add_co_ci_u32_e32 v10, vcc_lo, s39, v6, vcc_lo
	global_load_b32 v7, v[7:8], off
	global_load_b32 v8, v[9:10], off
	s_waitcnt vmcnt(1)
	v_add_nc_u32_e32 v20, v44, v7
	s_waitcnt vmcnt(0)
	v_subrev_nc_u32_e32 v47, s64, v8
	s_delay_alu instid0(VALU_DEP_1)
	v_cmpx_lt_i32_e64 v20, v47
	s_cbranch_execz .LBB51_5
; %bb.9:                                ;   in Loop: Header=BB51_7 Depth=2
	v_add_co_u32 v7, vcc_lo, s24, v5
	v_add_co_ci_u32_e32 v8, vcc_lo, s25, v6, vcc_lo
	v_add_co_u32 v5, vcc_lo, s26, v5
	v_add_co_ci_u32_e32 v6, vcc_lo, s27, v6, vcc_lo
	global_load_b32 v7, v[7:8], off
	s_mov_b32 s74, 0
	global_load_b32 v8, v[5:6], off
	s_waitcnt vmcnt(1)
	v_subrev_nc_u32_e32 v22, s65, v7
	s_waitcnt vmcnt(0)
	v_sub_nc_u32_e32 v48, v8, v7
	s_delay_alu instid0(VALU_DEP_2) | instskip(NEXT) | instid1(VALU_DEP_2)
	v_ashrrev_i32_e32 v23, 31, v22
	v_cmp_lt_i32_e64 s11, 0, v48
	s_delay_alu instid0(VALU_DEP_2) | instskip(SKIP_1) | instid1(VALU_DEP_2)
	v_lshlrev_b64 v[5:6], 2, v[22:23]
	v_lshlrev_b64 v[7:8], 4, v[22:23]
	v_add_co_u32 v49, vcc_lo, s28, v5
	s_delay_alu instid0(VALU_DEP_3) | instskip(NEXT) | instid1(VALU_DEP_3)
	v_add_co_ci_u32_e32 v50, vcc_lo, s29, v6, vcc_lo
	v_add_co_u32 v51, vcc_lo, s30, v7
	s_delay_alu instid0(VALU_DEP_4)
	v_add_co_ci_u32_e32 v52, vcc_lo, s31, v8, vcc_lo
	s_branch .LBB51_12
.LBB51_10:                              ;   in Loop: Header=BB51_12 Depth=3
	s_or_b32 exec_lo, exec_lo, s12
.LBB51_11:                              ;   in Loop: Header=BB51_12 Depth=3
	s_delay_alu instid0(SALU_CYCLE_1) | instskip(SKIP_1) | instid1(VALU_DEP_1)
	s_or_b32 exec_lo, exec_lo, s13
	v_add_nc_u32_e32 v20, 4, v20
	v_cmp_ge_i32_e32 vcc_lo, v20, v47
	s_or_b32 s74, vcc_lo, s74
	s_delay_alu instid0(SALU_CYCLE_1)
	s_and_not1_b32 exec_lo, exec_lo, s74
	s_cbranch_execz .LBB51_4
.LBB51_12:                              ;   Parent Loop BB51_3 Depth=1
                                        ;     Parent Loop BB51_7 Depth=2
                                        ; =>    This Loop Header: Depth=3
                                        ;         Child Loop BB51_16 Depth 4
                                        ;         Child Loop BB51_51 Depth 4
	;; [unrolled: 1-line block ×5, first 2 shown]
	v_ashrrev_i32_e32 v21, 31, v20
	v_mov_b32_e32 v25, 0
	v_dual_mov_b32 v26, 0 :: v_dual_mov_b32 v17, 0
	v_mov_b32_e32 v31, 0
	s_delay_alu instid0(VALU_DEP_4) | instskip(NEXT) | instid1(VALU_DEP_3)
	v_lshlrev_b64 v[5:6], 2, v[20:21]
	v_dual_mov_b32 v28, v26 :: v_dual_mov_b32 v27, v25
	s_delay_alu instid0(VALU_DEP_2) | instskip(NEXT) | instid1(VALU_DEP_3)
	v_add_co_u32 v5, vcc_lo, s40, v5
	v_add_co_ci_u32_e32 v6, vcc_lo, s41, v6, vcc_lo
	global_load_b32 v5, v[5:6], off
	s_waitcnt vmcnt(0)
	v_subrev_nc_u32_e32 v23, s64, v5
	s_delay_alu instid0(VALU_DEP_1) | instskip(NEXT) | instid1(VALU_DEP_1)
	v_ashrrev_i32_e32 v24, 31, v23
	v_lshlrev_b64 v[5:6], 2, v[23:24]
	s_delay_alu instid0(VALU_DEP_1) | instskip(NEXT) | instid1(VALU_DEP_2)
	v_add_co_u32 v7, vcc_lo, s16, v5
	v_add_co_ci_u32_e32 v8, vcc_lo, s17, v6, vcc_lo
	v_add_co_u32 v5, vcc_lo, s18, v5
	v_add_co_ci_u32_e32 v6, vcc_lo, s19, v6, vcc_lo
	global_load_b32 v7, v[7:8], off
	global_load_b32 v5, v[5:6], off
	s_waitcnt vmcnt(1)
	v_subrev_nc_u32_e32 v29, s66, v7
	s_waitcnt vmcnt(0)
	v_sub_nc_u32_e32 v53, v5, v7
	s_and_saveexec_b32 s13, s11
	s_cbranch_execz .LBB51_20
; %bb.13:                               ;   in Loop: Header=BB51_12 Depth=3
	v_ashrrev_i32_e32 v30, 31, v29
	v_mov_b32_e32 v25, 0
	v_dual_mov_b32 v31, 0 :: v_dual_mov_b32 v26, 0
	s_mov_b32 s75, 0
	s_delay_alu instid0(VALU_DEP_3) | instskip(SKIP_1) | instid1(VALU_DEP_3)
	v_lshlrev_b64 v[5:6], 2, v[29:30]
	v_lshlrev_b64 v[7:8], 4, v[29:30]
	v_dual_mov_b32 v17, v31 :: v_dual_mov_b32 v28, v26
	v_mov_b32_e32 v27, v25
                                        ; implicit-def: $sgpr76
	s_delay_alu instid0(VALU_DEP_4)
	v_add_co_u32 v5, vcc_lo, s20, v5
	v_add_co_ci_u32_e32 v6, vcc_lo, s21, v6, vcc_lo
	v_add_co_u32 v7, vcc_lo, s22, v7
	v_add_co_ci_u32_e32 v8, vcc_lo, s23, v8, vcc_lo
	s_branch .LBB51_16
.LBB51_14:                              ;   in Loop: Header=BB51_16 Depth=4
	s_or_b32 exec_lo, exec_lo, s12
	v_cmp_le_i32_e32 vcc_lo, v9, v10
	v_cmp_ge_i32_e64 s12, v9, v10
	v_add_co_ci_u32_e32 v17, vcc_lo, 0, v17, vcc_lo
	s_delay_alu instid0(VALU_DEP_2) | instskip(SKIP_1) | instid1(VALU_DEP_2)
	v_add_co_ci_u32_e64 v31, s12, 0, v31, s12
	s_and_not1_b32 s12, s76, exec_lo
	v_cmp_ge_i32_e32 vcc_lo, v17, v48
	s_and_b32 s76, vcc_lo, exec_lo
	s_delay_alu instid0(SALU_CYCLE_1)
	s_or_b32 s76, s12, s76
.LBB51_15:                              ;   in Loop: Header=BB51_16 Depth=4
	s_or_b32 exec_lo, exec_lo, s77
	s_delay_alu instid0(SALU_CYCLE_1) | instskip(NEXT) | instid1(SALU_CYCLE_1)
	s_and_b32 s12, exec_lo, s76
	s_or_b32 s75, s12, s75
	s_delay_alu instid0(SALU_CYCLE_1)
	s_and_not1_b32 exec_lo, exec_lo, s75
	s_cbranch_execz .LBB51_19
.LBB51_16:                              ;   Parent Loop BB51_3 Depth=1
                                        ;     Parent Loop BB51_7 Depth=2
                                        ;       Parent Loop BB51_12 Depth=3
                                        ; =>      This Inner Loop Header: Depth=4
	s_or_b32 s76, s76, exec_lo
	s_mov_b32 s77, exec_lo
	v_cmpx_lt_i32_e64 v31, v53
	s_cbranch_execz .LBB51_15
; %bb.17:                               ;   in Loop: Header=BB51_16 Depth=4
	v_mov_b32_e32 v32, v18
	v_lshlrev_b64 v[9:10], 2, v[17:18]
	s_mov_b32 s12, exec_lo
	s_delay_alu instid0(VALU_DEP_2) | instskip(NEXT) | instid1(VALU_DEP_2)
	v_lshlrev_b64 v[11:12], 2, v[31:32]
	v_add_co_u32 v9, vcc_lo, v49, v9
	s_delay_alu instid0(VALU_DEP_3) | instskip(NEXT) | instid1(VALU_DEP_3)
	v_add_co_ci_u32_e32 v10, vcc_lo, v50, v10, vcc_lo
	v_add_co_u32 v11, vcc_lo, v5, v11
	s_delay_alu instid0(VALU_DEP_4)
	v_add_co_ci_u32_e32 v12, vcc_lo, v6, v12, vcc_lo
	global_load_b32 v9, v[9:10], off
	global_load_b32 v10, v[11:12], off
	s_waitcnt vmcnt(1)
	v_subrev_nc_u32_e32 v9, s65, v9
	s_waitcnt vmcnt(0)
	v_subrev_nc_u32_e32 v10, s66, v10
	s_delay_alu instid0(VALU_DEP_1)
	v_cmpx_eq_u32_e64 v9, v10
	s_cbranch_execz .LBB51_14
; %bb.18:                               ;   in Loop: Header=BB51_16 Depth=4
	v_lshlrev_b64 v[11:12], 4, v[17:18]
	v_lshlrev_b64 v[13:14], 4, v[31:32]
	s_delay_alu instid0(VALU_DEP_2) | instskip(NEXT) | instid1(VALU_DEP_3)
	v_add_co_u32 v11, vcc_lo, v51, v11
	v_add_co_ci_u32_e32 v12, vcc_lo, v52, v12, vcc_lo
	s_delay_alu instid0(VALU_DEP_3) | instskip(NEXT) | instid1(VALU_DEP_4)
	v_add_co_u32 v15, vcc_lo, v7, v13
	v_add_co_ci_u32_e32 v16, vcc_lo, v8, v14, vcc_lo
	global_load_b128 v[11:14], v[11:12], off
	global_load_b128 v[32:35], v[15:16], off
	s_waitcnt vmcnt(0)
	v_fma_f64 v[15:16], v[11:12], v[32:33], v[25:26]
	v_fma_f64 v[27:28], v[13:14], v[32:33], v[27:28]
	s_delay_alu instid0(VALU_DEP_2) | instskip(NEXT) | instid1(VALU_DEP_2)
	v_fma_f64 v[25:26], -v[13:14], v[34:35], v[15:16]
	v_fma_f64 v[27:28], v[11:12], v[34:35], v[27:28]
	s_branch .LBB51_14
.LBB51_19:                              ;   in Loop: Header=BB51_12 Depth=3
	s_or_b32 exec_lo, exec_lo, s75
.LBB51_20:                              ;   in Loop: Header=BB51_12 Depth=3
	s_delay_alu instid0(SALU_CYCLE_1) | instskip(SKIP_3) | instid1(VALU_DEP_2)
	s_or_b32 exec_lo, exec_lo, s13
	v_lshlrev_b64 v[5:6], 4, v[20:21]
	v_cmp_le_i32_e64 s12, v19, v23
	s_mov_b32 s13, exec_lo
	v_add_co_u32 v5, vcc_lo, s42, v5
	s_delay_alu instid0(VALU_DEP_3)
	v_add_co_ci_u32_e32 v6, vcc_lo, s43, v6, vcc_lo
	global_load_b128 v[5:8], v[5:6], off
	s_waitcnt vmcnt(0)
	v_add_f64 v[9:10], v[5:6], -v[25:26]
	v_add_f64 v[11:12], v[7:8], -v[27:28]
	v_cmpx_gt_i32_e64 v19, v23
	s_cbranch_execz .LBB51_30
; %bb.21:                               ;   in Loop: Header=BB51_12 Depth=3
	v_lshlrev_b64 v[13:14], 4, v[23:24]
	s_mov_b32 s75, exec_lo
                                        ; implicit-def: $vgpr36_vgpr37
	s_delay_alu instid0(VALU_DEP_1) | instskip(NEXT) | instid1(VALU_DEP_2)
	v_add_co_u32 v13, vcc_lo, s52, v13
	v_add_co_ci_u32_e32 v14, vcc_lo, s53, v14, vcc_lo
	global_load_b128 v[13:16], v[13:14], off
	s_waitcnt vmcnt(0)
	v_cmp_gt_f64_e32 vcc_lo, 0, v[13:14]
	v_xor_b32_e32 v21, 0x80000000, v14
	v_mov_b32_e32 v32, v13
	v_xor_b32_e32 v30, 0x80000000, v16
	s_delay_alu instid0(VALU_DEP_3) | instskip(SKIP_1) | instid1(VALU_DEP_3)
	v_dual_mov_b32 v34, v15 :: v_dual_cndmask_b32 v33, v14, v21
	v_cmp_gt_f64_e32 vcc_lo, 0, v[15:16]
	v_cndmask_b32_e32 v35, v16, v30, vcc_lo
	s_delay_alu instid0(VALU_DEP_1)
	v_cmpx_ngt_f64_e32 v[32:33], v[34:35]
	s_xor_b32 s75, exec_lo, s75
	s_cbranch_execz .LBB51_25
; %bb.22:                               ;   in Loop: Header=BB51_12 Depth=3
	v_mov_b32_e32 v36, 0
	v_mov_b32_e32 v37, 0
	s_mov_b32 s76, exec_lo
	v_cmpx_neq_f64_e32 0, v[15:16]
	s_cbranch_execz .LBB51_24
; %bb.23:                               ;   in Loop: Header=BB51_12 Depth=3
	v_div_scale_f64 v[36:37], null, v[34:35], v[34:35], v[32:33]
	v_div_scale_f64 v[58:59], vcc_lo, v[32:33], v[34:35], v[32:33]
	s_delay_alu instid0(VALU_DEP_2) | instskip(SKIP_2) | instid1(VALU_DEP_1)
	v_rcp_f64_e32 v[54:55], v[36:37]
	s_waitcnt_depctr 0xfff
	v_fma_f64 v[56:57], -v[36:37], v[54:55], 1.0
	v_fma_f64 v[54:55], v[54:55], v[56:57], v[54:55]
	s_delay_alu instid0(VALU_DEP_1) | instskip(NEXT) | instid1(VALU_DEP_1)
	v_fma_f64 v[56:57], -v[36:37], v[54:55], 1.0
	v_fma_f64 v[54:55], v[54:55], v[56:57], v[54:55]
	s_delay_alu instid0(VALU_DEP_1) | instskip(NEXT) | instid1(VALU_DEP_1)
	v_mul_f64 v[56:57], v[58:59], v[54:55]
	v_fma_f64 v[36:37], -v[36:37], v[56:57], v[58:59]
	s_delay_alu instid0(VALU_DEP_1) | instskip(NEXT) | instid1(VALU_DEP_1)
	v_div_fmas_f64 v[36:37], v[36:37], v[54:55], v[56:57]
	v_div_fixup_f64 v[32:33], v[36:37], v[34:35], v[32:33]
	s_delay_alu instid0(VALU_DEP_1) | instskip(NEXT) | instid1(VALU_DEP_1)
	v_fma_f64 v[32:33], v[32:33], v[32:33], 1.0
	v_cmp_gt_f64_e32 vcc_lo, 0x10000000, v[32:33]
	v_cndmask_b32_e64 v21, 0, 1, vcc_lo
	s_delay_alu instid0(VALU_DEP_1) | instskip(NEXT) | instid1(VALU_DEP_1)
	v_lshlrev_b32_e32 v21, 8, v21
	v_ldexp_f64 v[32:33], v[32:33], v21
	v_cndmask_b32_e64 v21, 0, 0xffffff80, vcc_lo
	s_delay_alu instid0(VALU_DEP_2) | instskip(SKIP_4) | instid1(VALU_DEP_1)
	v_rsq_f64_e32 v[36:37], v[32:33]
	v_cmp_class_f64_e64 vcc_lo, v[32:33], 0x260
	s_waitcnt_depctr 0xfff
	v_mul_f64 v[54:55], v[32:33], v[36:37]
	v_mul_f64 v[36:37], v[36:37], 0.5
	v_fma_f64 v[56:57], -v[36:37], v[54:55], 0.5
	s_delay_alu instid0(VALU_DEP_1) | instskip(SKIP_1) | instid1(VALU_DEP_2)
	v_fma_f64 v[54:55], v[54:55], v[56:57], v[54:55]
	v_fma_f64 v[36:37], v[36:37], v[56:57], v[36:37]
	v_fma_f64 v[56:57], -v[54:55], v[54:55], v[32:33]
	s_delay_alu instid0(VALU_DEP_1) | instskip(NEXT) | instid1(VALU_DEP_1)
	v_fma_f64 v[54:55], v[56:57], v[36:37], v[54:55]
	v_fma_f64 v[56:57], -v[54:55], v[54:55], v[32:33]
	s_delay_alu instid0(VALU_DEP_1) | instskip(NEXT) | instid1(VALU_DEP_1)
	v_fma_f64 v[36:37], v[56:57], v[36:37], v[54:55]
	v_ldexp_f64 v[36:37], v[36:37], v21
	s_delay_alu instid0(VALU_DEP_1) | instskip(NEXT) | instid1(VALU_DEP_1)
	v_dual_cndmask_b32 v32, v36, v32 :: v_dual_cndmask_b32 v33, v37, v33
	v_mul_f64 v[36:37], v[34:35], v[32:33]
.LBB51_24:                              ;   in Loop: Header=BB51_12 Depth=3
	s_or_b32 exec_lo, exec_lo, s76
                                        ; implicit-def: $vgpr32_vgpr33
                                        ; implicit-def: $vgpr34_vgpr35
.LBB51_25:                              ;   in Loop: Header=BB51_12 Depth=3
	s_and_not1_saveexec_b32 s75, s75
	s_cbranch_execz .LBB51_27
; %bb.26:                               ;   in Loop: Header=BB51_12 Depth=3
	v_div_scale_f64 v[36:37], null, v[32:33], v[32:33], v[34:35]
	v_div_scale_f64 v[58:59], vcc_lo, v[34:35], v[32:33], v[34:35]
	s_delay_alu instid0(VALU_DEP_2) | instskip(SKIP_2) | instid1(VALU_DEP_1)
	v_rcp_f64_e32 v[54:55], v[36:37]
	s_waitcnt_depctr 0xfff
	v_fma_f64 v[56:57], -v[36:37], v[54:55], 1.0
	v_fma_f64 v[54:55], v[54:55], v[56:57], v[54:55]
	s_delay_alu instid0(VALU_DEP_1) | instskip(NEXT) | instid1(VALU_DEP_1)
	v_fma_f64 v[56:57], -v[36:37], v[54:55], 1.0
	v_fma_f64 v[54:55], v[54:55], v[56:57], v[54:55]
	s_delay_alu instid0(VALU_DEP_1) | instskip(NEXT) | instid1(VALU_DEP_1)
	v_mul_f64 v[56:57], v[58:59], v[54:55]
	v_fma_f64 v[36:37], -v[36:37], v[56:57], v[58:59]
	s_delay_alu instid0(VALU_DEP_1) | instskip(NEXT) | instid1(VALU_DEP_1)
	v_div_fmas_f64 v[36:37], v[36:37], v[54:55], v[56:57]
	v_div_fixup_f64 v[34:35], v[36:37], v[32:33], v[34:35]
	s_delay_alu instid0(VALU_DEP_1) | instskip(NEXT) | instid1(VALU_DEP_1)
	v_fma_f64 v[34:35], v[34:35], v[34:35], 1.0
	v_cmp_gt_f64_e32 vcc_lo, 0x10000000, v[34:35]
	v_cndmask_b32_e64 v21, 0, 1, vcc_lo
	s_delay_alu instid0(VALU_DEP_1) | instskip(NEXT) | instid1(VALU_DEP_1)
	v_lshlrev_b32_e32 v21, 8, v21
	v_ldexp_f64 v[34:35], v[34:35], v21
	v_cndmask_b32_e64 v21, 0, 0xffffff80, vcc_lo
	s_delay_alu instid0(VALU_DEP_2) | instskip(SKIP_4) | instid1(VALU_DEP_1)
	v_rsq_f64_e32 v[36:37], v[34:35]
	v_cmp_class_f64_e64 vcc_lo, v[34:35], 0x260
	s_waitcnt_depctr 0xfff
	v_mul_f64 v[54:55], v[34:35], v[36:37]
	v_mul_f64 v[36:37], v[36:37], 0.5
	v_fma_f64 v[56:57], -v[36:37], v[54:55], 0.5
	s_delay_alu instid0(VALU_DEP_1) | instskip(SKIP_1) | instid1(VALU_DEP_2)
	v_fma_f64 v[54:55], v[54:55], v[56:57], v[54:55]
	v_fma_f64 v[36:37], v[36:37], v[56:57], v[36:37]
	v_fma_f64 v[56:57], -v[54:55], v[54:55], v[34:35]
	s_delay_alu instid0(VALU_DEP_1) | instskip(NEXT) | instid1(VALU_DEP_1)
	v_fma_f64 v[54:55], v[56:57], v[36:37], v[54:55]
	v_fma_f64 v[56:57], -v[54:55], v[54:55], v[34:35]
	s_delay_alu instid0(VALU_DEP_1) | instskip(NEXT) | instid1(VALU_DEP_1)
	v_fma_f64 v[36:37], v[56:57], v[36:37], v[54:55]
	v_ldexp_f64 v[36:37], v[36:37], v21
	s_delay_alu instid0(VALU_DEP_1) | instskip(NEXT) | instid1(VALU_DEP_1)
	v_dual_cndmask_b32 v34, v36, v34 :: v_dual_cndmask_b32 v35, v37, v35
	v_mul_f64 v[36:37], v[32:33], v[34:35]
.LBB51_27:                              ;   in Loop: Header=BB51_12 Depth=3
	s_or_b32 exec_lo, exec_lo, s75
	v_mov_b32_e32 v32, 0
	v_mov_b32_e32 v33, 0
	s_mov_b32 s75, exec_lo
	s_delay_alu instid0(VALU_DEP_1) | instskip(NEXT) | instid1(VALU_DEP_4)
	v_dual_mov_b32 v35, v33 :: v_dual_mov_b32 v34, v32
	v_cmpx_lt_f64_e32 0, v[36:37]
	s_cbranch_execz .LBB51_29
; %bb.28:                               ;   in Loop: Header=BB51_12 Depth=3
	v_mul_f64 v[32:33], v[15:16], v[15:16]
	s_delay_alu instid0(VALU_DEP_1) | instskip(NEXT) | instid1(VALU_DEP_1)
	v_fma_f64 v[32:33], v[13:14], v[13:14], v[32:33]
	v_div_scale_f64 v[34:35], null, v[32:33], v[32:33], 1.0
	v_div_scale_f64 v[56:57], vcc_lo, 1.0, v[32:33], 1.0
	s_delay_alu instid0(VALU_DEP_2) | instskip(SKIP_2) | instid1(VALU_DEP_1)
	v_rcp_f64_e32 v[36:37], v[34:35]
	s_waitcnt_depctr 0xfff
	v_fma_f64 v[54:55], -v[34:35], v[36:37], 1.0
	v_fma_f64 v[36:37], v[36:37], v[54:55], v[36:37]
	s_delay_alu instid0(VALU_DEP_1) | instskip(NEXT) | instid1(VALU_DEP_1)
	v_fma_f64 v[54:55], -v[34:35], v[36:37], 1.0
	v_fma_f64 v[36:37], v[36:37], v[54:55], v[36:37]
	s_delay_alu instid0(VALU_DEP_1) | instskip(NEXT) | instid1(VALU_DEP_1)
	v_mul_f64 v[54:55], v[56:57], v[36:37]
	v_fma_f64 v[34:35], -v[34:35], v[54:55], v[56:57]
	v_mul_f64 v[56:57], v[11:12], v[15:16]
	v_mul_f64 v[15:16], v[15:16], -v[9:10]
	s_delay_alu instid0(VALU_DEP_3) | instskip(NEXT) | instid1(VALU_DEP_3)
	v_div_fmas_f64 v[34:35], v[34:35], v[36:37], v[54:55]
	v_fma_f64 v[9:10], v[9:10], v[13:14], v[56:57]
	s_delay_alu instid0(VALU_DEP_3) | instskip(NEXT) | instid1(VALU_DEP_3)
	v_fma_f64 v[11:12], v[11:12], v[13:14], v[15:16]
	v_div_fixup_f64 v[32:33], v[34:35], v[32:33], 1.0
	s_delay_alu instid0(VALU_DEP_1) | instskip(NEXT) | instid1(VALU_DEP_3)
	v_mul_f64 v[34:35], v[9:10], v[32:33]
	v_mul_f64 v[32:33], v[11:12], v[32:33]
.LBB51_29:                              ;   in Loop: Header=BB51_12 Depth=3
	s_or_b32 exec_lo, exec_lo, s75
	s_delay_alu instid0(VALU_DEP_1) | instskip(NEXT) | instid1(VALU_DEP_3)
	v_dual_mov_b32 v11, v32 :: v_dual_mov_b32 v12, v33
	v_dual_mov_b32 v9, v34 :: v_dual_mov_b32 v10, v35
.LBB51_30:                              ;   in Loop: Header=BB51_12 Depth=3
	s_or_b32 exec_lo, exec_lo, s13
	s_delay_alu instid0(VALU_DEP_1) | instskip(NEXT) | instid1(VALU_DEP_3)
	v_cmp_gt_f64_e32 vcc_lo, 0, v[9:10]
	v_cmp_gt_f64_e64 s13, 0, v[11:12]
	v_xor_b32_e32 v13, 0x80000000, v10
	v_xor_b32_e32 v15, 0x80000000, v12
                                        ; implicit-def: $vgpr32_vgpr33
	s_delay_alu instid0(VALU_DEP_2) | instskip(NEXT) | instid1(VALU_DEP_2)
	v_cndmask_b32_e32 v14, v10, v13, vcc_lo
	v_cndmask_b32_e64 v16, v12, v15, s13
	v_cndmask_b32_e32 v13, v9, v9, vcc_lo
	v_cndmask_b32_e64 v15, v11, v11, s13
	s_mov_b32 s13, exec_lo
	s_delay_alu instid0(VALU_DEP_1)
	v_cmpx_ngt_f64_e32 v[13:14], v[15:16]
	s_xor_b32 s13, exec_lo, s13
	s_cbranch_execnz .LBB51_34
; %bb.31:                               ;   in Loop: Header=BB51_12 Depth=3
	s_and_not1_saveexec_b32 s13, s13
	s_cbranch_execnz .LBB51_37
.LBB51_32:                              ;   in Loop: Header=BB51_12 Depth=3
	s_or_b32 exec_lo, exec_lo, s13
	s_delay_alu instid0(VALU_DEP_1) | instskip(NEXT) | instid1(VALU_DEP_1)
	v_cmp_class_f64_e64 s13, v[32:33], 0x1f8
	s_and_saveexec_b32 s75, s13
	s_cbranch_execnz .LBB51_38
.LBB51_33:                              ;   in Loop: Header=BB51_12 Depth=3
	s_or_b32 exec_lo, exec_lo, s75
	s_and_b32 s12, s13, s33
	s_delay_alu instid0(SALU_CYCLE_1)
	s_and_saveexec_b32 s13, s12
	s_cbranch_execz .LBB51_11
	s_branch .LBB51_79
.LBB51_34:                              ;   in Loop: Header=BB51_12 Depth=3
	v_mov_b32_e32 v32, 0
	v_mov_b32_e32 v33, 0
	s_mov_b32 s75, exec_lo
	v_cmpx_neq_f64_e32 0, v[11:12]
	s_cbranch_execz .LBB51_36
; %bb.35:                               ;   in Loop: Header=BB51_12 Depth=3
	v_div_scale_f64 v[32:33], null, v[15:16], v[15:16], v[13:14]
	v_div_scale_f64 v[54:55], vcc_lo, v[13:14], v[15:16], v[13:14]
	s_delay_alu instid0(VALU_DEP_2) | instskip(SKIP_2) | instid1(VALU_DEP_1)
	v_rcp_f64_e32 v[34:35], v[32:33]
	s_waitcnt_depctr 0xfff
	v_fma_f64 v[36:37], -v[32:33], v[34:35], 1.0
	v_fma_f64 v[34:35], v[34:35], v[36:37], v[34:35]
	s_delay_alu instid0(VALU_DEP_1) | instskip(NEXT) | instid1(VALU_DEP_1)
	v_fma_f64 v[36:37], -v[32:33], v[34:35], 1.0
	v_fma_f64 v[34:35], v[34:35], v[36:37], v[34:35]
	s_delay_alu instid0(VALU_DEP_1) | instskip(NEXT) | instid1(VALU_DEP_1)
	v_mul_f64 v[36:37], v[54:55], v[34:35]
	v_fma_f64 v[32:33], -v[32:33], v[36:37], v[54:55]
	s_delay_alu instid0(VALU_DEP_1) | instskip(NEXT) | instid1(VALU_DEP_1)
	v_div_fmas_f64 v[32:33], v[32:33], v[34:35], v[36:37]
	v_div_fixup_f64 v[13:14], v[32:33], v[15:16], v[13:14]
	s_delay_alu instid0(VALU_DEP_1) | instskip(NEXT) | instid1(VALU_DEP_1)
	v_fma_f64 v[13:14], v[13:14], v[13:14], 1.0
	v_cmp_gt_f64_e32 vcc_lo, 0x10000000, v[13:14]
	v_cndmask_b32_e64 v21, 0, 1, vcc_lo
	s_delay_alu instid0(VALU_DEP_1) | instskip(NEXT) | instid1(VALU_DEP_1)
	v_lshlrev_b32_e32 v21, 8, v21
	v_ldexp_f64 v[13:14], v[13:14], v21
	v_cndmask_b32_e64 v21, 0, 0xffffff80, vcc_lo
	s_delay_alu instid0(VALU_DEP_2) | instskip(SKIP_4) | instid1(VALU_DEP_1)
	v_rsq_f64_e32 v[32:33], v[13:14]
	v_cmp_class_f64_e64 vcc_lo, v[13:14], 0x260
	s_waitcnt_depctr 0xfff
	v_mul_f64 v[34:35], v[13:14], v[32:33]
	v_mul_f64 v[32:33], v[32:33], 0.5
	v_fma_f64 v[36:37], -v[32:33], v[34:35], 0.5
	s_delay_alu instid0(VALU_DEP_1) | instskip(SKIP_1) | instid1(VALU_DEP_2)
	v_fma_f64 v[34:35], v[34:35], v[36:37], v[34:35]
	v_fma_f64 v[32:33], v[32:33], v[36:37], v[32:33]
	v_fma_f64 v[36:37], -v[34:35], v[34:35], v[13:14]
	s_delay_alu instid0(VALU_DEP_1) | instskip(NEXT) | instid1(VALU_DEP_1)
	v_fma_f64 v[34:35], v[36:37], v[32:33], v[34:35]
	v_fma_f64 v[36:37], -v[34:35], v[34:35], v[13:14]
	s_delay_alu instid0(VALU_DEP_1) | instskip(NEXT) | instid1(VALU_DEP_1)
	v_fma_f64 v[32:33], v[36:37], v[32:33], v[34:35]
	v_ldexp_f64 v[32:33], v[32:33], v21
	s_delay_alu instid0(VALU_DEP_1) | instskip(NEXT) | instid1(VALU_DEP_1)
	v_dual_cndmask_b32 v14, v33, v14 :: v_dual_cndmask_b32 v13, v32, v13
	v_mul_f64 v[32:33], v[15:16], v[13:14]
.LBB51_36:                              ;   in Loop: Header=BB51_12 Depth=3
	s_or_b32 exec_lo, exec_lo, s75
                                        ; implicit-def: $vgpr13_vgpr14
                                        ; implicit-def: $vgpr15_vgpr16
	s_and_not1_saveexec_b32 s13, s13
	s_cbranch_execz .LBB51_32
.LBB51_37:                              ;   in Loop: Header=BB51_12 Depth=3
	v_div_scale_f64 v[32:33], null, v[13:14], v[13:14], v[15:16]
	v_div_scale_f64 v[54:55], vcc_lo, v[15:16], v[13:14], v[15:16]
	s_delay_alu instid0(VALU_DEP_2) | instskip(SKIP_2) | instid1(VALU_DEP_1)
	v_rcp_f64_e32 v[34:35], v[32:33]
	s_waitcnt_depctr 0xfff
	v_fma_f64 v[36:37], -v[32:33], v[34:35], 1.0
	v_fma_f64 v[34:35], v[34:35], v[36:37], v[34:35]
	s_delay_alu instid0(VALU_DEP_1) | instskip(NEXT) | instid1(VALU_DEP_1)
	v_fma_f64 v[36:37], -v[32:33], v[34:35], 1.0
	v_fma_f64 v[34:35], v[34:35], v[36:37], v[34:35]
	s_delay_alu instid0(VALU_DEP_1) | instskip(NEXT) | instid1(VALU_DEP_1)
	v_mul_f64 v[36:37], v[54:55], v[34:35]
	v_fma_f64 v[32:33], -v[32:33], v[36:37], v[54:55]
	s_delay_alu instid0(VALU_DEP_1) | instskip(NEXT) | instid1(VALU_DEP_1)
	v_div_fmas_f64 v[32:33], v[32:33], v[34:35], v[36:37]
	v_div_fixup_f64 v[15:16], v[32:33], v[13:14], v[15:16]
	s_delay_alu instid0(VALU_DEP_1) | instskip(NEXT) | instid1(VALU_DEP_1)
	v_fma_f64 v[15:16], v[15:16], v[15:16], 1.0
	v_cmp_gt_f64_e32 vcc_lo, 0x10000000, v[15:16]
	v_cndmask_b32_e64 v21, 0, 1, vcc_lo
	s_delay_alu instid0(VALU_DEP_1) | instskip(NEXT) | instid1(VALU_DEP_1)
	v_lshlrev_b32_e32 v21, 8, v21
	v_ldexp_f64 v[15:16], v[15:16], v21
	v_cndmask_b32_e64 v21, 0, 0xffffff80, vcc_lo
	s_delay_alu instid0(VALU_DEP_2) | instskip(SKIP_4) | instid1(VALU_DEP_1)
	v_rsq_f64_e32 v[32:33], v[15:16]
	v_cmp_class_f64_e64 vcc_lo, v[15:16], 0x260
	s_waitcnt_depctr 0xfff
	v_mul_f64 v[34:35], v[15:16], v[32:33]
	v_mul_f64 v[32:33], v[32:33], 0.5
	v_fma_f64 v[36:37], -v[32:33], v[34:35], 0.5
	s_delay_alu instid0(VALU_DEP_1) | instskip(SKIP_1) | instid1(VALU_DEP_2)
	v_fma_f64 v[34:35], v[34:35], v[36:37], v[34:35]
	v_fma_f64 v[32:33], v[32:33], v[36:37], v[32:33]
	v_fma_f64 v[36:37], -v[34:35], v[34:35], v[15:16]
	s_delay_alu instid0(VALU_DEP_1) | instskip(NEXT) | instid1(VALU_DEP_1)
	v_fma_f64 v[34:35], v[36:37], v[32:33], v[34:35]
	v_fma_f64 v[36:37], -v[34:35], v[34:35], v[15:16]
	s_delay_alu instid0(VALU_DEP_1) | instskip(NEXT) | instid1(VALU_DEP_1)
	v_fma_f64 v[32:33], v[36:37], v[32:33], v[34:35]
	v_ldexp_f64 v[32:33], v[32:33], v21
	s_delay_alu instid0(VALU_DEP_1) | instskip(NEXT) | instid1(VALU_DEP_1)
	v_dual_cndmask_b32 v16, v33, v16 :: v_dual_cndmask_b32 v15, v32, v15
	v_mul_f64 v[32:33], v[13:14], v[15:16]
	s_or_b32 exec_lo, exec_lo, s13
	s_delay_alu instid0(VALU_DEP_1) | instskip(NEXT) | instid1(VALU_DEP_1)
	v_cmp_class_f64_e64 s13, v[32:33], 0x1f8
	s_and_saveexec_b32 s75, s13
	s_cbranch_execz .LBB51_33
.LBB51_38:                              ;   in Loop: Header=BB51_12 Depth=3
	s_and_saveexec_b32 s76, s12
	s_delay_alu instid0(SALU_CYCLE_1)
	s_xor_b32 s76, exec_lo, s76
	s_cbranch_execz .LBB51_63
; %bb.39:                               ;   in Loop: Header=BB51_12 Depth=3
	s_mov_b32 s12, exec_lo
	v_cmpx_ge_i32_e64 v19, v23
	s_xor_b32 s77, exec_lo, s12
	s_cbranch_execz .LBB51_47
; %bb.40:                               ;   in Loop: Header=BB51_12 Depth=3
	v_lshlrev_b64 v[13:14], 4, v[23:24]
	s_delay_alu instid0(VALU_DEP_1) | instskip(NEXT) | instid1(VALU_DEP_2)
	v_add_co_u32 v15, vcc_lo, s54, v13
	v_add_co_ci_u32_e32 v16, vcc_lo, s55, v14, vcc_lo
	s_and_not1_b32 vcc_lo, exec_lo, s60
	global_store_b128 v[15:16], v[9:12], off
	s_cbranch_vccnz .LBB51_46
; %bb.41:                               ;   in Loop: Header=BB51_12 Depth=3
	v_add_co_u32 v13, vcc_lo, s52, v13
	v_add_co_ci_u32_e32 v14, vcc_lo, s53, v14, vcc_lo
	global_load_b128 v[13:16], v[13:14], off
	s_waitcnt vmcnt(0)
	v_add_f64 v[9:10], v[13:14], -v[9:10]
	v_add_f64 v[15:16], v[15:16], -v[11:12]
                                        ; implicit-def: $vgpr13_vgpr14
	s_delay_alu instid0(VALU_DEP_2) | instskip(NEXT) | instid1(VALU_DEP_2)
	v_cmp_gt_f64_e32 vcc_lo, 0, v[9:10]
	v_cmp_gt_f64_e64 s12, 0, v[15:16]
	v_xor_b32_e32 v11, 0x80000000, v10
	v_xor_b32_e32 v12, 0x80000000, v16
	s_delay_alu instid0(VALU_DEP_2) | instskip(NEXT) | instid1(VALU_DEP_2)
	v_dual_cndmask_b32 v10, v10, v11 :: v_dual_cndmask_b32 v9, v9, v9
	v_cndmask_b32_e64 v12, v16, v12, s12
	v_cndmask_b32_e64 v11, v15, v15, s12
	s_mov_b32 s12, exec_lo
	s_delay_alu instid0(VALU_DEP_1)
	v_cmpx_ngt_f64_e32 v[9:10], v[11:12]
	s_xor_b32 s12, exec_lo, s12
	s_cbranch_execnz .LBB51_107
; %bb.42:                               ;   in Loop: Header=BB51_12 Depth=3
	s_and_not1_saveexec_b32 s12, s12
	s_cbranch_execnz .LBB51_110
.LBB51_43:                              ;   in Loop: Header=BB51_12 Depth=3
	s_or_b32 exec_lo, exec_lo, s12
	s_delay_alu instid0(VALU_DEP_1) | instskip(NEXT) | instid1(VALU_DEP_1)
	v_cmp_class_f64_e64 s78, v[13:14], 0x1f8
	s_and_saveexec_b32 s12, s78
.LBB51_44:                              ;   in Loop: Header=BB51_12 Depth=3
	v_cmp_lt_f64_e32 vcc_lo, v[3:4], v[13:14]
	v_dual_cndmask_b32 v4, v4, v14 :: v_dual_cndmask_b32 v3, v3, v13
.LBB51_45:                              ;   in Loop: Header=BB51_12 Depth=3
	s_or_b32 exec_lo, exec_lo, s12
.LBB51_46:                              ;   in Loop: Header=BB51_12 Depth=3
                                        ; implicit-def: $vgpr9_vgpr10
.LBB51_47:                              ;   in Loop: Header=BB51_12 Depth=3
	s_and_not1_saveexec_b32 s77, s77
	s_cbranch_execz .LBB51_62
; %bb.48:                               ;   in Loop: Header=BB51_12 Depth=3
	s_mov_b32 s78, exec_lo
	v_cmpx_lt_i32_e64 v31, v53
	s_cbranch_execz .LBB51_61
; %bb.49:                               ;   in Loop: Header=BB51_12 Depth=3
	v_mov_b32_e32 v15, v31
	s_mov_b32 s12, 0
                                        ; implicit-def: $sgpr79
                                        ; implicit-def: $sgpr81
                                        ; implicit-def: $sgpr80
	s_set_inst_prefetch_distance 0x1
	s_branch .LBB51_51
	.p2align	6
.LBB51_50:                              ;   in Loop: Header=BB51_51 Depth=4
	s_or_b32 exec_lo, exec_lo, s82
	s_delay_alu instid0(SALU_CYCLE_1) | instskip(NEXT) | instid1(SALU_CYCLE_1)
	s_and_b32 s82, exec_lo, s81
	s_or_b32 s12, s82, s12
	s_and_not1_b32 s79, s79, exec_lo
	s_and_b32 s82, s80, exec_lo
	s_delay_alu instid0(SALU_CYCLE_1)
	s_or_b32 s79, s79, s82
	s_and_not1_b32 exec_lo, exec_lo, s12
	s_cbranch_execz .LBB51_53
.LBB51_51:                              ;   Parent Loop BB51_3 Depth=1
                                        ;     Parent Loop BB51_7 Depth=2
                                        ;       Parent Loop BB51_12 Depth=3
                                        ; =>      This Inner Loop Header: Depth=4
	s_delay_alu instid0(VALU_DEP_1) | instskip(SKIP_3) | instid1(VALU_DEP_1)
	v_add_nc_u32_e32 v13, v29, v15
	s_or_b32 s80, s80, exec_lo
	s_or_b32 s81, s81, exec_lo
	s_mov_b32 s82, exec_lo
	v_ashrrev_i32_e32 v14, 31, v13
	s_delay_alu instid0(VALU_DEP_1) | instskip(NEXT) | instid1(VALU_DEP_1)
	v_lshlrev_b64 v[32:33], 2, v[13:14]
	v_add_co_u32 v32, vcc_lo, s20, v32
	s_delay_alu instid0(VALU_DEP_2) | instskip(SKIP_3) | instid1(VALU_DEP_1)
	v_add_co_ci_u32_e32 v33, vcc_lo, s21, v33, vcc_lo
	global_load_b32 v16, v[32:33], off
	s_waitcnt vmcnt(0)
	v_subrev_nc_u32_e32 v16, s66, v16
	v_cmpx_ne_u32_e64 v16, v19
	s_cbranch_execz .LBB51_50
; %bb.52:                               ;   in Loop: Header=BB51_51 Depth=4
	v_add_nc_u32_e32 v15, 1, v15
	s_and_not1_b32 s81, s81, exec_lo
	s_and_not1_b32 s80, s80, exec_lo
	s_delay_alu instid0(VALU_DEP_1) | instskip(SKIP_1) | instid1(SALU_CYCLE_1)
	v_cmp_ge_i32_e32 vcc_lo, v15, v53
	s_and_b32 s83, vcc_lo, exec_lo
	s_or_b32 s81, s81, s83
	s_branch .LBB51_50
.LBB51_53:                              ;   in Loop: Header=BB51_12 Depth=3
	s_set_inst_prefetch_distance 0x2
	s_or_b32 exec_lo, exec_lo, s12
	s_and_saveexec_b32 s12, s79
	s_delay_alu instid0(SALU_CYCLE_1)
	s_xor_b32 s79, exec_lo, s12
	s_cbranch_execz .LBB51_60
; %bb.54:                               ;   in Loop: Header=BB51_12 Depth=3
	v_lshlrev_b64 v[13:14], 4, v[13:14]
	s_delay_alu instid0(VALU_DEP_1) | instskip(NEXT) | instid1(VALU_DEP_2)
	v_add_co_u32 v15, vcc_lo, s56, v13
	v_add_co_ci_u32_e32 v16, vcc_lo, s57, v14, vcc_lo
	s_and_not1_b32 vcc_lo, exec_lo, s60
	global_store_b128 v[15:16], v[9:12], off
	s_cbranch_vccnz .LBB51_60
; %bb.55:                               ;   in Loop: Header=BB51_12 Depth=3
	v_add_co_u32 v13, vcc_lo, s22, v13
	v_add_co_ci_u32_e32 v14, vcc_lo, s23, v14, vcc_lo
	global_load_b128 v[13:16], v[13:14], off
	s_waitcnt vmcnt(0)
	v_add_f64 v[9:10], v[13:14], -v[9:10]
	v_add_f64 v[15:16], v[15:16], -v[11:12]
                                        ; implicit-def: $vgpr13_vgpr14
	s_delay_alu instid0(VALU_DEP_2) | instskip(NEXT) | instid1(VALU_DEP_2)
	v_cmp_gt_f64_e32 vcc_lo, 0, v[9:10]
	v_cmp_gt_f64_e64 s12, 0, v[15:16]
	v_xor_b32_e32 v11, 0x80000000, v10
	v_xor_b32_e32 v12, 0x80000000, v16
	s_delay_alu instid0(VALU_DEP_2) | instskip(NEXT) | instid1(VALU_DEP_2)
	v_dual_cndmask_b32 v10, v10, v11 :: v_dual_cndmask_b32 v9, v9, v9
	v_cndmask_b32_e64 v12, v16, v12, s12
	v_cndmask_b32_e64 v11, v15, v15, s12
	s_mov_b32 s12, exec_lo
	s_delay_alu instid0(VALU_DEP_1)
	v_cmpx_ngt_f64_e32 v[9:10], v[11:12]
	s_xor_b32 s12, exec_lo, s12
	s_cbranch_execnz .LBB51_115
; %bb.56:                               ;   in Loop: Header=BB51_12 Depth=3
	s_and_not1_saveexec_b32 s12, s12
	s_cbranch_execnz .LBB51_118
.LBB51_57:                              ;   in Loop: Header=BB51_12 Depth=3
	s_or_b32 exec_lo, exec_lo, s12
	s_delay_alu instid0(VALU_DEP_1) | instskip(NEXT) | instid1(VALU_DEP_1)
	v_cmp_class_f64_e64 s80, v[13:14], 0x1f8
	s_and_saveexec_b32 s12, s80
.LBB51_58:                              ;   in Loop: Header=BB51_12 Depth=3
	v_cmp_lt_f64_e32 vcc_lo, v[3:4], v[13:14]
	v_dual_cndmask_b32 v4, v4, v14 :: v_dual_cndmask_b32 v3, v3, v13
.LBB51_59:                              ;   in Loop: Header=BB51_12 Depth=3
	s_or_b32 exec_lo, exec_lo, s12
.LBB51_60:                              ;   in Loop: Header=BB51_12 Depth=3
	s_delay_alu instid0(SALU_CYCLE_1)
	s_or_b32 exec_lo, exec_lo, s79
.LBB51_61:                              ;   in Loop: Header=BB51_12 Depth=3
	s_delay_alu instid0(SALU_CYCLE_1)
	s_or_b32 exec_lo, exec_lo, s78
.LBB51_62:                              ;   in Loop: Header=BB51_12 Depth=3
	s_delay_alu instid0(SALU_CYCLE_1)
	s_or_b32 exec_lo, exec_lo, s77
                                        ; implicit-def: $vgpr9_vgpr10
.LBB51_63:                              ;   in Loop: Header=BB51_12 Depth=3
	s_and_not1_saveexec_b32 s76, s76
	s_cbranch_execz .LBB51_78
; %bb.64:                               ;   in Loop: Header=BB51_12 Depth=3
	s_mov_b32 s77, exec_lo
	v_cmpx_lt_i32_e64 v17, v48
	s_cbranch_execz .LBB51_77
; %bb.65:                               ;   in Loop: Header=BB51_12 Depth=3
	v_mov_b32_e32 v15, v17
	s_mov_b32 s12, 0
                                        ; implicit-def: $sgpr78
                                        ; implicit-def: $sgpr80
                                        ; implicit-def: $sgpr79
	s_set_inst_prefetch_distance 0x1
	s_branch .LBB51_67
	.p2align	6
.LBB51_66:                              ;   in Loop: Header=BB51_67 Depth=4
	s_or_b32 exec_lo, exec_lo, s81
	s_delay_alu instid0(SALU_CYCLE_1) | instskip(NEXT) | instid1(SALU_CYCLE_1)
	s_and_b32 s81, exec_lo, s80
	s_or_b32 s12, s81, s12
	s_and_not1_b32 s78, s78, exec_lo
	s_and_b32 s81, s79, exec_lo
	s_delay_alu instid0(SALU_CYCLE_1)
	s_or_b32 s78, s78, s81
	s_and_not1_b32 exec_lo, exec_lo, s12
	s_cbranch_execz .LBB51_69
.LBB51_67:                              ;   Parent Loop BB51_3 Depth=1
                                        ;     Parent Loop BB51_7 Depth=2
                                        ;       Parent Loop BB51_12 Depth=3
                                        ; =>      This Inner Loop Header: Depth=4
	s_delay_alu instid0(VALU_DEP_1) | instskip(SKIP_3) | instid1(VALU_DEP_1)
	v_add_nc_u32_e32 v13, v22, v15
	s_or_b32 s79, s79, exec_lo
	s_or_b32 s80, s80, exec_lo
	s_mov_b32 s81, exec_lo
	v_ashrrev_i32_e32 v14, 31, v13
	s_delay_alu instid0(VALU_DEP_1) | instskip(NEXT) | instid1(VALU_DEP_1)
	v_lshlrev_b64 v[32:33], 2, v[13:14]
	v_add_co_u32 v32, vcc_lo, s28, v32
	s_delay_alu instid0(VALU_DEP_2) | instskip(SKIP_3) | instid1(VALU_DEP_1)
	v_add_co_ci_u32_e32 v33, vcc_lo, s29, v33, vcc_lo
	global_load_b32 v16, v[32:33], off
	s_waitcnt vmcnt(0)
	v_subrev_nc_u32_e32 v16, s65, v16
	v_cmpx_ne_u32_e64 v16, v23
	s_cbranch_execz .LBB51_66
; %bb.68:                               ;   in Loop: Header=BB51_67 Depth=4
	v_add_nc_u32_e32 v15, 1, v15
	s_and_not1_b32 s80, s80, exec_lo
	s_and_not1_b32 s79, s79, exec_lo
	s_delay_alu instid0(VALU_DEP_1) | instskip(SKIP_1) | instid1(SALU_CYCLE_1)
	v_cmp_ge_i32_e32 vcc_lo, v15, v48
	s_and_b32 s82, vcc_lo, exec_lo
	s_or_b32 s80, s80, s82
	s_branch .LBB51_66
.LBB51_69:                              ;   in Loop: Header=BB51_12 Depth=3
	s_set_inst_prefetch_distance 0x2
	s_or_b32 exec_lo, exec_lo, s12
	s_and_saveexec_b32 s12, s78
	s_delay_alu instid0(SALU_CYCLE_1)
	s_xor_b32 s78, exec_lo, s12
	s_cbranch_execz .LBB51_76
; %bb.70:                               ;   in Loop: Header=BB51_12 Depth=3
	v_lshlrev_b64 v[13:14], 4, v[13:14]
	s_delay_alu instid0(VALU_DEP_1) | instskip(NEXT) | instid1(VALU_DEP_2)
	v_add_co_u32 v15, vcc_lo, s14, v13
	v_add_co_ci_u32_e32 v16, vcc_lo, s15, v14, vcc_lo
	s_and_not1_b32 vcc_lo, exec_lo, s60
	global_store_b128 v[15:16], v[9:12], off
	s_cbranch_vccnz .LBB51_76
; %bb.71:                               ;   in Loop: Header=BB51_12 Depth=3
	v_add_co_u32 v13, vcc_lo, s30, v13
	v_add_co_ci_u32_e32 v14, vcc_lo, s31, v14, vcc_lo
	global_load_b128 v[13:16], v[13:14], off
	s_waitcnt vmcnt(0)
	v_add_f64 v[9:10], v[13:14], -v[9:10]
	v_add_f64 v[15:16], v[15:16], -v[11:12]
                                        ; implicit-def: $vgpr13_vgpr14
	s_delay_alu instid0(VALU_DEP_2) | instskip(NEXT) | instid1(VALU_DEP_2)
	v_cmp_gt_f64_e32 vcc_lo, 0, v[9:10]
	v_cmp_gt_f64_e64 s12, 0, v[15:16]
	v_xor_b32_e32 v11, 0x80000000, v10
	v_xor_b32_e32 v12, 0x80000000, v16
	s_delay_alu instid0(VALU_DEP_2) | instskip(NEXT) | instid1(VALU_DEP_2)
	v_dual_cndmask_b32 v10, v10, v11 :: v_dual_cndmask_b32 v9, v9, v9
	v_cndmask_b32_e64 v12, v16, v12, s12
	v_cndmask_b32_e64 v11, v15, v15, s12
	s_mov_b32 s12, exec_lo
	s_delay_alu instid0(VALU_DEP_1)
	v_cmpx_ngt_f64_e32 v[9:10], v[11:12]
	s_xor_b32 s12, exec_lo, s12
	s_cbranch_execnz .LBB51_111
; %bb.72:                               ;   in Loop: Header=BB51_12 Depth=3
	s_and_not1_saveexec_b32 s12, s12
	s_cbranch_execnz .LBB51_114
.LBB51_73:                              ;   in Loop: Header=BB51_12 Depth=3
	s_or_b32 exec_lo, exec_lo, s12
	s_delay_alu instid0(VALU_DEP_1) | instskip(NEXT) | instid1(VALU_DEP_1)
	v_cmp_class_f64_e64 s79, v[13:14], 0x1f8
	s_and_saveexec_b32 s12, s79
.LBB51_74:                              ;   in Loop: Header=BB51_12 Depth=3
	v_cmp_lt_f64_e32 vcc_lo, v[3:4], v[13:14]
	v_dual_cndmask_b32 v4, v4, v14 :: v_dual_cndmask_b32 v3, v3, v13
.LBB51_75:                              ;   in Loop: Header=BB51_12 Depth=3
	s_or_b32 exec_lo, exec_lo, s12
.LBB51_76:                              ;   in Loop: Header=BB51_12 Depth=3
	s_delay_alu instid0(SALU_CYCLE_1)
	s_or_b32 exec_lo, exec_lo, s78
.LBB51_77:                              ;   in Loop: Header=BB51_12 Depth=3
	s_delay_alu instid0(SALU_CYCLE_1)
	s_or_b32 exec_lo, exec_lo, s77
.LBB51_78:                              ;   in Loop: Header=BB51_12 Depth=3
	s_delay_alu instid0(SALU_CYCLE_1) | instskip(NEXT) | instid1(SALU_CYCLE_1)
	s_or_b32 exec_lo, exec_lo, s76
	s_or_b32 exec_lo, exec_lo, s75
	s_and_b32 s12, s13, s33
	s_delay_alu instid0(SALU_CYCLE_1)
	s_and_saveexec_b32 s13, s12
	s_cbranch_execz .LBB51_11
.LBB51_79:                              ;   in Loop: Header=BB51_12 Depth=3
	s_mov_b32 s12, exec_lo
	v_cmpx_ge_i32_e64 v31, v53
	s_xor_b32 s12, exec_lo, s12
	s_cbranch_execnz .LBB51_86
; %bb.80:                               ;   in Loop: Header=BB51_12 Depth=3
	s_and_not1_saveexec_b32 s12, s12
	s_cbranch_execnz .LBB51_100
.LBB51_81:                              ;   in Loop: Header=BB51_12 Depth=3
	s_or_b32 exec_lo, exec_lo, s12
	s_delay_alu instid0(SALU_CYCLE_1)
	s_mov_b32 s12, exec_lo
	v_cmpx_eq_u32_e64 v19, v23
	s_cbranch_execz .LBB51_83
.LBB51_82:                              ;   in Loop: Header=BB51_12 Depth=3
	v_lshlrev_b64 v[9:10], 4, v[23:24]
	s_delay_alu instid0(VALU_DEP_1) | instskip(NEXT) | instid1(VALU_DEP_2)
	v_add_co_u32 v9, vcc_lo, s52, v9
	v_add_co_ci_u32_e32 v10, vcc_lo, s53, v10, vcc_lo
	global_load_b128 v[9:12], v[9:10], off
	s_waitcnt vmcnt(0)
	v_add_f64 v[25:26], v[25:26], v[9:10]
	v_add_f64 v[27:28], v[27:28], v[11:12]
.LBB51_83:                              ;   in Loop: Header=BB51_12 Depth=3
	s_or_b32 exec_lo, exec_lo, s12
	s_delay_alu instid0(VALU_DEP_2) | instskip(NEXT) | instid1(VALU_DEP_2)
	v_add_f64 v[5:6], v[5:6], -v[25:26]
	v_add_f64 v[11:12], v[7:8], -v[27:28]
                                        ; implicit-def: $vgpr9_vgpr10
	s_delay_alu instid0(VALU_DEP_2) | instskip(NEXT) | instid1(VALU_DEP_2)
	v_cmp_gt_f64_e32 vcc_lo, 0, v[5:6]
	v_cmp_gt_f64_e64 s12, 0, v[11:12]
	v_xor_b32_e32 v7, 0x80000000, v6
	v_xor_b32_e32 v8, 0x80000000, v12
	s_delay_alu instid0(VALU_DEP_2) | instskip(NEXT) | instid1(VALU_DEP_2)
	v_dual_cndmask_b32 v6, v6, v7 :: v_dual_cndmask_b32 v5, v5, v5
	v_cndmask_b32_e64 v8, v12, v8, s12
	v_cndmask_b32_e64 v7, v11, v11, s12
	s_mov_b32 s12, exec_lo
	s_delay_alu instid0(VALU_DEP_1)
	v_cmpx_ngt_f64_e32 v[5:6], v[7:8]
	s_xor_b32 s12, exec_lo, s12
	s_cbranch_execnz .LBB51_91
; %bb.84:                               ;   in Loop: Header=BB51_12 Depth=3
	s_and_not1_saveexec_b32 s12, s12
	s_cbranch_execnz .LBB51_94
.LBB51_85:                              ;   in Loop: Header=BB51_12 Depth=3
	s_or_b32 exec_lo, exec_lo, s12
	s_delay_alu instid0(VALU_DEP_1) | instskip(NEXT) | instid1(VALU_DEP_1)
	v_cmp_class_f64_e64 s75, v[9:10], 0x1f8
	s_and_saveexec_b32 s12, s75
	s_cbranch_execz .LBB51_10
	s_branch .LBB51_95
.LBB51_86:                              ;   in Loop: Header=BB51_12 Depth=3
	s_mov_b32 s75, exec_lo
	v_cmpx_lt_i32_e64 v17, v48
	s_cbranch_execz .LBB51_99
; %bb.87:                               ;   in Loop: Header=BB51_12 Depth=3
	s_mov_b32 s77, 0
                                        ; implicit-def: $sgpr76
                                        ; implicit-def: $sgpr79
                                        ; implicit-def: $sgpr78
	s_set_inst_prefetch_distance 0x1
	s_branch .LBB51_89
	.p2align	6
.LBB51_88:                              ;   in Loop: Header=BB51_89 Depth=4
	s_or_b32 exec_lo, exec_lo, s80
	s_delay_alu instid0(SALU_CYCLE_1) | instskip(NEXT) | instid1(SALU_CYCLE_1)
	s_and_b32 s80, exec_lo, s79
	s_or_b32 s77, s80, s77
	s_and_not1_b32 s76, s76, exec_lo
	s_and_b32 s80, s78, exec_lo
	s_delay_alu instid0(SALU_CYCLE_1)
	s_or_b32 s76, s76, s80
	s_and_not1_b32 exec_lo, exec_lo, s77
	s_cbranch_execz .LBB51_96
.LBB51_89:                              ;   Parent Loop BB51_3 Depth=1
                                        ;     Parent Loop BB51_7 Depth=2
                                        ;       Parent Loop BB51_12 Depth=3
                                        ; =>      This Inner Loop Header: Depth=4
	v_add_nc_u32_e32 v9, v22, v17
	s_or_b32 s78, s78, exec_lo
	s_or_b32 s79, s79, exec_lo
	s_mov_b32 s80, exec_lo
	s_delay_alu instid0(VALU_DEP_1) | instskip(NEXT) | instid1(VALU_DEP_1)
	v_ashrrev_i32_e32 v10, 31, v9
	v_lshlrev_b64 v[11:12], 2, v[9:10]
	s_delay_alu instid0(VALU_DEP_1) | instskip(NEXT) | instid1(VALU_DEP_2)
	v_add_co_u32 v11, vcc_lo, s28, v11
	v_add_co_ci_u32_e32 v12, vcc_lo, s29, v12, vcc_lo
	global_load_b32 v11, v[11:12], off
	s_waitcnt vmcnt(0)
	v_subrev_nc_u32_e32 v11, s65, v11
	s_delay_alu instid0(VALU_DEP_1)
	v_cmpx_ne_u32_e64 v11, v23
	s_cbranch_execz .LBB51_88
; %bb.90:                               ;   in Loop: Header=BB51_89 Depth=4
	v_add_nc_u32_e32 v17, 1, v17
	s_and_not1_b32 s79, s79, exec_lo
	s_and_not1_b32 s78, s78, exec_lo
	s_delay_alu instid0(VALU_DEP_1) | instskip(SKIP_1) | instid1(SALU_CYCLE_1)
	v_cmp_ge_i32_e32 vcc_lo, v17, v48
	s_and_b32 s81, vcc_lo, exec_lo
	s_or_b32 s79, s79, s81
	s_branch .LBB51_88
.LBB51_91:                              ;   in Loop: Header=BB51_12 Depth=3
	v_mov_b32_e32 v9, 0
	v_mov_b32_e32 v10, 0
	s_mov_b32 s75, exec_lo
	v_cmpx_neq_f64_e32 0, v[11:12]
	s_cbranch_execz .LBB51_93
; %bb.92:                               ;   in Loop: Header=BB51_12 Depth=3
	v_div_scale_f64 v[9:10], null, v[7:8], v[7:8], v[5:6]
	v_div_scale_f64 v[15:16], vcc_lo, v[5:6], v[7:8], v[5:6]
	s_delay_alu instid0(VALU_DEP_2) | instskip(SKIP_2) | instid1(VALU_DEP_1)
	v_rcp_f64_e32 v[11:12], v[9:10]
	s_waitcnt_depctr 0xfff
	v_fma_f64 v[13:14], -v[9:10], v[11:12], 1.0
	v_fma_f64 v[11:12], v[11:12], v[13:14], v[11:12]
	s_delay_alu instid0(VALU_DEP_1) | instskip(NEXT) | instid1(VALU_DEP_1)
	v_fma_f64 v[13:14], -v[9:10], v[11:12], 1.0
	v_fma_f64 v[11:12], v[11:12], v[13:14], v[11:12]
	s_delay_alu instid0(VALU_DEP_1) | instskip(NEXT) | instid1(VALU_DEP_1)
	v_mul_f64 v[13:14], v[15:16], v[11:12]
	v_fma_f64 v[9:10], -v[9:10], v[13:14], v[15:16]
	s_delay_alu instid0(VALU_DEP_1) | instskip(NEXT) | instid1(VALU_DEP_1)
	v_div_fmas_f64 v[9:10], v[9:10], v[11:12], v[13:14]
	v_div_fixup_f64 v[5:6], v[9:10], v[7:8], v[5:6]
	s_delay_alu instid0(VALU_DEP_1) | instskip(NEXT) | instid1(VALU_DEP_1)
	v_fma_f64 v[5:6], v[5:6], v[5:6], 1.0
	v_cmp_gt_f64_e32 vcc_lo, 0x10000000, v[5:6]
	v_cndmask_b32_e64 v9, 0, 1, vcc_lo
	s_delay_alu instid0(VALU_DEP_1) | instskip(NEXT) | instid1(VALU_DEP_1)
	v_lshlrev_b32_e32 v9, 8, v9
	v_ldexp_f64 v[5:6], v[5:6], v9
	s_delay_alu instid0(VALU_DEP_1) | instskip(SKIP_3) | instid1(VALU_DEP_1)
	v_rsq_f64_e32 v[9:10], v[5:6]
	s_waitcnt_depctr 0xfff
	v_mul_f64 v[11:12], v[5:6], v[9:10]
	v_mul_f64 v[9:10], v[9:10], 0.5
	v_fma_f64 v[13:14], -v[9:10], v[11:12], 0.5
	s_delay_alu instid0(VALU_DEP_1) | instskip(SKIP_1) | instid1(VALU_DEP_2)
	v_fma_f64 v[11:12], v[11:12], v[13:14], v[11:12]
	v_fma_f64 v[9:10], v[9:10], v[13:14], v[9:10]
	v_fma_f64 v[13:14], -v[11:12], v[11:12], v[5:6]
	s_delay_alu instid0(VALU_DEP_1) | instskip(NEXT) | instid1(VALU_DEP_1)
	v_fma_f64 v[11:12], v[13:14], v[9:10], v[11:12]
	v_fma_f64 v[13:14], -v[11:12], v[11:12], v[5:6]
	s_delay_alu instid0(VALU_DEP_1) | instskip(SKIP_2) | instid1(VALU_DEP_2)
	v_fma_f64 v[9:10], v[13:14], v[9:10], v[11:12]
	v_cndmask_b32_e64 v11, 0, 0xffffff80, vcc_lo
	v_cmp_class_f64_e64 vcc_lo, v[5:6], 0x260
	v_ldexp_f64 v[9:10], v[9:10], v11
	s_delay_alu instid0(VALU_DEP_1) | instskip(NEXT) | instid1(VALU_DEP_1)
	v_dual_cndmask_b32 v6, v10, v6 :: v_dual_cndmask_b32 v5, v9, v5
	v_mul_f64 v[9:10], v[7:8], v[5:6]
.LBB51_93:                              ;   in Loop: Header=BB51_12 Depth=3
	s_or_b32 exec_lo, exec_lo, s75
                                        ; implicit-def: $vgpr5_vgpr6
                                        ; implicit-def: $vgpr7_vgpr8
	s_and_not1_saveexec_b32 s12, s12
	s_cbranch_execz .LBB51_85
.LBB51_94:                              ;   in Loop: Header=BB51_12 Depth=3
	v_div_scale_f64 v[9:10], null, v[5:6], v[5:6], v[7:8]
	v_div_scale_f64 v[15:16], vcc_lo, v[7:8], v[5:6], v[7:8]
	s_delay_alu instid0(VALU_DEP_2) | instskip(SKIP_2) | instid1(VALU_DEP_1)
	v_rcp_f64_e32 v[11:12], v[9:10]
	s_waitcnt_depctr 0xfff
	v_fma_f64 v[13:14], -v[9:10], v[11:12], 1.0
	v_fma_f64 v[11:12], v[11:12], v[13:14], v[11:12]
	s_delay_alu instid0(VALU_DEP_1) | instskip(NEXT) | instid1(VALU_DEP_1)
	v_fma_f64 v[13:14], -v[9:10], v[11:12], 1.0
	v_fma_f64 v[11:12], v[11:12], v[13:14], v[11:12]
	s_delay_alu instid0(VALU_DEP_1) | instskip(NEXT) | instid1(VALU_DEP_1)
	v_mul_f64 v[13:14], v[15:16], v[11:12]
	v_fma_f64 v[9:10], -v[9:10], v[13:14], v[15:16]
	s_delay_alu instid0(VALU_DEP_1) | instskip(NEXT) | instid1(VALU_DEP_1)
	v_div_fmas_f64 v[9:10], v[9:10], v[11:12], v[13:14]
	v_div_fixup_f64 v[7:8], v[9:10], v[5:6], v[7:8]
	s_delay_alu instid0(VALU_DEP_1) | instskip(NEXT) | instid1(VALU_DEP_1)
	v_fma_f64 v[7:8], v[7:8], v[7:8], 1.0
	v_cmp_gt_f64_e32 vcc_lo, 0x10000000, v[7:8]
	v_cndmask_b32_e64 v9, 0, 1, vcc_lo
	s_delay_alu instid0(VALU_DEP_1) | instskip(NEXT) | instid1(VALU_DEP_1)
	v_lshlrev_b32_e32 v9, 8, v9
	v_ldexp_f64 v[7:8], v[7:8], v9
	s_delay_alu instid0(VALU_DEP_1) | instskip(SKIP_3) | instid1(VALU_DEP_1)
	v_rsq_f64_e32 v[9:10], v[7:8]
	s_waitcnt_depctr 0xfff
	v_mul_f64 v[11:12], v[7:8], v[9:10]
	v_mul_f64 v[9:10], v[9:10], 0.5
	v_fma_f64 v[13:14], -v[9:10], v[11:12], 0.5
	s_delay_alu instid0(VALU_DEP_1) | instskip(SKIP_1) | instid1(VALU_DEP_2)
	v_fma_f64 v[11:12], v[11:12], v[13:14], v[11:12]
	v_fma_f64 v[9:10], v[9:10], v[13:14], v[9:10]
	v_fma_f64 v[13:14], -v[11:12], v[11:12], v[7:8]
	s_delay_alu instid0(VALU_DEP_1) | instskip(NEXT) | instid1(VALU_DEP_1)
	v_fma_f64 v[11:12], v[13:14], v[9:10], v[11:12]
	v_fma_f64 v[13:14], -v[11:12], v[11:12], v[7:8]
	s_delay_alu instid0(VALU_DEP_1) | instskip(SKIP_2) | instid1(VALU_DEP_2)
	v_fma_f64 v[9:10], v[13:14], v[9:10], v[11:12]
	v_cndmask_b32_e64 v11, 0, 0xffffff80, vcc_lo
	v_cmp_class_f64_e64 vcc_lo, v[7:8], 0x260
	v_ldexp_f64 v[9:10], v[9:10], v11
	s_delay_alu instid0(VALU_DEP_1) | instskip(NEXT) | instid1(VALU_DEP_1)
	v_dual_cndmask_b32 v8, v10, v8 :: v_dual_cndmask_b32 v7, v9, v7
	v_mul_f64 v[9:10], v[5:6], v[7:8]
	s_or_b32 exec_lo, exec_lo, s12
	s_delay_alu instid0(VALU_DEP_1) | instskip(NEXT) | instid1(VALU_DEP_1)
	v_cmp_class_f64_e64 s75, v[9:10], 0x1f8
	s_and_saveexec_b32 s12, s75
	s_cbranch_execz .LBB51_10
.LBB51_95:                              ;   in Loop: Header=BB51_12 Depth=3
	v_cmp_lt_f64_e32 vcc_lo, v[1:2], v[9:10]
	v_dual_cndmask_b32 v2, v2, v10 :: v_dual_cndmask_b32 v1, v1, v9
	s_branch .LBB51_10
.LBB51_96:                              ;   in Loop: Header=BB51_12 Depth=3
	s_set_inst_prefetch_distance 0x2
	s_or_b32 exec_lo, exec_lo, s77
	s_and_saveexec_b32 s77, s76
	s_delay_alu instid0(SALU_CYCLE_1)
	s_xor_b32 s76, exec_lo, s77
	s_cbranch_execz .LBB51_98
; %bb.97:                               ;   in Loop: Header=BB51_12 Depth=3
	v_lshlrev_b64 v[11:12], 4, v[23:24]
	v_lshlrev_b64 v[9:10], 4, v[9:10]
	s_delay_alu instid0(VALU_DEP_2) | instskip(NEXT) | instid1(VALU_DEP_3)
	v_add_co_u32 v11, vcc_lo, s52, v11
	v_add_co_ci_u32_e32 v12, vcc_lo, s53, v12, vcc_lo
	s_delay_alu instid0(VALU_DEP_3) | instskip(NEXT) | instid1(VALU_DEP_4)
	v_add_co_u32 v13, vcc_lo, s30, v9
	v_add_co_ci_u32_e32 v14, vcc_lo, s31, v10, vcc_lo
	global_load_b128 v[9:12], v[11:12], off
	global_load_b128 v[13:16], v[13:14], off
	s_waitcnt vmcnt(0)
	v_mul_f64 v[29:30], v[11:12], -v[15:16]
	v_mul_f64 v[11:12], v[11:12], v[13:14]
	s_delay_alu instid0(VALU_DEP_2) | instskip(NEXT) | instid1(VALU_DEP_2)
	v_fma_f64 v[13:14], v[13:14], v[9:10], v[29:30]
	v_fma_f64 v[9:10], v[15:16], v[9:10], v[11:12]
	s_delay_alu instid0(VALU_DEP_2) | instskip(NEXT) | instid1(VALU_DEP_2)
	v_add_f64 v[25:26], v[25:26], v[13:14]
	v_add_f64 v[27:28], v[27:28], v[9:10]
.LBB51_98:                              ;   in Loop: Header=BB51_12 Depth=3
	s_or_b32 exec_lo, exec_lo, s76
.LBB51_99:                              ;   in Loop: Header=BB51_12 Depth=3
	s_delay_alu instid0(SALU_CYCLE_1)
	s_or_b32 exec_lo, exec_lo, s75
                                        ; implicit-def: $vgpr31
                                        ; implicit-def: $vgpr29
                                        ; implicit-def: $vgpr53
	s_and_not1_saveexec_b32 s12, s12
	s_cbranch_execz .LBB51_81
.LBB51_100:                             ;   in Loop: Header=BB51_12 Depth=3
	s_mov_b32 s76, 0
                                        ; implicit-def: $sgpr75
                                        ; implicit-def: $sgpr78
                                        ; implicit-def: $sgpr77
	s_set_inst_prefetch_distance 0x1
	s_branch .LBB51_102
	.p2align	6
.LBB51_101:                             ;   in Loop: Header=BB51_102 Depth=4
	s_or_b32 exec_lo, exec_lo, s79
	s_delay_alu instid0(SALU_CYCLE_1) | instskip(NEXT) | instid1(SALU_CYCLE_1)
	s_and_b32 s79, exec_lo, s78
	s_or_b32 s76, s79, s76
	s_and_not1_b32 s75, s75, exec_lo
	s_and_b32 s79, s77, exec_lo
	s_delay_alu instid0(SALU_CYCLE_1)
	s_or_b32 s75, s75, s79
	s_and_not1_b32 exec_lo, exec_lo, s76
	s_cbranch_execz .LBB51_104
.LBB51_102:                             ;   Parent Loop BB51_3 Depth=1
                                        ;     Parent Loop BB51_7 Depth=2
                                        ;       Parent Loop BB51_12 Depth=3
                                        ; =>      This Inner Loop Header: Depth=4
	v_add_nc_u32_e32 v9, v29, v31
	s_or_b32 s77, s77, exec_lo
	s_or_b32 s78, s78, exec_lo
	s_mov_b32 s79, exec_lo
	s_delay_alu instid0(VALU_DEP_1) | instskip(NEXT) | instid1(VALU_DEP_1)
	v_ashrrev_i32_e32 v10, 31, v9
	v_lshlrev_b64 v[11:12], 2, v[9:10]
	s_delay_alu instid0(VALU_DEP_1) | instskip(NEXT) | instid1(VALU_DEP_2)
	v_add_co_u32 v11, vcc_lo, s20, v11
	v_add_co_ci_u32_e32 v12, vcc_lo, s21, v12, vcc_lo
	global_load_b32 v11, v[11:12], off
	s_waitcnt vmcnt(0)
	v_subrev_nc_u32_e32 v11, s66, v11
	s_delay_alu instid0(VALU_DEP_1)
	v_cmpx_ne_u32_e64 v11, v19
	s_cbranch_execz .LBB51_101
; %bb.103:                              ;   in Loop: Header=BB51_102 Depth=4
	v_add_nc_u32_e32 v31, 1, v31
	s_and_not1_b32 s78, s78, exec_lo
	s_and_not1_b32 s77, s77, exec_lo
	s_delay_alu instid0(VALU_DEP_1) | instskip(SKIP_1) | instid1(SALU_CYCLE_1)
	v_cmp_ge_i32_e32 vcc_lo, v31, v53
	s_and_b32 s80, vcc_lo, exec_lo
	s_or_b32 s78, s78, s80
	s_branch .LBB51_101
.LBB51_104:                             ;   in Loop: Header=BB51_12 Depth=3
	s_set_inst_prefetch_distance 0x2
	s_or_b32 exec_lo, exec_lo, s76
	s_and_saveexec_b32 s76, s75
	s_delay_alu instid0(SALU_CYCLE_1)
	s_xor_b32 s75, exec_lo, s76
	s_cbranch_execz .LBB51_106
; %bb.105:                              ;   in Loop: Header=BB51_12 Depth=3
	v_lshlrev_b64 v[9:10], 4, v[9:10]
	s_delay_alu instid0(VALU_DEP_1) | instskip(NEXT) | instid1(VALU_DEP_2)
	v_add_co_u32 v9, vcc_lo, s22, v9
	v_add_co_ci_u32_e32 v10, vcc_lo, s23, v10, vcc_lo
	global_load_b128 v[9:12], v[9:10], off
	s_waitcnt vmcnt(0)
	v_add_f64 v[25:26], v[25:26], v[9:10]
	v_add_f64 v[27:28], v[27:28], v[11:12]
.LBB51_106:                             ;   in Loop: Header=BB51_12 Depth=3
	s_or_b32 exec_lo, exec_lo, s75
	s_delay_alu instid0(SALU_CYCLE_1) | instskip(NEXT) | instid1(SALU_CYCLE_1)
	s_or_b32 exec_lo, exec_lo, s12
	s_mov_b32 s12, exec_lo
	v_cmpx_eq_u32_e64 v19, v23
	s_cbranch_execnz .LBB51_82
	s_branch .LBB51_83
.LBB51_107:                             ;   in Loop: Header=BB51_12 Depth=3
	v_mov_b32_e32 v13, 0
	v_mov_b32_e32 v14, 0
	s_mov_b32 s78, exec_lo
	v_cmpx_neq_f64_e32 0, v[15:16]
	s_cbranch_execz .LBB51_109
; %bb.108:                              ;   in Loop: Header=BB51_12 Depth=3
	v_div_scale_f64 v[13:14], null, v[11:12], v[11:12], v[9:10]
	v_div_scale_f64 v[34:35], vcc_lo, v[9:10], v[11:12], v[9:10]
	s_delay_alu instid0(VALU_DEP_2) | instskip(SKIP_2) | instid1(VALU_DEP_1)
	v_rcp_f64_e32 v[15:16], v[13:14]
	s_waitcnt_depctr 0xfff
	v_fma_f64 v[32:33], -v[13:14], v[15:16], 1.0
	v_fma_f64 v[15:16], v[15:16], v[32:33], v[15:16]
	s_delay_alu instid0(VALU_DEP_1) | instskip(NEXT) | instid1(VALU_DEP_1)
	v_fma_f64 v[32:33], -v[13:14], v[15:16], 1.0
	v_fma_f64 v[15:16], v[15:16], v[32:33], v[15:16]
	s_delay_alu instid0(VALU_DEP_1) | instskip(NEXT) | instid1(VALU_DEP_1)
	v_mul_f64 v[32:33], v[34:35], v[15:16]
	v_fma_f64 v[13:14], -v[13:14], v[32:33], v[34:35]
	s_delay_alu instid0(VALU_DEP_1) | instskip(NEXT) | instid1(VALU_DEP_1)
	v_div_fmas_f64 v[13:14], v[13:14], v[15:16], v[32:33]
	v_div_fixup_f64 v[9:10], v[13:14], v[11:12], v[9:10]
	s_delay_alu instid0(VALU_DEP_1) | instskip(NEXT) | instid1(VALU_DEP_1)
	v_fma_f64 v[9:10], v[9:10], v[9:10], 1.0
	v_cmp_gt_f64_e32 vcc_lo, 0x10000000, v[9:10]
	v_cndmask_b32_e64 v13, 0, 1, vcc_lo
	s_delay_alu instid0(VALU_DEP_1) | instskip(NEXT) | instid1(VALU_DEP_1)
	v_lshlrev_b32_e32 v13, 8, v13
	v_ldexp_f64 v[9:10], v[9:10], v13
	s_delay_alu instid0(VALU_DEP_1) | instskip(SKIP_3) | instid1(VALU_DEP_1)
	v_rsq_f64_e32 v[13:14], v[9:10]
	s_waitcnt_depctr 0xfff
	v_mul_f64 v[15:16], v[9:10], v[13:14]
	v_mul_f64 v[13:14], v[13:14], 0.5
	v_fma_f64 v[32:33], -v[13:14], v[15:16], 0.5
	s_delay_alu instid0(VALU_DEP_1) | instskip(SKIP_1) | instid1(VALU_DEP_2)
	v_fma_f64 v[15:16], v[15:16], v[32:33], v[15:16]
	v_fma_f64 v[13:14], v[13:14], v[32:33], v[13:14]
	v_fma_f64 v[32:33], -v[15:16], v[15:16], v[9:10]
	s_delay_alu instid0(VALU_DEP_1) | instskip(NEXT) | instid1(VALU_DEP_1)
	v_fma_f64 v[15:16], v[32:33], v[13:14], v[15:16]
	v_fma_f64 v[32:33], -v[15:16], v[15:16], v[9:10]
	s_delay_alu instid0(VALU_DEP_1) | instskip(SKIP_2) | instid1(VALU_DEP_2)
	v_fma_f64 v[13:14], v[32:33], v[13:14], v[15:16]
	v_cndmask_b32_e64 v15, 0, 0xffffff80, vcc_lo
	v_cmp_class_f64_e64 vcc_lo, v[9:10], 0x260
	v_ldexp_f64 v[13:14], v[13:14], v15
	s_delay_alu instid0(VALU_DEP_1) | instskip(NEXT) | instid1(VALU_DEP_1)
	v_dual_cndmask_b32 v10, v14, v10 :: v_dual_cndmask_b32 v9, v13, v9
	v_mul_f64 v[13:14], v[11:12], v[9:10]
.LBB51_109:                             ;   in Loop: Header=BB51_12 Depth=3
	s_or_b32 exec_lo, exec_lo, s78
                                        ; implicit-def: $vgpr9_vgpr10
                                        ; implicit-def: $vgpr11_vgpr12
	s_and_not1_saveexec_b32 s12, s12
	s_cbranch_execz .LBB51_43
.LBB51_110:                             ;   in Loop: Header=BB51_12 Depth=3
	v_div_scale_f64 v[13:14], null, v[9:10], v[9:10], v[11:12]
	v_div_scale_f64 v[34:35], vcc_lo, v[11:12], v[9:10], v[11:12]
	s_delay_alu instid0(VALU_DEP_2) | instskip(SKIP_2) | instid1(VALU_DEP_1)
	v_rcp_f64_e32 v[15:16], v[13:14]
	s_waitcnt_depctr 0xfff
	v_fma_f64 v[32:33], -v[13:14], v[15:16], 1.0
	v_fma_f64 v[15:16], v[15:16], v[32:33], v[15:16]
	s_delay_alu instid0(VALU_DEP_1) | instskip(NEXT) | instid1(VALU_DEP_1)
	v_fma_f64 v[32:33], -v[13:14], v[15:16], 1.0
	v_fma_f64 v[15:16], v[15:16], v[32:33], v[15:16]
	s_delay_alu instid0(VALU_DEP_1) | instskip(NEXT) | instid1(VALU_DEP_1)
	v_mul_f64 v[32:33], v[34:35], v[15:16]
	v_fma_f64 v[13:14], -v[13:14], v[32:33], v[34:35]
	s_delay_alu instid0(VALU_DEP_1) | instskip(NEXT) | instid1(VALU_DEP_1)
	v_div_fmas_f64 v[13:14], v[13:14], v[15:16], v[32:33]
	v_div_fixup_f64 v[11:12], v[13:14], v[9:10], v[11:12]
	s_delay_alu instid0(VALU_DEP_1) | instskip(NEXT) | instid1(VALU_DEP_1)
	v_fma_f64 v[11:12], v[11:12], v[11:12], 1.0
	v_cmp_gt_f64_e32 vcc_lo, 0x10000000, v[11:12]
	v_cndmask_b32_e64 v13, 0, 1, vcc_lo
	s_delay_alu instid0(VALU_DEP_1) | instskip(NEXT) | instid1(VALU_DEP_1)
	v_lshlrev_b32_e32 v13, 8, v13
	v_ldexp_f64 v[11:12], v[11:12], v13
	s_delay_alu instid0(VALU_DEP_1) | instskip(SKIP_3) | instid1(VALU_DEP_1)
	v_rsq_f64_e32 v[13:14], v[11:12]
	s_waitcnt_depctr 0xfff
	v_mul_f64 v[15:16], v[11:12], v[13:14]
	v_mul_f64 v[13:14], v[13:14], 0.5
	v_fma_f64 v[32:33], -v[13:14], v[15:16], 0.5
	s_delay_alu instid0(VALU_DEP_1) | instskip(SKIP_1) | instid1(VALU_DEP_2)
	v_fma_f64 v[15:16], v[15:16], v[32:33], v[15:16]
	v_fma_f64 v[13:14], v[13:14], v[32:33], v[13:14]
	v_fma_f64 v[32:33], -v[15:16], v[15:16], v[11:12]
	s_delay_alu instid0(VALU_DEP_1) | instskip(NEXT) | instid1(VALU_DEP_1)
	v_fma_f64 v[15:16], v[32:33], v[13:14], v[15:16]
	v_fma_f64 v[32:33], -v[15:16], v[15:16], v[11:12]
	s_delay_alu instid0(VALU_DEP_1) | instskip(SKIP_2) | instid1(VALU_DEP_2)
	v_fma_f64 v[13:14], v[32:33], v[13:14], v[15:16]
	v_cndmask_b32_e64 v15, 0, 0xffffff80, vcc_lo
	v_cmp_class_f64_e64 vcc_lo, v[11:12], 0x260
	v_ldexp_f64 v[13:14], v[13:14], v15
	s_delay_alu instid0(VALU_DEP_1) | instskip(NEXT) | instid1(VALU_DEP_1)
	v_dual_cndmask_b32 v12, v14, v12 :: v_dual_cndmask_b32 v11, v13, v11
	v_mul_f64 v[13:14], v[9:10], v[11:12]
	s_or_b32 exec_lo, exec_lo, s12
	s_delay_alu instid0(VALU_DEP_1) | instskip(NEXT) | instid1(VALU_DEP_1)
	v_cmp_class_f64_e64 s78, v[13:14], 0x1f8
	s_and_saveexec_b32 s12, s78
	s_cbranch_execnz .LBB51_44
	s_branch .LBB51_45
.LBB51_111:                             ;   in Loop: Header=BB51_12 Depth=3
	v_mov_b32_e32 v13, 0
	v_mov_b32_e32 v14, 0
	s_mov_b32 s79, exec_lo
	v_cmpx_neq_f64_e32 0, v[15:16]
	s_cbranch_execz .LBB51_113
; %bb.112:                              ;   in Loop: Header=BB51_12 Depth=3
	v_div_scale_f64 v[13:14], null, v[11:12], v[11:12], v[9:10]
	v_div_scale_f64 v[34:35], vcc_lo, v[9:10], v[11:12], v[9:10]
	s_delay_alu instid0(VALU_DEP_2) | instskip(SKIP_2) | instid1(VALU_DEP_1)
	v_rcp_f64_e32 v[15:16], v[13:14]
	s_waitcnt_depctr 0xfff
	v_fma_f64 v[32:33], -v[13:14], v[15:16], 1.0
	v_fma_f64 v[15:16], v[15:16], v[32:33], v[15:16]
	s_delay_alu instid0(VALU_DEP_1) | instskip(NEXT) | instid1(VALU_DEP_1)
	v_fma_f64 v[32:33], -v[13:14], v[15:16], 1.0
	v_fma_f64 v[15:16], v[15:16], v[32:33], v[15:16]
	s_delay_alu instid0(VALU_DEP_1) | instskip(NEXT) | instid1(VALU_DEP_1)
	v_mul_f64 v[32:33], v[34:35], v[15:16]
	v_fma_f64 v[13:14], -v[13:14], v[32:33], v[34:35]
	s_delay_alu instid0(VALU_DEP_1) | instskip(NEXT) | instid1(VALU_DEP_1)
	v_div_fmas_f64 v[13:14], v[13:14], v[15:16], v[32:33]
	v_div_fixup_f64 v[9:10], v[13:14], v[11:12], v[9:10]
	s_delay_alu instid0(VALU_DEP_1) | instskip(NEXT) | instid1(VALU_DEP_1)
	v_fma_f64 v[9:10], v[9:10], v[9:10], 1.0
	v_cmp_gt_f64_e32 vcc_lo, 0x10000000, v[9:10]
	v_cndmask_b32_e64 v13, 0, 1, vcc_lo
	s_delay_alu instid0(VALU_DEP_1) | instskip(NEXT) | instid1(VALU_DEP_1)
	v_lshlrev_b32_e32 v13, 8, v13
	v_ldexp_f64 v[9:10], v[9:10], v13
	s_delay_alu instid0(VALU_DEP_1) | instskip(SKIP_3) | instid1(VALU_DEP_1)
	v_rsq_f64_e32 v[13:14], v[9:10]
	s_waitcnt_depctr 0xfff
	v_mul_f64 v[15:16], v[9:10], v[13:14]
	v_mul_f64 v[13:14], v[13:14], 0.5
	v_fma_f64 v[32:33], -v[13:14], v[15:16], 0.5
	s_delay_alu instid0(VALU_DEP_1) | instskip(SKIP_1) | instid1(VALU_DEP_2)
	v_fma_f64 v[15:16], v[15:16], v[32:33], v[15:16]
	v_fma_f64 v[13:14], v[13:14], v[32:33], v[13:14]
	v_fma_f64 v[32:33], -v[15:16], v[15:16], v[9:10]
	s_delay_alu instid0(VALU_DEP_1) | instskip(NEXT) | instid1(VALU_DEP_1)
	v_fma_f64 v[15:16], v[32:33], v[13:14], v[15:16]
	v_fma_f64 v[32:33], -v[15:16], v[15:16], v[9:10]
	s_delay_alu instid0(VALU_DEP_1) | instskip(SKIP_2) | instid1(VALU_DEP_2)
	v_fma_f64 v[13:14], v[32:33], v[13:14], v[15:16]
	v_cndmask_b32_e64 v15, 0, 0xffffff80, vcc_lo
	v_cmp_class_f64_e64 vcc_lo, v[9:10], 0x260
	v_ldexp_f64 v[13:14], v[13:14], v15
	s_delay_alu instid0(VALU_DEP_1) | instskip(NEXT) | instid1(VALU_DEP_1)
	v_dual_cndmask_b32 v10, v14, v10 :: v_dual_cndmask_b32 v9, v13, v9
	v_mul_f64 v[13:14], v[11:12], v[9:10]
.LBB51_113:                             ;   in Loop: Header=BB51_12 Depth=3
	s_or_b32 exec_lo, exec_lo, s79
                                        ; implicit-def: $vgpr9_vgpr10
                                        ; implicit-def: $vgpr11_vgpr12
	s_and_not1_saveexec_b32 s12, s12
	s_cbranch_execz .LBB51_73
.LBB51_114:                             ;   in Loop: Header=BB51_12 Depth=3
	v_div_scale_f64 v[13:14], null, v[9:10], v[9:10], v[11:12]
	v_div_scale_f64 v[34:35], vcc_lo, v[11:12], v[9:10], v[11:12]
	s_delay_alu instid0(VALU_DEP_2) | instskip(SKIP_2) | instid1(VALU_DEP_1)
	v_rcp_f64_e32 v[15:16], v[13:14]
	s_waitcnt_depctr 0xfff
	v_fma_f64 v[32:33], -v[13:14], v[15:16], 1.0
	v_fma_f64 v[15:16], v[15:16], v[32:33], v[15:16]
	s_delay_alu instid0(VALU_DEP_1) | instskip(NEXT) | instid1(VALU_DEP_1)
	v_fma_f64 v[32:33], -v[13:14], v[15:16], 1.0
	v_fma_f64 v[15:16], v[15:16], v[32:33], v[15:16]
	s_delay_alu instid0(VALU_DEP_1) | instskip(NEXT) | instid1(VALU_DEP_1)
	v_mul_f64 v[32:33], v[34:35], v[15:16]
	v_fma_f64 v[13:14], -v[13:14], v[32:33], v[34:35]
	s_delay_alu instid0(VALU_DEP_1) | instskip(NEXT) | instid1(VALU_DEP_1)
	v_div_fmas_f64 v[13:14], v[13:14], v[15:16], v[32:33]
	v_div_fixup_f64 v[11:12], v[13:14], v[9:10], v[11:12]
	s_delay_alu instid0(VALU_DEP_1) | instskip(NEXT) | instid1(VALU_DEP_1)
	v_fma_f64 v[11:12], v[11:12], v[11:12], 1.0
	v_cmp_gt_f64_e32 vcc_lo, 0x10000000, v[11:12]
	v_cndmask_b32_e64 v13, 0, 1, vcc_lo
	s_delay_alu instid0(VALU_DEP_1) | instskip(NEXT) | instid1(VALU_DEP_1)
	v_lshlrev_b32_e32 v13, 8, v13
	v_ldexp_f64 v[11:12], v[11:12], v13
	s_delay_alu instid0(VALU_DEP_1) | instskip(SKIP_3) | instid1(VALU_DEP_1)
	v_rsq_f64_e32 v[13:14], v[11:12]
	s_waitcnt_depctr 0xfff
	v_mul_f64 v[15:16], v[11:12], v[13:14]
	v_mul_f64 v[13:14], v[13:14], 0.5
	v_fma_f64 v[32:33], -v[13:14], v[15:16], 0.5
	s_delay_alu instid0(VALU_DEP_1) | instskip(SKIP_1) | instid1(VALU_DEP_2)
	v_fma_f64 v[15:16], v[15:16], v[32:33], v[15:16]
	v_fma_f64 v[13:14], v[13:14], v[32:33], v[13:14]
	v_fma_f64 v[32:33], -v[15:16], v[15:16], v[11:12]
	s_delay_alu instid0(VALU_DEP_1) | instskip(NEXT) | instid1(VALU_DEP_1)
	v_fma_f64 v[15:16], v[32:33], v[13:14], v[15:16]
	v_fma_f64 v[32:33], -v[15:16], v[15:16], v[11:12]
	s_delay_alu instid0(VALU_DEP_1) | instskip(SKIP_2) | instid1(VALU_DEP_2)
	v_fma_f64 v[13:14], v[32:33], v[13:14], v[15:16]
	v_cndmask_b32_e64 v15, 0, 0xffffff80, vcc_lo
	v_cmp_class_f64_e64 vcc_lo, v[11:12], 0x260
	v_ldexp_f64 v[13:14], v[13:14], v15
	s_delay_alu instid0(VALU_DEP_1) | instskip(NEXT) | instid1(VALU_DEP_1)
	v_dual_cndmask_b32 v12, v14, v12 :: v_dual_cndmask_b32 v11, v13, v11
	v_mul_f64 v[13:14], v[9:10], v[11:12]
	s_or_b32 exec_lo, exec_lo, s12
	s_delay_alu instid0(VALU_DEP_1) | instskip(NEXT) | instid1(VALU_DEP_1)
	v_cmp_class_f64_e64 s79, v[13:14], 0x1f8
	s_and_saveexec_b32 s12, s79
	s_cbranch_execnz .LBB51_74
	s_branch .LBB51_75
.LBB51_115:                             ;   in Loop: Header=BB51_12 Depth=3
	v_mov_b32_e32 v13, 0
	v_mov_b32_e32 v14, 0
	s_mov_b32 s80, exec_lo
	v_cmpx_neq_f64_e32 0, v[15:16]
	s_cbranch_execz .LBB51_117
; %bb.116:                              ;   in Loop: Header=BB51_12 Depth=3
	v_div_scale_f64 v[13:14], null, v[11:12], v[11:12], v[9:10]
	v_div_scale_f64 v[34:35], vcc_lo, v[9:10], v[11:12], v[9:10]
	s_delay_alu instid0(VALU_DEP_2) | instskip(SKIP_2) | instid1(VALU_DEP_1)
	v_rcp_f64_e32 v[15:16], v[13:14]
	s_waitcnt_depctr 0xfff
	v_fma_f64 v[32:33], -v[13:14], v[15:16], 1.0
	v_fma_f64 v[15:16], v[15:16], v[32:33], v[15:16]
	s_delay_alu instid0(VALU_DEP_1) | instskip(NEXT) | instid1(VALU_DEP_1)
	v_fma_f64 v[32:33], -v[13:14], v[15:16], 1.0
	v_fma_f64 v[15:16], v[15:16], v[32:33], v[15:16]
	s_delay_alu instid0(VALU_DEP_1) | instskip(NEXT) | instid1(VALU_DEP_1)
	v_mul_f64 v[32:33], v[34:35], v[15:16]
	v_fma_f64 v[13:14], -v[13:14], v[32:33], v[34:35]
	s_delay_alu instid0(VALU_DEP_1) | instskip(NEXT) | instid1(VALU_DEP_1)
	v_div_fmas_f64 v[13:14], v[13:14], v[15:16], v[32:33]
	v_div_fixup_f64 v[9:10], v[13:14], v[11:12], v[9:10]
	s_delay_alu instid0(VALU_DEP_1) | instskip(NEXT) | instid1(VALU_DEP_1)
	v_fma_f64 v[9:10], v[9:10], v[9:10], 1.0
	v_cmp_gt_f64_e32 vcc_lo, 0x10000000, v[9:10]
	v_cndmask_b32_e64 v13, 0, 1, vcc_lo
	s_delay_alu instid0(VALU_DEP_1) | instskip(NEXT) | instid1(VALU_DEP_1)
	v_lshlrev_b32_e32 v13, 8, v13
	v_ldexp_f64 v[9:10], v[9:10], v13
	s_delay_alu instid0(VALU_DEP_1) | instskip(SKIP_3) | instid1(VALU_DEP_1)
	v_rsq_f64_e32 v[13:14], v[9:10]
	s_waitcnt_depctr 0xfff
	v_mul_f64 v[15:16], v[9:10], v[13:14]
	v_mul_f64 v[13:14], v[13:14], 0.5
	v_fma_f64 v[32:33], -v[13:14], v[15:16], 0.5
	s_delay_alu instid0(VALU_DEP_1) | instskip(SKIP_1) | instid1(VALU_DEP_2)
	v_fma_f64 v[15:16], v[15:16], v[32:33], v[15:16]
	v_fma_f64 v[13:14], v[13:14], v[32:33], v[13:14]
	v_fma_f64 v[32:33], -v[15:16], v[15:16], v[9:10]
	s_delay_alu instid0(VALU_DEP_1) | instskip(NEXT) | instid1(VALU_DEP_1)
	v_fma_f64 v[15:16], v[32:33], v[13:14], v[15:16]
	v_fma_f64 v[32:33], -v[15:16], v[15:16], v[9:10]
	s_delay_alu instid0(VALU_DEP_1) | instskip(SKIP_2) | instid1(VALU_DEP_2)
	v_fma_f64 v[13:14], v[32:33], v[13:14], v[15:16]
	v_cndmask_b32_e64 v15, 0, 0xffffff80, vcc_lo
	v_cmp_class_f64_e64 vcc_lo, v[9:10], 0x260
	v_ldexp_f64 v[13:14], v[13:14], v15
	s_delay_alu instid0(VALU_DEP_1) | instskip(NEXT) | instid1(VALU_DEP_1)
	v_dual_cndmask_b32 v10, v14, v10 :: v_dual_cndmask_b32 v9, v13, v9
	v_mul_f64 v[13:14], v[11:12], v[9:10]
.LBB51_117:                             ;   in Loop: Header=BB51_12 Depth=3
	s_or_b32 exec_lo, exec_lo, s80
                                        ; implicit-def: $vgpr9_vgpr10
                                        ; implicit-def: $vgpr11_vgpr12
	s_and_not1_saveexec_b32 s12, s12
	s_cbranch_execz .LBB51_57
.LBB51_118:                             ;   in Loop: Header=BB51_12 Depth=3
	v_div_scale_f64 v[13:14], null, v[9:10], v[9:10], v[11:12]
	v_div_scale_f64 v[34:35], vcc_lo, v[11:12], v[9:10], v[11:12]
	s_delay_alu instid0(VALU_DEP_2) | instskip(SKIP_2) | instid1(VALU_DEP_1)
	v_rcp_f64_e32 v[15:16], v[13:14]
	s_waitcnt_depctr 0xfff
	v_fma_f64 v[32:33], -v[13:14], v[15:16], 1.0
	v_fma_f64 v[15:16], v[15:16], v[32:33], v[15:16]
	s_delay_alu instid0(VALU_DEP_1) | instskip(NEXT) | instid1(VALU_DEP_1)
	v_fma_f64 v[32:33], -v[13:14], v[15:16], 1.0
	v_fma_f64 v[15:16], v[15:16], v[32:33], v[15:16]
	s_delay_alu instid0(VALU_DEP_1) | instskip(NEXT) | instid1(VALU_DEP_1)
	v_mul_f64 v[32:33], v[34:35], v[15:16]
	v_fma_f64 v[13:14], -v[13:14], v[32:33], v[34:35]
	s_delay_alu instid0(VALU_DEP_1) | instskip(NEXT) | instid1(VALU_DEP_1)
	v_div_fmas_f64 v[13:14], v[13:14], v[15:16], v[32:33]
	v_div_fixup_f64 v[11:12], v[13:14], v[9:10], v[11:12]
	s_delay_alu instid0(VALU_DEP_1) | instskip(NEXT) | instid1(VALU_DEP_1)
	v_fma_f64 v[11:12], v[11:12], v[11:12], 1.0
	v_cmp_gt_f64_e32 vcc_lo, 0x10000000, v[11:12]
	v_cndmask_b32_e64 v13, 0, 1, vcc_lo
	s_delay_alu instid0(VALU_DEP_1) | instskip(NEXT) | instid1(VALU_DEP_1)
	v_lshlrev_b32_e32 v13, 8, v13
	v_ldexp_f64 v[11:12], v[11:12], v13
	s_delay_alu instid0(VALU_DEP_1) | instskip(SKIP_3) | instid1(VALU_DEP_1)
	v_rsq_f64_e32 v[13:14], v[11:12]
	s_waitcnt_depctr 0xfff
	v_mul_f64 v[15:16], v[11:12], v[13:14]
	v_mul_f64 v[13:14], v[13:14], 0.5
	v_fma_f64 v[32:33], -v[13:14], v[15:16], 0.5
	s_delay_alu instid0(VALU_DEP_1) | instskip(SKIP_1) | instid1(VALU_DEP_2)
	v_fma_f64 v[15:16], v[15:16], v[32:33], v[15:16]
	v_fma_f64 v[13:14], v[13:14], v[32:33], v[13:14]
	v_fma_f64 v[32:33], -v[15:16], v[15:16], v[11:12]
	s_delay_alu instid0(VALU_DEP_1) | instskip(NEXT) | instid1(VALU_DEP_1)
	v_fma_f64 v[15:16], v[32:33], v[13:14], v[15:16]
	v_fma_f64 v[32:33], -v[15:16], v[15:16], v[11:12]
	s_delay_alu instid0(VALU_DEP_1) | instskip(SKIP_2) | instid1(VALU_DEP_2)
	v_fma_f64 v[13:14], v[32:33], v[13:14], v[15:16]
	v_cndmask_b32_e64 v15, 0, 0xffffff80, vcc_lo
	v_cmp_class_f64_e64 vcc_lo, v[11:12], 0x260
	v_ldexp_f64 v[13:14], v[13:14], v15
	s_delay_alu instid0(VALU_DEP_1) | instskip(NEXT) | instid1(VALU_DEP_1)
	v_dual_cndmask_b32 v12, v14, v12 :: v_dual_cndmask_b32 v11, v13, v11
	v_mul_f64 v[13:14], v[9:10], v[11:12]
	s_or_b32 exec_lo, exec_lo, s12
	s_delay_alu instid0(VALU_DEP_1) | instskip(NEXT) | instid1(VALU_DEP_1)
	v_cmp_class_f64_e64 s80, v[13:14], 0x1f8
	s_and_saveexec_b32 s12, s80
	s_cbranch_execnz .LBB51_58
	s_branch .LBB51_59
.LBB51_119:                             ;   in Loop: Header=BB51_3 Depth=1
	v_xor_b32_e32 v8, 2, v40
	v_xor_b32_e32 v7, 1, v40
	s_and_b32 vcc_lo, exec_lo, s60
	s_cbranch_vccnz .LBB51_122
; %bb.120:                              ;   in Loop: Header=BB51_3 Depth=1
	s_and_not1_b32 vcc_lo, exec_lo, s33
	s_cbranch_vccz .LBB51_141
.LBB51_121:                             ;   in Loop: Header=BB51_3 Depth=1
	s_and_saveexec_b32 s12, s7
	s_cbranch_execnz .LBB51_160
	s_branch .LBB51_171
.LBB51_122:                             ;   in Loop: Header=BB51_3 Depth=1
	s_delay_alu instid0(VALU_DEP_2) | instskip(NEXT) | instid1(VALU_DEP_2)
	v_cmp_gt_i32_e32 vcc_lo, 32, v8
	v_cmp_gt_i32_e64 s11, 32, v7
	v_cndmask_b32_e32 v5, v40, v8, vcc_lo
	s_delay_alu instid0(VALU_DEP_2) | instskip(NEXT) | instid1(VALU_DEP_2)
	v_cndmask_b32_e64 v9, v40, v7, s11
	v_lshlrev_b32_e32 v6, 2, v5
	ds_bpermute_b32 v5, v6, v3
	ds_bpermute_b32 v6, v6, v4
	s_waitcnt lgkmcnt(0)
	v_cmp_lt_f64_e32 vcc_lo, v[3:4], v[5:6]
	v_dual_cndmask_b32 v4, v4, v6 :: v_dual_lshlrev_b32 v9, 2, v9
	v_cndmask_b32_e32 v3, v3, v5, vcc_lo
	ds_bpermute_b32 v6, v9, v4
	ds_bpermute_b32 v5, v9, v3
	s_and_saveexec_b32 s11, s0
	s_cbranch_execz .LBB51_124
; %bb.123:                              ;   in Loop: Header=BB51_3 Depth=1
	s_waitcnt lgkmcnt(0)
	v_cmp_lt_f64_e32 vcc_lo, v[3:4], v[5:6]
	v_dual_cndmask_b32 v4, v4, v6 :: v_dual_cndmask_b32 v3, v3, v5
	ds_store_b64 v43, v[3:4]
.LBB51_124:                             ;   in Loop: Header=BB51_3 Depth=1
	s_or_b32 exec_lo, exec_lo, s11
	s_waitcnt lgkmcnt(0)
	s_waitcnt_vscnt null, 0x0
	s_barrier
	buffer_gl0_inv
	s_and_saveexec_b32 s11, s1
	s_cbranch_execz .LBB51_126
; %bb.125:                              ;   in Loop: Header=BB51_3 Depth=1
	ds_load_2addr_stride64_b64 v[3:6], v41 offset1:2
	s_waitcnt lgkmcnt(0)
	v_cmp_lt_f64_e32 vcc_lo, v[3:4], v[5:6]
	v_dual_cndmask_b32 v4, v4, v6 :: v_dual_cndmask_b32 v3, v3, v5
	ds_store_b64 v41, v[3:4]
.LBB51_126:                             ;   in Loop: Header=BB51_3 Depth=1
	s_or_b32 exec_lo, exec_lo, s11
	s_waitcnt lgkmcnt(0)
	s_barrier
	buffer_gl0_inv
	s_and_saveexec_b32 s11, s2
	s_cbranch_execz .LBB51_128
; %bb.127:                              ;   in Loop: Header=BB51_3 Depth=1
	ds_load_2addr_stride64_b64 v[3:6], v41 offset1:1
	s_waitcnt lgkmcnt(0)
	v_cmp_lt_f64_e32 vcc_lo, v[3:4], v[5:6]
	v_dual_cndmask_b32 v4, v4, v6 :: v_dual_cndmask_b32 v3, v3, v5
	ds_store_b64 v41, v[3:4]
.LBB51_128:                             ;   in Loop: Header=BB51_3 Depth=1
	s_or_b32 exec_lo, exec_lo, s11
	s_waitcnt lgkmcnt(0)
	s_barrier
	buffer_gl0_inv
	s_and_saveexec_b32 s11, s3
	s_cbranch_execz .LBB51_130
; %bb.129:                              ;   in Loop: Header=BB51_3 Depth=1
	ds_load_2addr_b64 v[3:6], v41 offset1:32
	s_waitcnt lgkmcnt(0)
	v_cmp_lt_f64_e32 vcc_lo, v[3:4], v[5:6]
	v_dual_cndmask_b32 v4, v4, v6 :: v_dual_cndmask_b32 v3, v3, v5
	ds_store_b64 v41, v[3:4]
.LBB51_130:                             ;   in Loop: Header=BB51_3 Depth=1
	s_or_b32 exec_lo, exec_lo, s11
	s_waitcnt lgkmcnt(0)
	s_barrier
	buffer_gl0_inv
	s_and_saveexec_b32 s11, s4
	s_cbranch_execz .LBB51_132
; %bb.131:                              ;   in Loop: Header=BB51_3 Depth=1
	ds_load_2addr_b64 v[3:6], v41 offset1:16
	s_waitcnt lgkmcnt(0)
	v_cmp_lt_f64_e32 vcc_lo, v[3:4], v[5:6]
	v_dual_cndmask_b32 v4, v4, v6 :: v_dual_cndmask_b32 v3, v3, v5
	ds_store_b64 v41, v[3:4]
.LBB51_132:                             ;   in Loop: Header=BB51_3 Depth=1
	;; [unrolled: 13-line block ×5, first 2 shown]
	s_or_b32 exec_lo, exec_lo, s11
	s_waitcnt lgkmcnt(0)
	s_barrier
	buffer_gl0_inv
	s_and_saveexec_b32 s11, s9
	s_cbranch_execz .LBB51_140
; %bb.139:                              ;   in Loop: Header=BB51_3 Depth=1
	ds_load_b128 v[3:6], v18
	s_waitcnt lgkmcnt(0)
	v_cmp_lt_f64_e32 vcc_lo, v[3:4], v[5:6]
	v_dual_cndmask_b32 v4, v4, v6 :: v_dual_cndmask_b32 v3, v3, v5
	ds_store_b64 v18, v[3:4]
.LBB51_140:                             ;   in Loop: Header=BB51_3 Depth=1
	s_or_b32 exec_lo, exec_lo, s11
	s_waitcnt lgkmcnt(0)
	s_barrier
	buffer_gl0_inv
	ds_load_b64 v[3:4], v18
	s_load_b64 s[12:13], s[58:59], 0x0
	s_waitcnt lgkmcnt(0)
	v_div_scale_f64 v[5:6], null, s[12:13], s[12:13], v[3:4]
	s_delay_alu instid0(VALU_DEP_1) | instskip(SKIP_2) | instid1(VALU_DEP_1)
	v_rcp_f64_e32 v[9:10], v[5:6]
	s_waitcnt_depctr 0xfff
	v_fma_f64 v[11:12], -v[5:6], v[9:10], 1.0
	v_fma_f64 v[9:10], v[9:10], v[11:12], v[9:10]
	s_delay_alu instid0(VALU_DEP_1) | instskip(NEXT) | instid1(VALU_DEP_1)
	v_fma_f64 v[11:12], -v[5:6], v[9:10], 1.0
	v_fma_f64 v[9:10], v[9:10], v[11:12], v[9:10]
	v_div_scale_f64 v[11:12], vcc_lo, v[3:4], s[12:13], v[3:4]
	s_delay_alu instid0(VALU_DEP_1) | instskip(NEXT) | instid1(VALU_DEP_1)
	v_mul_f64 v[13:14], v[11:12], v[9:10]
	v_fma_f64 v[5:6], -v[5:6], v[13:14], v[11:12]
	s_delay_alu instid0(VALU_DEP_1) | instskip(NEXT) | instid1(VALU_DEP_1)
	v_div_fmas_f64 v[5:6], v[5:6], v[9:10], v[13:14]
	v_div_fixup_f64 v[3:4], v[5:6], s[12:13], v[3:4]
	s_and_not1_b32 vcc_lo, exec_lo, s33
	s_cbranch_vccnz .LBB51_121
.LBB51_141:                             ;   in Loop: Header=BB51_3 Depth=1
	v_cmp_gt_i32_e32 vcc_lo, 32, v8
	v_cmp_gt_i32_e64 s11, 32, v7
	v_cndmask_b32_e32 v5, v40, v8, vcc_lo
	s_delay_alu instid0(VALU_DEP_2) | instskip(NEXT) | instid1(VALU_DEP_2)
	v_cndmask_b32_e64 v7, v40, v7, s11
	v_lshlrev_b32_e32 v6, 2, v5
	s_delay_alu instid0(VALU_DEP_2)
	v_lshlrev_b32_e32 v7, 2, v7
	ds_bpermute_b32 v5, v6, v1
	ds_bpermute_b32 v6, v6, v2
	s_waitcnt lgkmcnt(0)
	v_cmp_lt_f64_e32 vcc_lo, v[1:2], v[5:6]
	v_dual_cndmask_b32 v2, v2, v6 :: v_dual_cndmask_b32 v1, v1, v5
	ds_bpermute_b32 v6, v7, v2
	ds_bpermute_b32 v5, v7, v1
	s_and_saveexec_b32 s11, s0
	s_cbranch_execz .LBB51_143
; %bb.142:                              ;   in Loop: Header=BB51_3 Depth=1
	s_waitcnt lgkmcnt(0)
	v_cmp_lt_f64_e32 vcc_lo, v[1:2], v[5:6]
	v_dual_cndmask_b32 v2, v2, v6 :: v_dual_cndmask_b32 v1, v1, v5
	ds_store_b64 v43, v[1:2]
.LBB51_143:                             ;   in Loop: Header=BB51_3 Depth=1
	s_or_b32 exec_lo, exec_lo, s11
	s_waitcnt lgkmcnt(0)
	s_waitcnt_vscnt null, 0x0
	s_barrier
	buffer_gl0_inv
	s_and_saveexec_b32 s11, s1
	s_cbranch_execz .LBB51_145
; %bb.144:                              ;   in Loop: Header=BB51_3 Depth=1
	ds_load_2addr_stride64_b64 v[5:8], v41 offset1:2
	s_waitcnt lgkmcnt(0)
	v_cmp_lt_f64_e32 vcc_lo, v[5:6], v[7:8]
	v_dual_cndmask_b32 v2, v6, v8 :: v_dual_cndmask_b32 v1, v5, v7
	ds_store_b64 v41, v[1:2]
.LBB51_145:                             ;   in Loop: Header=BB51_3 Depth=1
	s_or_b32 exec_lo, exec_lo, s11
	s_waitcnt lgkmcnt(0)
	s_barrier
	buffer_gl0_inv
	s_and_saveexec_b32 s11, s2
	s_cbranch_execz .LBB51_147
; %bb.146:                              ;   in Loop: Header=BB51_3 Depth=1
	ds_load_2addr_stride64_b64 v[5:8], v41 offset1:1
	s_waitcnt lgkmcnt(0)
	v_cmp_lt_f64_e32 vcc_lo, v[5:6], v[7:8]
	v_dual_cndmask_b32 v2, v6, v8 :: v_dual_cndmask_b32 v1, v5, v7
	ds_store_b64 v41, v[1:2]
.LBB51_147:                             ;   in Loop: Header=BB51_3 Depth=1
	s_or_b32 exec_lo, exec_lo, s11
	s_waitcnt lgkmcnt(0)
	s_barrier
	buffer_gl0_inv
	s_and_saveexec_b32 s11, s3
	s_cbranch_execz .LBB51_149
; %bb.148:                              ;   in Loop: Header=BB51_3 Depth=1
	ds_load_2addr_b64 v[5:8], v41 offset1:32
	s_waitcnt lgkmcnt(0)
	v_cmp_lt_f64_e32 vcc_lo, v[5:6], v[7:8]
	v_dual_cndmask_b32 v2, v6, v8 :: v_dual_cndmask_b32 v1, v5, v7
	ds_store_b64 v41, v[1:2]
.LBB51_149:                             ;   in Loop: Header=BB51_3 Depth=1
	s_or_b32 exec_lo, exec_lo, s11
	s_waitcnt lgkmcnt(0)
	s_barrier
	buffer_gl0_inv
	s_and_saveexec_b32 s11, s4
	s_cbranch_execz .LBB51_151
; %bb.150:                              ;   in Loop: Header=BB51_3 Depth=1
	ds_load_2addr_b64 v[5:8], v41 offset1:16
	s_waitcnt lgkmcnt(0)
	v_cmp_lt_f64_e32 vcc_lo, v[5:6], v[7:8]
	v_dual_cndmask_b32 v2, v6, v8 :: v_dual_cndmask_b32 v1, v5, v7
	ds_store_b64 v41, v[1:2]
.LBB51_151:                             ;   in Loop: Header=BB51_3 Depth=1
	;; [unrolled: 13-line block ×5, first 2 shown]
	s_or_b32 exec_lo, exec_lo, s11
	s_waitcnt lgkmcnt(0)
	s_barrier
	buffer_gl0_inv
	s_and_saveexec_b32 s11, s9
	s_cbranch_execz .LBB51_159
; %bb.158:                              ;   in Loop: Header=BB51_3 Depth=1
	ds_load_b128 v[5:8], v18
	s_waitcnt lgkmcnt(0)
	v_cmp_lt_f64_e32 vcc_lo, v[5:6], v[7:8]
	v_dual_cndmask_b32 v2, v6, v8 :: v_dual_cndmask_b32 v1, v5, v7
	ds_store_b64 v18, v[1:2]
.LBB51_159:                             ;   in Loop: Header=BB51_3 Depth=1
	s_or_b32 exec_lo, exec_lo, s11
	s_waitcnt lgkmcnt(0)
	s_barrier
	buffer_gl0_inv
	ds_load_b64 v[1:2], v18
	s_load_b64 s[12:13], s[58:59], 0x0
	s_waitcnt lgkmcnt(0)
	v_div_scale_f64 v[5:6], null, s[12:13], s[12:13], v[1:2]
	s_delay_alu instid0(VALU_DEP_1) | instskip(SKIP_2) | instid1(VALU_DEP_1)
	v_rcp_f64_e32 v[7:8], v[5:6]
	s_waitcnt_depctr 0xfff
	v_fma_f64 v[9:10], -v[5:6], v[7:8], 1.0
	v_fma_f64 v[7:8], v[7:8], v[9:10], v[7:8]
	s_delay_alu instid0(VALU_DEP_1) | instskip(NEXT) | instid1(VALU_DEP_1)
	v_fma_f64 v[9:10], -v[5:6], v[7:8], 1.0
	v_fma_f64 v[7:8], v[7:8], v[9:10], v[7:8]
	v_div_scale_f64 v[9:10], vcc_lo, v[1:2], s[12:13], v[1:2]
	s_delay_alu instid0(VALU_DEP_1) | instskip(NEXT) | instid1(VALU_DEP_1)
	v_mul_f64 v[11:12], v[9:10], v[7:8]
	v_fma_f64 v[5:6], -v[5:6], v[11:12], v[9:10]
	s_delay_alu instid0(VALU_DEP_1) | instskip(NEXT) | instid1(VALU_DEP_1)
	v_div_fmas_f64 v[5:6], v[5:6], v[7:8], v[11:12]
	v_div_fixup_f64 v[1:2], v[5:6], s[12:13], v[1:2]
	s_and_saveexec_b32 s12, s7
	s_cbranch_execz .LBB51_171
.LBB51_160:                             ;   in Loop: Header=BB51_3 Depth=1
	v_mov_b32_e32 v5, v42
	s_mov_b32 s13, 0
	s_branch .LBB51_162
.LBB51_161:                             ;   in Loop: Header=BB51_162 Depth=2
	s_or_b32 exec_lo, exec_lo, s71
	v_add_nc_u32_e32 v5, 0x100, v5
	s_delay_alu instid0(VALU_DEP_1) | instskip(SKIP_1) | instid1(SALU_CYCLE_1)
	v_cmp_le_u32_e32 vcc_lo, s67, v5
	s_or_b32 s13, vcc_lo, s13
	s_and_not1_b32 exec_lo, exec_lo, s13
	s_cbranch_execz .LBB51_171
.LBB51_162:                             ;   Parent Loop BB51_3 Depth=1
                                        ; =>  This Loop Header: Depth=2
                                        ;       Child Loop BB51_165 Depth 3
                                        ;       Child Loop BB51_168 Depth 3
	s_mov_b32 s71, exec_lo
	s_delay_alu instid0(VALU_DEP_1)
	v_cmpx_gt_i32_e64 s61, v5
	s_cbranch_execz .LBB51_161
; %bb.163:                              ;   in Loop: Header=BB51_162 Depth=2
	v_ashrrev_i32_e32 v6, 31, v5
	s_mov_b32 s72, exec_lo
	s_delay_alu instid0(VALU_DEP_1) | instskip(NEXT) | instid1(VALU_DEP_1)
	v_lshlrev_b64 v[7:8], 2, v[5:6]
	v_add_co_u32 v9, vcc_lo, s24, v7
	s_delay_alu instid0(VALU_DEP_2)
	v_add_co_ci_u32_e32 v10, vcc_lo, s25, v8, vcc_lo
	v_add_co_u32 v11, vcc_lo, s26, v7
	v_add_co_ci_u32_e32 v12, vcc_lo, s27, v8, vcc_lo
	global_load_b32 v9, v[9:10], off
	global_load_b32 v10, v[11:12], off
	s_waitcnt vmcnt(1)
	v_add_nc_u32_e32 v9, v45, v9
	s_waitcnt vmcnt(0)
	v_subrev_nc_u32_e32 v14, s65, v10
	s_delay_alu instid0(VALU_DEP_1)
	v_cmpx_lt_i32_e64 v9, v14
	s_cbranch_execz .LBB51_166
; %bb.164:                              ;   in Loop: Header=BB51_162 Depth=2
	v_ashrrev_i32_e32 v10, 31, v9
	s_mov_b32 s73, 0
	s_delay_alu instid0(VALU_DEP_1) | instskip(NEXT) | instid1(VALU_DEP_1)
	v_lshlrev_b64 v[12:13], 4, v[9:10]
	v_add_co_u32 v10, vcc_lo, s30, v12
	s_delay_alu instid0(VALU_DEP_2)
	v_add_co_ci_u32_e32 v11, vcc_lo, s31, v13, vcc_lo
	v_add_co_u32 v12, vcc_lo, s14, v12
	v_add_co_ci_u32_e32 v13, vcc_lo, s15, v13, vcc_lo
.LBB51_165:                             ;   Parent Loop BB51_3 Depth=1
                                        ;     Parent Loop BB51_162 Depth=2
                                        ; =>    This Inner Loop Header: Depth=3
	global_load_b128 v[19:22], v[12:13], off
	v_add_nc_u32_e32 v9, 4, v9
	v_add_co_u32 v12, vcc_lo, v12, 64
	v_add_co_ci_u32_e32 v13, vcc_lo, 0, v13, vcc_lo
	s_delay_alu instid0(VALU_DEP_3) | instskip(SKIP_4) | instid1(VALU_DEP_1)
	v_cmp_ge_i32_e32 vcc_lo, v9, v14
	s_or_b32 s73, vcc_lo, s73
	s_waitcnt vmcnt(0)
	global_store_b128 v[10:11], v[19:22], off
	v_add_co_u32 v10, s11, v10, 64
	v_add_co_ci_u32_e64 v11, s11, 0, v11, s11
	s_and_not1_b32 exec_lo, exec_lo, s73
	s_cbranch_execnz .LBB51_165
.LBB51_166:                             ;   in Loop: Header=BB51_162 Depth=2
	s_or_b32 exec_lo, exec_lo, s72
	v_add_co_u32 v9, vcc_lo, s16, v7
	v_add_co_ci_u32_e32 v10, vcc_lo, s17, v8, vcc_lo
	v_add_co_u32 v7, vcc_lo, s18, v7
	v_add_co_ci_u32_e32 v8, vcc_lo, s19, v8, vcc_lo
	s_mov_b32 s72, exec_lo
	global_load_b32 v9, v[9:10], off
	global_load_b32 v8, v[7:8], off
	s_waitcnt vmcnt(1)
	v_add_nc_u32_e32 v7, v46, v9
	s_waitcnt vmcnt(0)
	v_subrev_nc_u32_e32 v12, s66, v8
	s_delay_alu instid0(VALU_DEP_1)
	v_cmpx_lt_i32_e64 v7, v12
	s_cbranch_execz .LBB51_169
; %bb.167:                              ;   in Loop: Header=BB51_162 Depth=2
	v_ashrrev_i32_e32 v8, 31, v7
	s_mov_b32 s73, 0
	s_delay_alu instid0(VALU_DEP_1) | instskip(NEXT) | instid1(VALU_DEP_1)
	v_lshlrev_b64 v[10:11], 4, v[7:8]
	v_add_co_u32 v8, vcc_lo, s22, v10
	s_delay_alu instid0(VALU_DEP_2)
	v_add_co_ci_u32_e32 v9, vcc_lo, s23, v11, vcc_lo
	v_add_co_u32 v10, vcc_lo, s56, v10
	v_add_co_ci_u32_e32 v11, vcc_lo, s57, v11, vcc_lo
.LBB51_168:                             ;   Parent Loop BB51_3 Depth=1
                                        ;     Parent Loop BB51_162 Depth=2
                                        ; =>    This Inner Loop Header: Depth=3
	global_load_b128 v[13:16], v[10:11], off
	v_add_nc_u32_e32 v7, 4, v7
	v_add_co_u32 v10, vcc_lo, v10, 64
	v_add_co_ci_u32_e32 v11, vcc_lo, 0, v11, vcc_lo
	s_delay_alu instid0(VALU_DEP_3) | instskip(SKIP_4) | instid1(VALU_DEP_1)
	v_cmp_ge_i32_e32 vcc_lo, v7, v12
	s_or_b32 s73, vcc_lo, s73
	s_waitcnt vmcnt(0)
	global_store_b128 v[8:9], v[13:16], off
	v_add_co_u32 v8, s11, v8, 64
	v_add_co_ci_u32_e64 v9, s11, 0, v9, s11
	s_and_not1_b32 exec_lo, exec_lo, s73
	s_cbranch_execnz .LBB51_168
.LBB51_169:                             ;   in Loop: Header=BB51_162 Depth=2
	s_or_b32 exec_lo, exec_lo, s72
	s_delay_alu instid0(SALU_CYCLE_1)
	s_and_b32 exec_lo, exec_lo, s10
	s_cbranch_execz .LBB51_161
; %bb.170:                              ;   in Loop: Header=BB51_162 Depth=2
	v_lshlrev_b64 v[10:11], 4, v[5:6]
	s_delay_alu instid0(VALU_DEP_1) | instskip(NEXT) | instid1(VALU_DEP_2)
	v_add_co_u32 v6, vcc_lo, s54, v10
	v_add_co_ci_u32_e32 v7, vcc_lo, s55, v11, vcc_lo
	v_add_co_u32 v10, vcc_lo, s52, v10
	v_add_co_ci_u32_e32 v11, vcc_lo, s53, v11, vcc_lo
	global_load_b128 v[6:9], v[6:7], off
	s_waitcnt vmcnt(0)
	global_store_b128 v[10:11], v[6:9], off
	s_branch .LBB51_161
.LBB51_171:                             ;   in Loop: Header=BB51_3 Depth=1
	s_or_b32 exec_lo, exec_lo, s12
	s_mov_b32 s12, -1
	s_and_b32 vcc_lo, exec_lo, s62
	s_mov_b32 s11, -1
	s_cbranch_vccz .LBB51_181
; %bb.172:                              ;   in Loop: Header=BB51_3 Depth=1
	s_and_b32 vcc_lo, exec_lo, s69
                                        ; implicit-def: $sgpr13
	s_cbranch_vccz .LBB51_178
; %bb.173:                              ;   in Loop: Header=BB51_3 Depth=1
	s_and_b32 vcc_lo, exec_lo, s68
                                        ; implicit-def: $sgpr13
	s_cbranch_vccz .LBB51_175
; %bb.174:                              ;   in Loop: Header=BB51_3 Depth=1
	s_delay_alu instid0(VALU_DEP_1)
	v_cmp_ge_f64_e32 vcc_lo, s[50:51], v[1:2]
	s_mov_b32 s11, 0
	s_and_b32 s13, vcc_lo, exec_lo
.LBB51_175:                             ;   in Loop: Header=BB51_3 Depth=1
	s_and_not1_b32 vcc_lo, exec_lo, s11
	s_cbranch_vccnz .LBB51_177
; %bb.176:                              ;   in Loop: Header=BB51_3 Depth=1
	s_delay_alu instid0(VALU_DEP_1) | instskip(SKIP_2) | instid1(SALU_CYCLE_1)
	v_cmp_ge_f64_e32 vcc_lo, s[50:51], v[3:4]
	s_and_not1_b32 s11, s13, exec_lo
	s_and_b32 s13, vcc_lo, exec_lo
	s_or_b32 s13, s11, s13
.LBB51_177:                             ;   in Loop: Header=BB51_3 Depth=1
	s_mov_b32 s11, 0
.LBB51_178:                             ;   in Loop: Header=BB51_3 Depth=1
	s_delay_alu instid0(SALU_CYCLE_1)
	s_and_not1_b32 vcc_lo, exec_lo, s11
	s_cbranch_vccnz .LBB51_180
; %bb.179:                              ;   in Loop: Header=BB51_3 Depth=1
	s_delay_alu instid0(VALU_DEP_1) | instskip(NEXT) | instid1(VALU_DEP_2)
	v_cmp_ge_f64_e32 vcc_lo, s[50:51], v[3:4]
	v_cmp_ge_f64_e64 s11, s[50:51], v[1:2]
	s_and_not1_b32 s13, s13, exec_lo
	s_delay_alu instid0(VALU_DEP_1) | instskip(NEXT) | instid1(SALU_CYCLE_1)
	s_and_b32 s11, vcc_lo, s11
	s_and_b32 s11, s11, exec_lo
	s_delay_alu instid0(SALU_CYCLE_1)
	s_or_b32 s13, s13, s11
.LBB51_180:                             ;   in Loop: Header=BB51_3 Depth=1
	s_delay_alu instid0(SALU_CYCLE_1)
	s_xor_b32 s11, s13, -1
.LBB51_181:                             ;   in Loop: Header=BB51_3 Depth=1
	v_mov_b32_e32 v5, s70
	s_and_saveexec_b32 s13, s11
	s_cbranch_execz .LBB51_2
; %bb.182:                              ;   in Loop: Header=BB51_3 Depth=1
	s_add_i32 s70, s70, 1
	v_mov_b32_e32 v5, s35
	s_cmp_eq_u32 s70, s35
	s_cselect_b32 s11, -1, 0
	s_delay_alu instid0(SALU_CYCLE_1)
	s_or_not1_b32 s12, s11, exec_lo
	s_branch .LBB51_2
.LBB51_183:
	s_or_b32 exec_lo, exec_lo, s34
.LBB51_184:
	s_delay_alu instid0(SALU_CYCLE_1) | instskip(NEXT) | instid1(SALU_CYCLE_1)
	s_or_b32 exec_lo, exec_lo, s63
	s_and_not1_b32 vcc_lo, exec_lo, s62
	s_cbranch_vccnz .LBB51_207
; %bb.185:
	v_xor_b32_e32 v6, 2, v40
	v_xor_b32_e32 v7, 1, v40
	s_mov_b32 s0, exec_lo
	s_delay_alu instid0(VALU_DEP_2) | instskip(SKIP_1) | instid1(VALU_DEP_3)
	v_cmp_gt_i32_e32 vcc_lo, 32, v6
	v_cndmask_b32_e32 v6, v40, v6, vcc_lo
	v_cmp_gt_i32_e32 vcc_lo, 32, v7
	s_delay_alu instid0(VALU_DEP_2)
	v_dual_cndmask_b32 v7, v40, v7 :: v_dual_lshlrev_b32 v6, 2, v6
	ds_bpermute_b32 v6, v6, v5
	s_waitcnt lgkmcnt(0)
	v_max_i32_e32 v5, v5, v6
	v_lshlrev_b32_e32 v6, 2, v7
	ds_bpermute_b32 v6, v6, v5
	v_cmpx_eq_u32_e32 3, v39
	s_cbranch_execz .LBB51_187
; %bb.186:
	v_lshlrev_b32_e32 v7, 2, v38
	s_waitcnt lgkmcnt(0)
	v_max_i32_e32 v5, v5, v6
	ds_store_b32 v7, v5 offset:2048
.LBB51_187:
	s_or_b32 exec_lo, exec_lo, s0
	v_lshlrev_b32_e32 v5, 2, v0
	s_mov_b32 s0, exec_lo
	s_waitcnt lgkmcnt(0)
	s_waitcnt_vscnt null, 0x0
	s_barrier
	buffer_gl0_inv
	v_cmpx_gt_u32_e32 0x80, v0
	s_cbranch_execz .LBB51_189
; %bb.188:
	ds_load_2addr_stride64_b32 v[6:7], v5 offset0:8 offset1:10
	s_waitcnt lgkmcnt(0)
	v_max_i32_e32 v6, v6, v7
	ds_store_b32 v5, v6 offset:2048
.LBB51_189:
	s_or_b32 exec_lo, exec_lo, s0
	s_delay_alu instid0(SALU_CYCLE_1)
	s_mov_b32 s0, exec_lo
	s_waitcnt lgkmcnt(0)
	s_barrier
	buffer_gl0_inv
	v_cmpx_gt_u32_e32 64, v0
	s_cbranch_execz .LBB51_191
; %bb.190:
	ds_load_2addr_stride64_b32 v[6:7], v5 offset0:8 offset1:9
	s_waitcnt lgkmcnt(0)
	v_max_i32_e32 v6, v6, v7
	ds_store_b32 v5, v6 offset:2048
.LBB51_191:
	s_or_b32 exec_lo, exec_lo, s0
	s_delay_alu instid0(SALU_CYCLE_1)
	s_mov_b32 s0, exec_lo
	s_waitcnt lgkmcnt(0)
	s_barrier
	buffer_gl0_inv
	v_cmpx_gt_u32_e32 32, v0
	s_cbranch_execz .LBB51_193
; %bb.192:
	v_add_nc_u32_e32 v6, 0x800, v5
	ds_load_2addr_b32 v[6:7], v6 offset1:32
	s_waitcnt lgkmcnt(0)
	v_max_i32_e32 v6, v6, v7
	ds_store_b32 v5, v6 offset:2048
.LBB51_193:
	s_or_b32 exec_lo, exec_lo, s0
	s_delay_alu instid0(SALU_CYCLE_1)
	s_mov_b32 s0, exec_lo
	s_waitcnt lgkmcnt(0)
	s_barrier
	buffer_gl0_inv
	v_cmpx_gt_u32_e32 16, v0
	s_cbranch_execz .LBB51_195
; %bb.194:
	v_add_nc_u32_e32 v6, 0x800, v5
	ds_load_2addr_b32 v[6:7], v6 offset1:16
	s_waitcnt lgkmcnt(0)
	v_max_i32_e32 v6, v6, v7
	ds_store_b32 v5, v6 offset:2048
.LBB51_195:
	;; [unrolled: 15-line block ×5, first 2 shown]
	s_or_b32 exec_lo, exec_lo, s0
	v_cmp_eq_u32_e32 vcc_lo, 0, v0
	s_waitcnt lgkmcnt(0)
	s_barrier
	buffer_gl0_inv
	s_and_saveexec_b32 s0, vcc_lo
	s_cbranch_execz .LBB51_203
; %bb.202:
	v_mov_b32_e32 v7, 0
	ds_load_b64 v[5:6], v7 offset:2048
	s_waitcnt lgkmcnt(0)
	v_max_i32_e32 v5, v5, v6
	ds_store_b32 v7, v5 offset:2048
.LBB51_203:
	s_or_b32 exec_lo, exec_lo, s0
	s_waitcnt lgkmcnt(0)
	s_barrier
	buffer_gl0_inv
	s_and_saveexec_b32 s0, vcc_lo
	s_cbranch_execz .LBB51_206
; %bb.204:
	v_mbcnt_lo_u32_b32 v5, exec_lo, 0
	s_delay_alu instid0(VALU_DEP_1)
	v_cmp_eq_u32_e32 vcc_lo, 0, v5
	s_and_b32 exec_lo, exec_lo, vcc_lo
	s_cbranch_execz .LBB51_206
; %bb.205:
	v_mov_b32_e32 v5, 0
	ds_load_b32 v6, v5 offset:2048
	s_waitcnt lgkmcnt(0)
	v_add_nc_u32_e32 v6, 1, v6
	global_atomic_max_i32 v5, v6, s[48:49]
.LBB51_206:
	s_or_b32 exec_lo, exec_lo, s0
.LBB51_207:
	v_cmp_eq_u32_e32 vcc_lo, 0, v0
	s_mov_b32 s2, 0
	s_and_b32 s0, vcc_lo, s60
	s_delay_alu instid0(SALU_CYCLE_1)
	s_and_saveexec_b32 s4, s0
	s_cbranch_execz .LBB51_212
; %bb.208:
	v_mov_b32_e32 v0, 0
	s_delay_alu instid0(VALU_DEP_4)
	v_cmp_eq_f64_e64 s0, 0, v[3:4]
	s_brev_b32 s3, 1
                                        ; implicit-def: $sgpr5
	global_load_b64 v[5:6], v0, s[44:45] glc
	s_waitcnt vmcnt(0)
	v_cmp_eq_u64_e64 s6, s[2:3], v[5:6]
                                        ; implicit-def: $sgpr3
	s_set_inst_prefetch_distance 0x1
	s_branch .LBB51_210
	.p2align	6
.LBB51_209:                             ;   in Loop: Header=BB51_210 Depth=1
	s_or_b32 exec_lo, exec_lo, s7
	s_delay_alu instid0(SALU_CYCLE_1) | instskip(NEXT) | instid1(SALU_CYCLE_1)
	s_and_b32 s1, exec_lo, s3
	s_or_b32 s2, s1, s2
	s_and_not1_b32 s1, s6, exec_lo
	s_and_b32 s6, s5, exec_lo
	s_delay_alu instid0(SALU_CYCLE_1)
	s_or_b32 s6, s1, s6
	s_and_not1_b32 exec_lo, exec_lo, s2
	s_cbranch_execz .LBB51_212
.LBB51_210:                             ; =>This Inner Loop Header: Depth=1
	v_cmp_lt_f64_e64 s1, v[5:6], v[3:4]
	s_delay_alu instid0(VALU_DEP_2) | instskip(SKIP_2) | instid1(VALU_DEP_1)
	s_and_b32 s7, s0, s6
	s_and_not1_b32 s5, s5, exec_lo
	s_or_b32 s3, s3, exec_lo
	s_or_b32 s1, s1, s7
	s_delay_alu instid0(SALU_CYCLE_1)
	s_and_saveexec_b32 s7, s1
	s_cbranch_execz .LBB51_209
; %bb.211:                              ;   in Loop: Header=BB51_210 Depth=1
	global_atomic_cmpswap_b64 v[7:8], v0, v[3:6], s[44:45] glc
	s_and_not1_b32 s5, s5, exec_lo
	s_and_not1_b32 s3, s3, exec_lo
	s_waitcnt vmcnt(0)
	v_cmp_eq_u64_e64 s1, v[7:8], v[5:6]
	s_delay_alu instid0(VALU_DEP_1) | instskip(SKIP_2) | instid1(SALU_CYCLE_1)
	v_cndmask_b32_e64 v6, v8, v6, s1
	v_cndmask_b32_e64 v5, v7, v5, s1
	s_and_b32 s1, s1, exec_lo
	s_or_b32 s3, s3, s1
	s_delay_alu instid0(VALU_DEP_1) | instskip(SKIP_1) | instid1(VALU_DEP_2)
	v_cmp_class_f64_e64 s6, v[5:6], 32
	v_dual_mov_b32 v5, v7 :: v_dual_mov_b32 v6, v8
	s_and_b32 s6, s6, exec_lo
	s_delay_alu instid0(SALU_CYCLE_1)
	s_or_b32 s5, s5, s6
                                        ; implicit-def: $sgpr6
	s_branch .LBB51_209
.LBB51_212:
	s_set_inst_prefetch_distance 0x2
	s_or_b32 exec_lo, exec_lo, s4
	s_and_b32 s0, vcc_lo, s33
	s_delay_alu instid0(SALU_CYCLE_1)
	s_and_saveexec_b32 s1, s0
	s_cbranch_execz .LBB51_217
; %bb.213:
	v_mov_b32_e32 v0, 0
	s_delay_alu instid0(VALU_DEP_4)
	v_cmp_eq_f64_e32 vcc_lo, 0, v[1:2]
	s_brev_b32 s3, 1
	s_mov_b32 s2, 0
                                        ; implicit-def: $sgpr1
	global_load_b64 v[3:4], v0, s[46:47] glc
	s_waitcnt vmcnt(0)
	v_cmp_eq_u64_e64 s4, s[2:3], v[3:4]
                                        ; implicit-def: $sgpr3
	s_set_inst_prefetch_distance 0x1
	s_branch .LBB51_215
	.p2align	6
.LBB51_214:                             ;   in Loop: Header=BB51_215 Depth=1
	s_or_b32 exec_lo, exec_lo, s5
	s_delay_alu instid0(SALU_CYCLE_1) | instskip(NEXT) | instid1(SALU_CYCLE_1)
	s_and_b32 s0, exec_lo, s1
	s_or_b32 s2, s0, s2
	s_and_not1_b32 s0, s4, exec_lo
	s_and_b32 s4, s3, exec_lo
	s_delay_alu instid0(SALU_CYCLE_1)
	s_or_b32 s4, s0, s4
	s_and_not1_b32 exec_lo, exec_lo, s2
	s_cbranch_execz .LBB51_217
.LBB51_215:                             ; =>This Inner Loop Header: Depth=1
	v_cmp_lt_f64_e64 s0, v[3:4], v[1:2]
	s_delay_alu instid0(VALU_DEP_2) | instskip(SKIP_2) | instid1(VALU_DEP_1)
	s_and_b32 s5, vcc_lo, s4
	s_and_not1_b32 s3, s3, exec_lo
	s_or_b32 s1, s1, exec_lo
	s_or_b32 s0, s0, s5
	s_delay_alu instid0(SALU_CYCLE_1)
	s_and_saveexec_b32 s5, s0
	s_cbranch_execz .LBB51_214
; %bb.216:                              ;   in Loop: Header=BB51_215 Depth=1
	global_atomic_cmpswap_b64 v[5:6], v0, v[1:4], s[46:47] glc
	s_and_not1_b32 s3, s3, exec_lo
	s_and_not1_b32 s1, s1, exec_lo
	s_waitcnt vmcnt(0)
	v_cmp_eq_u64_e64 s0, v[5:6], v[3:4]
	s_delay_alu instid0(VALU_DEP_1) | instskip(SKIP_2) | instid1(SALU_CYCLE_1)
	v_cndmask_b32_e64 v4, v6, v4, s0
	v_cndmask_b32_e64 v3, v5, v3, s0
	s_and_b32 s0, s0, exec_lo
	s_or_b32 s1, s1, s0
	s_delay_alu instid0(VALU_DEP_1) | instskip(SKIP_1) | instid1(VALU_DEP_2)
	v_cmp_class_f64_e64 s4, v[3:4], 32
	v_dual_mov_b32 v3, v5 :: v_dual_mov_b32 v4, v6
	s_and_b32 s4, s4, exec_lo
	s_delay_alu instid0(SALU_CYCLE_1)
	s_or_b32 s3, s3, s4
                                        ; implicit-def: $sgpr4
	s_branch .LBB51_214
.LBB51_217:
	s_set_inst_prefetch_distance 0x2
	s_nop 0
	s_sendmsg sendmsg(MSG_DEALLOC_VGPRS)
	s_endpgm
	.section	.rodata,"a",@progbits
	.p2align	6, 0x0
	.amdhsa_kernel _ZN9rocsparseL6kernelILi1024ELi4E21rocsparse_complex_numIdEiiEEvbbbT3_PS3_NS_15floating_traitsIT1_E6data_tES3_T2_PKS9_SB_PKS3_PKS6_21rocsparse_index_base_SB_SB_SD_PS6_SH_SG_SB_SB_SD_SH_SH_SG_SH_SH_PS8_SI_PKS8_
		.amdhsa_group_segment_fixed_size 3072
		.amdhsa_private_segment_fixed_size 0
		.amdhsa_kernarg_size 208
		.amdhsa_user_sgpr_count 15
		.amdhsa_user_sgpr_dispatch_ptr 0
		.amdhsa_user_sgpr_queue_ptr 0
		.amdhsa_user_sgpr_kernarg_segment_ptr 1
		.amdhsa_user_sgpr_dispatch_id 0
		.amdhsa_user_sgpr_private_segment_size 0
		.amdhsa_wavefront_size32 1
		.amdhsa_uses_dynamic_stack 0
		.amdhsa_enable_private_segment 0
		.amdhsa_system_sgpr_workgroup_id_x 1
		.amdhsa_system_sgpr_workgroup_id_y 0
		.amdhsa_system_sgpr_workgroup_id_z 0
		.amdhsa_system_sgpr_workgroup_info 0
		.amdhsa_system_vgpr_workitem_id 0
		.amdhsa_next_free_vgpr 60
		.amdhsa_next_free_sgpr 84
		.amdhsa_reserve_vcc 1
		.amdhsa_float_round_mode_32 0
		.amdhsa_float_round_mode_16_64 0
		.amdhsa_float_denorm_mode_32 3
		.amdhsa_float_denorm_mode_16_64 3
		.amdhsa_dx10_clamp 1
		.amdhsa_ieee_mode 1
		.amdhsa_fp16_overflow 0
		.amdhsa_workgroup_processor_mode 1
		.amdhsa_memory_ordered 1
		.amdhsa_forward_progress 0
		.amdhsa_shared_vgpr_count 0
		.amdhsa_exception_fp_ieee_invalid_op 0
		.amdhsa_exception_fp_denorm_src 0
		.amdhsa_exception_fp_ieee_div_zero 0
		.amdhsa_exception_fp_ieee_overflow 0
		.amdhsa_exception_fp_ieee_underflow 0
		.amdhsa_exception_fp_ieee_inexact 0
		.amdhsa_exception_int_div_zero 0
	.end_amdhsa_kernel
	.section	.text._ZN9rocsparseL6kernelILi1024ELi4E21rocsparse_complex_numIdEiiEEvbbbT3_PS3_NS_15floating_traitsIT1_E6data_tES3_T2_PKS9_SB_PKS3_PKS6_21rocsparse_index_base_SB_SB_SD_PS6_SH_SG_SB_SB_SD_SH_SH_SG_SH_SH_PS8_SI_PKS8_,"axG",@progbits,_ZN9rocsparseL6kernelILi1024ELi4E21rocsparse_complex_numIdEiiEEvbbbT3_PS3_NS_15floating_traitsIT1_E6data_tES3_T2_PKS9_SB_PKS3_PKS6_21rocsparse_index_base_SB_SB_SD_PS6_SH_SG_SB_SB_SD_SH_SH_SG_SH_SH_PS8_SI_PKS8_,comdat
.Lfunc_end51:
	.size	_ZN9rocsparseL6kernelILi1024ELi4E21rocsparse_complex_numIdEiiEEvbbbT3_PS3_NS_15floating_traitsIT1_E6data_tES3_T2_PKS9_SB_PKS3_PKS6_21rocsparse_index_base_SB_SB_SD_PS6_SH_SG_SB_SB_SD_SH_SH_SG_SH_SH_PS8_SI_PKS8_, .Lfunc_end51-_ZN9rocsparseL6kernelILi1024ELi4E21rocsparse_complex_numIdEiiEEvbbbT3_PS3_NS_15floating_traitsIT1_E6data_tES3_T2_PKS9_SB_PKS3_PKS6_21rocsparse_index_base_SB_SB_SD_PS6_SH_SG_SB_SB_SD_SH_SH_SG_SH_SH_PS8_SI_PKS8_
                                        ; -- End function
	.section	.AMDGPU.csdata,"",@progbits
; Kernel info:
; codeLenInByte = 11412
; NumSgprs: 86
; NumVgprs: 60
; ScratchSize: 0
; MemoryBound: 1
; FloatMode: 240
; IeeeMode: 1
; LDSByteSize: 3072 bytes/workgroup (compile time only)
; SGPRBlocks: 10
; VGPRBlocks: 7
; NumSGPRsForWavesPerEU: 86
; NumVGPRsForWavesPerEU: 60
; Occupancy: 16
; WaveLimiterHint : 1
; COMPUTE_PGM_RSRC2:SCRATCH_EN: 0
; COMPUTE_PGM_RSRC2:USER_SGPR: 15
; COMPUTE_PGM_RSRC2:TRAP_HANDLER: 0
; COMPUTE_PGM_RSRC2:TGID_X_EN: 1
; COMPUTE_PGM_RSRC2:TGID_Y_EN: 0
; COMPUTE_PGM_RSRC2:TGID_Z_EN: 0
; COMPUTE_PGM_RSRC2:TIDIG_COMP_CNT: 0
	.section	.text._ZN9rocsparseL6kernelILi1024ELi8E21rocsparse_complex_numIdEiiEEvbbbT3_PS3_NS_15floating_traitsIT1_E6data_tES3_T2_PKS9_SB_PKS3_PKS6_21rocsparse_index_base_SB_SB_SD_PS6_SH_SG_SB_SB_SD_SH_SH_SG_SH_SH_PS8_SI_PKS8_,"axG",@progbits,_ZN9rocsparseL6kernelILi1024ELi8E21rocsparse_complex_numIdEiiEEvbbbT3_PS3_NS_15floating_traitsIT1_E6data_tES3_T2_PKS9_SB_PKS3_PKS6_21rocsparse_index_base_SB_SB_SD_PS6_SH_SG_SB_SB_SD_SH_SH_SG_SH_SH_PS8_SI_PKS8_,comdat
	.globl	_ZN9rocsparseL6kernelILi1024ELi8E21rocsparse_complex_numIdEiiEEvbbbT3_PS3_NS_15floating_traitsIT1_E6data_tES3_T2_PKS9_SB_PKS3_PKS6_21rocsparse_index_base_SB_SB_SD_PS6_SH_SG_SB_SB_SD_SH_SH_SG_SH_SH_PS8_SI_PKS8_ ; -- Begin function _ZN9rocsparseL6kernelILi1024ELi8E21rocsparse_complex_numIdEiiEEvbbbT3_PS3_NS_15floating_traitsIT1_E6data_tES3_T2_PKS9_SB_PKS3_PKS6_21rocsparse_index_base_SB_SB_SD_PS6_SH_SG_SB_SB_SD_SH_SH_SG_SH_SH_PS8_SI_PKS8_
	.p2align	8
	.type	_ZN9rocsparseL6kernelILi1024ELi8E21rocsparse_complex_numIdEiiEEvbbbT3_PS3_NS_15floating_traitsIT1_E6data_tES3_T2_PKS9_SB_PKS3_PKS6_21rocsparse_index_base_SB_SB_SD_PS6_SH_SG_SB_SB_SD_SH_SH_SG_SH_SH_PS8_SI_PKS8_,@function
_ZN9rocsparseL6kernelILi1024ELi8E21rocsparse_complex_numIdEiiEEvbbbT3_PS3_NS_15floating_traitsIT1_E6data_tES3_T2_PKS9_SB_PKS3_PKS6_21rocsparse_index_base_SB_SB_SD_PS6_SH_SG_SB_SB_SD_SH_SH_SG_SH_SH_PS8_SI_PKS8_: ; @_ZN9rocsparseL6kernelILi1024ELi8E21rocsparse_complex_numIdEiiEEvbbbT3_PS3_NS_15floating_traitsIT1_E6data_tES3_T2_PKS9_SB_PKS3_PKS6_21rocsparse_index_base_SB_SB_SD_PS6_SH_SG_SB_SB_SD_SH_SH_SG_SH_SH_PS8_SI_PKS8_
; %bb.0:
	s_clause 0x4
	s_load_b32 s2, s[0:1], 0x0
	s_load_b64 s[12:13], s[0:1], 0x0
	s_load_b32 s59, s[0:1], 0x18
	s_load_b128 s[48:51], s[0:1], 0x8
	s_load_b128 s[44:47], s[0:1], 0xb8
	v_lshrrev_b32_e32 v38, 3, v0
	v_mov_b32_e32 v3, 0
	v_dual_mov_b32 v5, 0 :: v_dual_mov_b32 v4, 0
	s_delay_alu instid0(VALU_DEP_2) | instskip(SKIP_1) | instid1(VALU_DEP_3)
	v_mov_b32_e32 v1, v3
	v_lshlrev_b32_e32 v41, 3, v0
	v_dual_mov_b32 v6, v5 :: v_dual_and_b32 v39, 7, v0
	s_delay_alu instid0(VALU_DEP_4)
	v_mov_b32_e32 v2, v4
	v_mbcnt_lo_u32_b32 v40, -1, 0
	s_mov_b32 s61, 0
	ds_store_b64 v41, v[5:6]
	s_waitcnt lgkmcnt(0)
	s_barrier
	s_bitcmp1_b32 s2, 0
	buffer_gl0_inv
	s_cselect_b32 s60, -1, 0
	s_bitcmp1_b32 s2, 8
	s_cselect_b32 s58, -1, 0
	s_bitcmp1_b32 s12, 16
	s_cselect_b32 s33, -1, 0
	s_lshl_b32 s66, s15, 10
	s_cmp_gt_i32 s13, 0
	v_or_b32_e32 v42, s66, v38
	s_cselect_b32 s2, -1, 0
	s_delay_alu instid0(VALU_DEP_1) | instskip(SKIP_1) | instid1(SALU_CYCLE_1)
	v_cmp_gt_i32_e32 vcc_lo, s59, v42
	s_and_b32 s2, s2, vcc_lo
	s_and_saveexec_b32 s62, s2
	s_cbranch_execz .LBB52_180
; %bb.1:
	s_clause 0x9
	s_load_b32 s63, s[0:1], 0x40
	s_load_b64 s[14:15], s[0:1], 0x68
	s_load_b32 s64, s[0:1], 0x70
	s_load_b64 s[34:35], s[0:1], 0x98
	;; [unrolled: 2-line block ×3, first 2 shown]
	s_load_b128 s[52:55], s[0:1], 0xa8
	s_load_b256 s[16:23], s[0:1], 0x78
	s_load_b256 s[24:31], s[0:1], 0x48
	;; [unrolled: 1-line block ×3, first 2 shown]
	v_dual_mov_b32 v1, 0 :: v_dual_mov_b32 v18, 0
	v_dual_mov_b32 v2, 0 :: v_dual_lshlrev_b32 v43, 3, v38
	s_addk_i32 s66, 0x400
	v_cmp_eq_u32_e64 s0, 7, v39
	v_cmp_gt_u32_e64 s1, 64, v0
	v_cmp_gt_u32_e64 s2, 32, v0
	;; [unrolled: 1-line block ×7, first 2 shown]
	s_waitcnt lgkmcnt(0)
	v_subrev_nc_u32_e32 v44, s63, v39
	v_cmp_eq_u32_e64 s8, 0, v0
	v_subrev_nc_u32_e32 v45, s64, v39
	v_subrev_nc_u32_e32 v46, s65, v39
	v_cmp_eq_u32_e64 s9, 0, v39
	v_dual_mov_b32 v4, v2 :: v_dual_mov_b32 v3, v1
	s_and_b32 s10, s58, s33
	s_xor_b32 s67, s58, -1
	s_xor_b32 s68, s10, -1
	s_mov_b32 s69, 0
	s_branch .LBB52_3
.LBB52_2:                               ;   in Loop: Header=BB52_3 Depth=1
	s_or_b32 exec_lo, exec_lo, s12
	s_delay_alu instid0(SALU_CYCLE_1) | instskip(NEXT) | instid1(SALU_CYCLE_1)
	s_and_b32 s10, exec_lo, s11
	s_or_b32 s61, s10, s61
	s_delay_alu instid0(SALU_CYCLE_1)
	s_and_not1_b32 exec_lo, exec_lo, s61
	s_cbranch_execz .LBB52_179
.LBB52_3:                               ; =>This Loop Header: Depth=1
                                        ;     Child Loop BB52_7 Depth 2
                                        ;       Child Loop BB52_12 Depth 3
                                        ;         Child Loop BB52_16 Depth 4
                                        ;         Child Loop BB52_51 Depth 4
	;; [unrolled: 1-line block ×5, first 2 shown]
                                        ;     Child Loop BB52_158 Depth 2
                                        ;       Child Loop BB52_161 Depth 3
                                        ;       Child Loop BB52_164 Depth 3
	s_delay_alu instid0(VALU_DEP_2) | instskip(NEXT) | instid1(VALU_DEP_3)
	v_cndmask_b32_e64 v4, v4, 0, s58
	v_cndmask_b32_e64 v3, v3, 0, s58
	s_delay_alu instid0(VALU_DEP_4)
	v_cndmask_b32_e64 v2, v2, 0, s33
	v_cndmask_b32_e64 v1, v1, 0, s33
	s_mov_b32 s70, 0
	s_branch .LBB52_7
.LBB52_4:                               ;   in Loop: Header=BB52_7 Depth=2
	s_or_b32 exec_lo, exec_lo, s73
.LBB52_5:                               ;   in Loop: Header=BB52_7 Depth=2
	s_delay_alu instid0(SALU_CYCLE_1)
	s_or_b32 exec_lo, exec_lo, s72
.LBB52_6:                               ;   in Loop: Header=BB52_7 Depth=2
	s_delay_alu instid0(SALU_CYCLE_1) | instskip(SKIP_1) | instid1(SALU_CYCLE_1)
	s_or_b32 exec_lo, exec_lo, s71
	s_add_i32 s70, s70, 1
	s_cmp_eq_u32 s70, 8
	s_cbranch_scc1 .LBB52_119
.LBB52_7:                               ;   Parent Loop BB52_3 Depth=1
                                        ; =>  This Loop Header: Depth=2
                                        ;       Child Loop BB52_12 Depth 3
                                        ;         Child Loop BB52_16 Depth 4
                                        ;         Child Loop BB52_51 Depth 4
	;; [unrolled: 1-line block ×5, first 2 shown]
	v_lshl_add_u32 v19, s70, 7, v42
	s_mov_b32 s71, exec_lo
	s_delay_alu instid0(VALU_DEP_1)
	v_cmpx_gt_i32_e64 s59, v19
	s_cbranch_execz .LBB52_6
; %bb.8:                                ;   in Loop: Header=BB52_7 Depth=2
	v_ashrrev_i32_e32 v20, 31, v19
	s_mov_b32 s72, exec_lo
	s_delay_alu instid0(VALU_DEP_1) | instskip(NEXT) | instid1(VALU_DEP_1)
	v_lshlrev_b64 v[5:6], 2, v[19:20]
	v_add_co_u32 v7, vcc_lo, s36, v5
	s_delay_alu instid0(VALU_DEP_2)
	v_add_co_ci_u32_e32 v8, vcc_lo, s37, v6, vcc_lo
	v_add_co_u32 v9, vcc_lo, s38, v5
	v_add_co_ci_u32_e32 v10, vcc_lo, s39, v6, vcc_lo
	global_load_b32 v7, v[7:8], off
	global_load_b32 v8, v[9:10], off
	s_waitcnt vmcnt(1)
	v_add_nc_u32_e32 v20, v44, v7
	s_waitcnt vmcnt(0)
	v_subrev_nc_u32_e32 v47, s63, v8
	s_delay_alu instid0(VALU_DEP_1)
	v_cmpx_lt_i32_e64 v20, v47
	s_cbranch_execz .LBB52_5
; %bb.9:                                ;   in Loop: Header=BB52_7 Depth=2
	v_add_co_u32 v7, vcc_lo, s24, v5
	v_add_co_ci_u32_e32 v8, vcc_lo, s25, v6, vcc_lo
	v_add_co_u32 v5, vcc_lo, s26, v5
	v_add_co_ci_u32_e32 v6, vcc_lo, s27, v6, vcc_lo
	global_load_b32 v7, v[7:8], off
	s_mov_b32 s73, 0
	global_load_b32 v8, v[5:6], off
	s_waitcnt vmcnt(1)
	v_subrev_nc_u32_e32 v22, s64, v7
	s_waitcnt vmcnt(0)
	v_sub_nc_u32_e32 v48, v8, v7
	s_delay_alu instid0(VALU_DEP_2) | instskip(NEXT) | instid1(VALU_DEP_2)
	v_ashrrev_i32_e32 v23, 31, v22
	v_cmp_lt_i32_e64 s10, 0, v48
	s_delay_alu instid0(VALU_DEP_2) | instskip(SKIP_1) | instid1(VALU_DEP_2)
	v_lshlrev_b64 v[5:6], 2, v[22:23]
	v_lshlrev_b64 v[7:8], 4, v[22:23]
	v_add_co_u32 v49, vcc_lo, s28, v5
	s_delay_alu instid0(VALU_DEP_3) | instskip(NEXT) | instid1(VALU_DEP_3)
	v_add_co_ci_u32_e32 v50, vcc_lo, s29, v6, vcc_lo
	v_add_co_u32 v51, vcc_lo, s30, v7
	s_delay_alu instid0(VALU_DEP_4)
	v_add_co_ci_u32_e32 v52, vcc_lo, s31, v8, vcc_lo
	s_branch .LBB52_12
.LBB52_10:                              ;   in Loop: Header=BB52_12 Depth=3
	s_or_b32 exec_lo, exec_lo, s11
.LBB52_11:                              ;   in Loop: Header=BB52_12 Depth=3
	s_delay_alu instid0(SALU_CYCLE_1) | instskip(SKIP_1) | instid1(VALU_DEP_1)
	s_or_b32 exec_lo, exec_lo, s12
	v_add_nc_u32_e32 v20, 8, v20
	v_cmp_ge_i32_e32 vcc_lo, v20, v47
	s_or_b32 s73, vcc_lo, s73
	s_delay_alu instid0(SALU_CYCLE_1)
	s_and_not1_b32 exec_lo, exec_lo, s73
	s_cbranch_execz .LBB52_4
.LBB52_12:                              ;   Parent Loop BB52_3 Depth=1
                                        ;     Parent Loop BB52_7 Depth=2
                                        ; =>    This Loop Header: Depth=3
                                        ;         Child Loop BB52_16 Depth 4
                                        ;         Child Loop BB52_51 Depth 4
	;; [unrolled: 1-line block ×5, first 2 shown]
	v_ashrrev_i32_e32 v21, 31, v20
	v_mov_b32_e32 v25, 0
	v_dual_mov_b32 v26, 0 :: v_dual_mov_b32 v17, 0
	v_mov_b32_e32 v31, 0
	s_delay_alu instid0(VALU_DEP_4) | instskip(NEXT) | instid1(VALU_DEP_3)
	v_lshlrev_b64 v[5:6], 2, v[20:21]
	v_dual_mov_b32 v28, v26 :: v_dual_mov_b32 v27, v25
	s_delay_alu instid0(VALU_DEP_2) | instskip(NEXT) | instid1(VALU_DEP_3)
	v_add_co_u32 v5, vcc_lo, s40, v5
	v_add_co_ci_u32_e32 v6, vcc_lo, s41, v6, vcc_lo
	global_load_b32 v5, v[5:6], off
	s_waitcnt vmcnt(0)
	v_subrev_nc_u32_e32 v23, s63, v5
	s_delay_alu instid0(VALU_DEP_1) | instskip(NEXT) | instid1(VALU_DEP_1)
	v_ashrrev_i32_e32 v24, 31, v23
	v_lshlrev_b64 v[5:6], 2, v[23:24]
	s_delay_alu instid0(VALU_DEP_1) | instskip(NEXT) | instid1(VALU_DEP_2)
	v_add_co_u32 v7, vcc_lo, s16, v5
	v_add_co_ci_u32_e32 v8, vcc_lo, s17, v6, vcc_lo
	v_add_co_u32 v5, vcc_lo, s18, v5
	v_add_co_ci_u32_e32 v6, vcc_lo, s19, v6, vcc_lo
	global_load_b32 v7, v[7:8], off
	global_load_b32 v5, v[5:6], off
	s_waitcnt vmcnt(1)
	v_subrev_nc_u32_e32 v29, s65, v7
	s_waitcnt vmcnt(0)
	v_sub_nc_u32_e32 v53, v5, v7
	s_and_saveexec_b32 s12, s10
	s_cbranch_execz .LBB52_20
; %bb.13:                               ;   in Loop: Header=BB52_12 Depth=3
	v_ashrrev_i32_e32 v30, 31, v29
	v_mov_b32_e32 v25, 0
	v_dual_mov_b32 v31, 0 :: v_dual_mov_b32 v26, 0
	s_mov_b32 s74, 0
	s_delay_alu instid0(VALU_DEP_3) | instskip(SKIP_1) | instid1(VALU_DEP_3)
	v_lshlrev_b64 v[5:6], 2, v[29:30]
	v_lshlrev_b64 v[7:8], 4, v[29:30]
	v_dual_mov_b32 v17, v31 :: v_dual_mov_b32 v28, v26
	v_mov_b32_e32 v27, v25
                                        ; implicit-def: $sgpr75
	s_delay_alu instid0(VALU_DEP_4)
	v_add_co_u32 v5, vcc_lo, s20, v5
	v_add_co_ci_u32_e32 v6, vcc_lo, s21, v6, vcc_lo
	v_add_co_u32 v7, vcc_lo, s22, v7
	v_add_co_ci_u32_e32 v8, vcc_lo, s23, v8, vcc_lo
	s_branch .LBB52_16
.LBB52_14:                              ;   in Loop: Header=BB52_16 Depth=4
	s_or_b32 exec_lo, exec_lo, s11
	v_cmp_le_i32_e32 vcc_lo, v9, v10
	v_cmp_ge_i32_e64 s11, v9, v10
	v_add_co_ci_u32_e32 v17, vcc_lo, 0, v17, vcc_lo
	s_delay_alu instid0(VALU_DEP_2) | instskip(SKIP_1) | instid1(VALU_DEP_2)
	v_add_co_ci_u32_e64 v31, s11, 0, v31, s11
	s_and_not1_b32 s11, s75, exec_lo
	v_cmp_ge_i32_e32 vcc_lo, v17, v48
	s_and_b32 s75, vcc_lo, exec_lo
	s_delay_alu instid0(SALU_CYCLE_1)
	s_or_b32 s75, s11, s75
.LBB52_15:                              ;   in Loop: Header=BB52_16 Depth=4
	s_or_b32 exec_lo, exec_lo, s76
	s_delay_alu instid0(SALU_CYCLE_1) | instskip(NEXT) | instid1(SALU_CYCLE_1)
	s_and_b32 s11, exec_lo, s75
	s_or_b32 s74, s11, s74
	s_delay_alu instid0(SALU_CYCLE_1)
	s_and_not1_b32 exec_lo, exec_lo, s74
	s_cbranch_execz .LBB52_19
.LBB52_16:                              ;   Parent Loop BB52_3 Depth=1
                                        ;     Parent Loop BB52_7 Depth=2
                                        ;       Parent Loop BB52_12 Depth=3
                                        ; =>      This Inner Loop Header: Depth=4
	s_or_b32 s75, s75, exec_lo
	s_mov_b32 s76, exec_lo
	v_cmpx_lt_i32_e64 v31, v53
	s_cbranch_execz .LBB52_15
; %bb.17:                               ;   in Loop: Header=BB52_16 Depth=4
	v_mov_b32_e32 v32, v18
	v_lshlrev_b64 v[9:10], 2, v[17:18]
	s_mov_b32 s11, exec_lo
	s_delay_alu instid0(VALU_DEP_2) | instskip(NEXT) | instid1(VALU_DEP_2)
	v_lshlrev_b64 v[11:12], 2, v[31:32]
	v_add_co_u32 v9, vcc_lo, v49, v9
	s_delay_alu instid0(VALU_DEP_3) | instskip(NEXT) | instid1(VALU_DEP_3)
	v_add_co_ci_u32_e32 v10, vcc_lo, v50, v10, vcc_lo
	v_add_co_u32 v11, vcc_lo, v5, v11
	s_delay_alu instid0(VALU_DEP_4)
	v_add_co_ci_u32_e32 v12, vcc_lo, v6, v12, vcc_lo
	global_load_b32 v9, v[9:10], off
	global_load_b32 v10, v[11:12], off
	s_waitcnt vmcnt(1)
	v_subrev_nc_u32_e32 v9, s64, v9
	s_waitcnt vmcnt(0)
	v_subrev_nc_u32_e32 v10, s65, v10
	s_delay_alu instid0(VALU_DEP_1)
	v_cmpx_eq_u32_e64 v9, v10
	s_cbranch_execz .LBB52_14
; %bb.18:                               ;   in Loop: Header=BB52_16 Depth=4
	v_lshlrev_b64 v[11:12], 4, v[17:18]
	v_lshlrev_b64 v[13:14], 4, v[31:32]
	s_delay_alu instid0(VALU_DEP_2) | instskip(NEXT) | instid1(VALU_DEP_3)
	v_add_co_u32 v11, vcc_lo, v51, v11
	v_add_co_ci_u32_e32 v12, vcc_lo, v52, v12, vcc_lo
	s_delay_alu instid0(VALU_DEP_3) | instskip(NEXT) | instid1(VALU_DEP_4)
	v_add_co_u32 v15, vcc_lo, v7, v13
	v_add_co_ci_u32_e32 v16, vcc_lo, v8, v14, vcc_lo
	global_load_b128 v[11:14], v[11:12], off
	global_load_b128 v[32:35], v[15:16], off
	s_waitcnt vmcnt(0)
	v_fma_f64 v[15:16], v[11:12], v[32:33], v[25:26]
	v_fma_f64 v[27:28], v[13:14], v[32:33], v[27:28]
	s_delay_alu instid0(VALU_DEP_2) | instskip(NEXT) | instid1(VALU_DEP_2)
	v_fma_f64 v[25:26], -v[13:14], v[34:35], v[15:16]
	v_fma_f64 v[27:28], v[11:12], v[34:35], v[27:28]
	s_branch .LBB52_14
.LBB52_19:                              ;   in Loop: Header=BB52_12 Depth=3
	s_or_b32 exec_lo, exec_lo, s74
.LBB52_20:                              ;   in Loop: Header=BB52_12 Depth=3
	s_delay_alu instid0(SALU_CYCLE_1) | instskip(SKIP_3) | instid1(VALU_DEP_2)
	s_or_b32 exec_lo, exec_lo, s12
	v_lshlrev_b64 v[5:6], 4, v[20:21]
	v_cmp_le_i32_e64 s11, v19, v23
	s_mov_b32 s12, exec_lo
	v_add_co_u32 v5, vcc_lo, s42, v5
	s_delay_alu instid0(VALU_DEP_3)
	v_add_co_ci_u32_e32 v6, vcc_lo, s43, v6, vcc_lo
	global_load_b128 v[5:8], v[5:6], off
	s_waitcnt vmcnt(0)
	v_add_f64 v[9:10], v[5:6], -v[25:26]
	v_add_f64 v[11:12], v[7:8], -v[27:28]
	v_cmpx_gt_i32_e64 v19, v23
	s_cbranch_execz .LBB52_30
; %bb.21:                               ;   in Loop: Header=BB52_12 Depth=3
	v_lshlrev_b64 v[13:14], 4, v[23:24]
	s_mov_b32 s74, exec_lo
                                        ; implicit-def: $vgpr36_vgpr37
	s_delay_alu instid0(VALU_DEP_1) | instskip(NEXT) | instid1(VALU_DEP_2)
	v_add_co_u32 v13, vcc_lo, s52, v13
	v_add_co_ci_u32_e32 v14, vcc_lo, s53, v14, vcc_lo
	global_load_b128 v[13:16], v[13:14], off
	s_waitcnt vmcnt(0)
	v_cmp_gt_f64_e32 vcc_lo, 0, v[13:14]
	v_xor_b32_e32 v21, 0x80000000, v14
	v_mov_b32_e32 v32, v13
	v_xor_b32_e32 v30, 0x80000000, v16
	s_delay_alu instid0(VALU_DEP_3) | instskip(SKIP_1) | instid1(VALU_DEP_3)
	v_dual_mov_b32 v34, v15 :: v_dual_cndmask_b32 v33, v14, v21
	v_cmp_gt_f64_e32 vcc_lo, 0, v[15:16]
	v_cndmask_b32_e32 v35, v16, v30, vcc_lo
	s_delay_alu instid0(VALU_DEP_1)
	v_cmpx_ngt_f64_e32 v[32:33], v[34:35]
	s_xor_b32 s74, exec_lo, s74
	s_cbranch_execz .LBB52_25
; %bb.22:                               ;   in Loop: Header=BB52_12 Depth=3
	v_mov_b32_e32 v36, 0
	v_mov_b32_e32 v37, 0
	s_mov_b32 s75, exec_lo
	v_cmpx_neq_f64_e32 0, v[15:16]
	s_cbranch_execz .LBB52_24
; %bb.23:                               ;   in Loop: Header=BB52_12 Depth=3
	v_div_scale_f64 v[36:37], null, v[34:35], v[34:35], v[32:33]
	v_div_scale_f64 v[58:59], vcc_lo, v[32:33], v[34:35], v[32:33]
	s_delay_alu instid0(VALU_DEP_2) | instskip(SKIP_2) | instid1(VALU_DEP_1)
	v_rcp_f64_e32 v[54:55], v[36:37]
	s_waitcnt_depctr 0xfff
	v_fma_f64 v[56:57], -v[36:37], v[54:55], 1.0
	v_fma_f64 v[54:55], v[54:55], v[56:57], v[54:55]
	s_delay_alu instid0(VALU_DEP_1) | instskip(NEXT) | instid1(VALU_DEP_1)
	v_fma_f64 v[56:57], -v[36:37], v[54:55], 1.0
	v_fma_f64 v[54:55], v[54:55], v[56:57], v[54:55]
	s_delay_alu instid0(VALU_DEP_1) | instskip(NEXT) | instid1(VALU_DEP_1)
	v_mul_f64 v[56:57], v[58:59], v[54:55]
	v_fma_f64 v[36:37], -v[36:37], v[56:57], v[58:59]
	s_delay_alu instid0(VALU_DEP_1) | instskip(NEXT) | instid1(VALU_DEP_1)
	v_div_fmas_f64 v[36:37], v[36:37], v[54:55], v[56:57]
	v_div_fixup_f64 v[32:33], v[36:37], v[34:35], v[32:33]
	s_delay_alu instid0(VALU_DEP_1) | instskip(NEXT) | instid1(VALU_DEP_1)
	v_fma_f64 v[32:33], v[32:33], v[32:33], 1.0
	v_cmp_gt_f64_e32 vcc_lo, 0x10000000, v[32:33]
	v_cndmask_b32_e64 v21, 0, 1, vcc_lo
	s_delay_alu instid0(VALU_DEP_1) | instskip(NEXT) | instid1(VALU_DEP_1)
	v_lshlrev_b32_e32 v21, 8, v21
	v_ldexp_f64 v[32:33], v[32:33], v21
	v_cndmask_b32_e64 v21, 0, 0xffffff80, vcc_lo
	s_delay_alu instid0(VALU_DEP_2) | instskip(SKIP_4) | instid1(VALU_DEP_1)
	v_rsq_f64_e32 v[36:37], v[32:33]
	v_cmp_class_f64_e64 vcc_lo, v[32:33], 0x260
	s_waitcnt_depctr 0xfff
	v_mul_f64 v[54:55], v[32:33], v[36:37]
	v_mul_f64 v[36:37], v[36:37], 0.5
	v_fma_f64 v[56:57], -v[36:37], v[54:55], 0.5
	s_delay_alu instid0(VALU_DEP_1) | instskip(SKIP_1) | instid1(VALU_DEP_2)
	v_fma_f64 v[54:55], v[54:55], v[56:57], v[54:55]
	v_fma_f64 v[36:37], v[36:37], v[56:57], v[36:37]
	v_fma_f64 v[56:57], -v[54:55], v[54:55], v[32:33]
	s_delay_alu instid0(VALU_DEP_1) | instskip(NEXT) | instid1(VALU_DEP_1)
	v_fma_f64 v[54:55], v[56:57], v[36:37], v[54:55]
	v_fma_f64 v[56:57], -v[54:55], v[54:55], v[32:33]
	s_delay_alu instid0(VALU_DEP_1) | instskip(NEXT) | instid1(VALU_DEP_1)
	v_fma_f64 v[36:37], v[56:57], v[36:37], v[54:55]
	v_ldexp_f64 v[36:37], v[36:37], v21
	s_delay_alu instid0(VALU_DEP_1) | instskip(NEXT) | instid1(VALU_DEP_1)
	v_dual_cndmask_b32 v32, v36, v32 :: v_dual_cndmask_b32 v33, v37, v33
	v_mul_f64 v[36:37], v[34:35], v[32:33]
.LBB52_24:                              ;   in Loop: Header=BB52_12 Depth=3
	s_or_b32 exec_lo, exec_lo, s75
                                        ; implicit-def: $vgpr32_vgpr33
                                        ; implicit-def: $vgpr34_vgpr35
.LBB52_25:                              ;   in Loop: Header=BB52_12 Depth=3
	s_and_not1_saveexec_b32 s74, s74
	s_cbranch_execz .LBB52_27
; %bb.26:                               ;   in Loop: Header=BB52_12 Depth=3
	v_div_scale_f64 v[36:37], null, v[32:33], v[32:33], v[34:35]
	v_div_scale_f64 v[58:59], vcc_lo, v[34:35], v[32:33], v[34:35]
	s_delay_alu instid0(VALU_DEP_2) | instskip(SKIP_2) | instid1(VALU_DEP_1)
	v_rcp_f64_e32 v[54:55], v[36:37]
	s_waitcnt_depctr 0xfff
	v_fma_f64 v[56:57], -v[36:37], v[54:55], 1.0
	v_fma_f64 v[54:55], v[54:55], v[56:57], v[54:55]
	s_delay_alu instid0(VALU_DEP_1) | instskip(NEXT) | instid1(VALU_DEP_1)
	v_fma_f64 v[56:57], -v[36:37], v[54:55], 1.0
	v_fma_f64 v[54:55], v[54:55], v[56:57], v[54:55]
	s_delay_alu instid0(VALU_DEP_1) | instskip(NEXT) | instid1(VALU_DEP_1)
	v_mul_f64 v[56:57], v[58:59], v[54:55]
	v_fma_f64 v[36:37], -v[36:37], v[56:57], v[58:59]
	s_delay_alu instid0(VALU_DEP_1) | instskip(NEXT) | instid1(VALU_DEP_1)
	v_div_fmas_f64 v[36:37], v[36:37], v[54:55], v[56:57]
	v_div_fixup_f64 v[34:35], v[36:37], v[32:33], v[34:35]
	s_delay_alu instid0(VALU_DEP_1) | instskip(NEXT) | instid1(VALU_DEP_1)
	v_fma_f64 v[34:35], v[34:35], v[34:35], 1.0
	v_cmp_gt_f64_e32 vcc_lo, 0x10000000, v[34:35]
	v_cndmask_b32_e64 v21, 0, 1, vcc_lo
	s_delay_alu instid0(VALU_DEP_1) | instskip(NEXT) | instid1(VALU_DEP_1)
	v_lshlrev_b32_e32 v21, 8, v21
	v_ldexp_f64 v[34:35], v[34:35], v21
	v_cndmask_b32_e64 v21, 0, 0xffffff80, vcc_lo
	s_delay_alu instid0(VALU_DEP_2) | instskip(SKIP_4) | instid1(VALU_DEP_1)
	v_rsq_f64_e32 v[36:37], v[34:35]
	v_cmp_class_f64_e64 vcc_lo, v[34:35], 0x260
	s_waitcnt_depctr 0xfff
	v_mul_f64 v[54:55], v[34:35], v[36:37]
	v_mul_f64 v[36:37], v[36:37], 0.5
	v_fma_f64 v[56:57], -v[36:37], v[54:55], 0.5
	s_delay_alu instid0(VALU_DEP_1) | instskip(SKIP_1) | instid1(VALU_DEP_2)
	v_fma_f64 v[54:55], v[54:55], v[56:57], v[54:55]
	v_fma_f64 v[36:37], v[36:37], v[56:57], v[36:37]
	v_fma_f64 v[56:57], -v[54:55], v[54:55], v[34:35]
	s_delay_alu instid0(VALU_DEP_1) | instskip(NEXT) | instid1(VALU_DEP_1)
	v_fma_f64 v[54:55], v[56:57], v[36:37], v[54:55]
	v_fma_f64 v[56:57], -v[54:55], v[54:55], v[34:35]
	s_delay_alu instid0(VALU_DEP_1) | instskip(NEXT) | instid1(VALU_DEP_1)
	v_fma_f64 v[36:37], v[56:57], v[36:37], v[54:55]
	v_ldexp_f64 v[36:37], v[36:37], v21
	s_delay_alu instid0(VALU_DEP_1) | instskip(NEXT) | instid1(VALU_DEP_1)
	v_dual_cndmask_b32 v34, v36, v34 :: v_dual_cndmask_b32 v35, v37, v35
	v_mul_f64 v[36:37], v[32:33], v[34:35]
.LBB52_27:                              ;   in Loop: Header=BB52_12 Depth=3
	s_or_b32 exec_lo, exec_lo, s74
	v_mov_b32_e32 v32, 0
	v_mov_b32_e32 v33, 0
	s_mov_b32 s74, exec_lo
	s_delay_alu instid0(VALU_DEP_1) | instskip(NEXT) | instid1(VALU_DEP_4)
	v_dual_mov_b32 v35, v33 :: v_dual_mov_b32 v34, v32
	v_cmpx_lt_f64_e32 0, v[36:37]
	s_cbranch_execz .LBB52_29
; %bb.28:                               ;   in Loop: Header=BB52_12 Depth=3
	v_mul_f64 v[32:33], v[15:16], v[15:16]
	s_delay_alu instid0(VALU_DEP_1) | instskip(NEXT) | instid1(VALU_DEP_1)
	v_fma_f64 v[32:33], v[13:14], v[13:14], v[32:33]
	v_div_scale_f64 v[34:35], null, v[32:33], v[32:33], 1.0
	v_div_scale_f64 v[56:57], vcc_lo, 1.0, v[32:33], 1.0
	s_delay_alu instid0(VALU_DEP_2) | instskip(SKIP_2) | instid1(VALU_DEP_1)
	v_rcp_f64_e32 v[36:37], v[34:35]
	s_waitcnt_depctr 0xfff
	v_fma_f64 v[54:55], -v[34:35], v[36:37], 1.0
	v_fma_f64 v[36:37], v[36:37], v[54:55], v[36:37]
	s_delay_alu instid0(VALU_DEP_1) | instskip(NEXT) | instid1(VALU_DEP_1)
	v_fma_f64 v[54:55], -v[34:35], v[36:37], 1.0
	v_fma_f64 v[36:37], v[36:37], v[54:55], v[36:37]
	s_delay_alu instid0(VALU_DEP_1) | instskip(NEXT) | instid1(VALU_DEP_1)
	v_mul_f64 v[54:55], v[56:57], v[36:37]
	v_fma_f64 v[34:35], -v[34:35], v[54:55], v[56:57]
	v_mul_f64 v[56:57], v[11:12], v[15:16]
	v_mul_f64 v[15:16], v[15:16], -v[9:10]
	s_delay_alu instid0(VALU_DEP_3) | instskip(NEXT) | instid1(VALU_DEP_3)
	v_div_fmas_f64 v[34:35], v[34:35], v[36:37], v[54:55]
	v_fma_f64 v[9:10], v[9:10], v[13:14], v[56:57]
	s_delay_alu instid0(VALU_DEP_3) | instskip(NEXT) | instid1(VALU_DEP_3)
	v_fma_f64 v[11:12], v[11:12], v[13:14], v[15:16]
	v_div_fixup_f64 v[32:33], v[34:35], v[32:33], 1.0
	s_delay_alu instid0(VALU_DEP_1) | instskip(NEXT) | instid1(VALU_DEP_3)
	v_mul_f64 v[34:35], v[9:10], v[32:33]
	v_mul_f64 v[32:33], v[11:12], v[32:33]
.LBB52_29:                              ;   in Loop: Header=BB52_12 Depth=3
	s_or_b32 exec_lo, exec_lo, s74
	s_delay_alu instid0(VALU_DEP_1) | instskip(NEXT) | instid1(VALU_DEP_3)
	v_dual_mov_b32 v11, v32 :: v_dual_mov_b32 v12, v33
	v_dual_mov_b32 v9, v34 :: v_dual_mov_b32 v10, v35
.LBB52_30:                              ;   in Loop: Header=BB52_12 Depth=3
	s_or_b32 exec_lo, exec_lo, s12
	s_delay_alu instid0(VALU_DEP_1) | instskip(NEXT) | instid1(VALU_DEP_3)
	v_cmp_gt_f64_e32 vcc_lo, 0, v[9:10]
	v_cmp_gt_f64_e64 s12, 0, v[11:12]
	v_xor_b32_e32 v13, 0x80000000, v10
	v_xor_b32_e32 v15, 0x80000000, v12
                                        ; implicit-def: $vgpr32_vgpr33
	s_delay_alu instid0(VALU_DEP_2) | instskip(NEXT) | instid1(VALU_DEP_2)
	v_cndmask_b32_e32 v14, v10, v13, vcc_lo
	v_cndmask_b32_e64 v16, v12, v15, s12
	v_cndmask_b32_e32 v13, v9, v9, vcc_lo
	v_cndmask_b32_e64 v15, v11, v11, s12
	s_mov_b32 s12, exec_lo
	s_delay_alu instid0(VALU_DEP_1)
	v_cmpx_ngt_f64_e32 v[13:14], v[15:16]
	s_xor_b32 s12, exec_lo, s12
	s_cbranch_execnz .LBB52_34
; %bb.31:                               ;   in Loop: Header=BB52_12 Depth=3
	s_and_not1_saveexec_b32 s12, s12
	s_cbranch_execnz .LBB52_37
.LBB52_32:                              ;   in Loop: Header=BB52_12 Depth=3
	s_or_b32 exec_lo, exec_lo, s12
	s_delay_alu instid0(VALU_DEP_1) | instskip(NEXT) | instid1(VALU_DEP_1)
	v_cmp_class_f64_e64 s12, v[32:33], 0x1f8
	s_and_saveexec_b32 s74, s12
	s_cbranch_execnz .LBB52_38
.LBB52_33:                              ;   in Loop: Header=BB52_12 Depth=3
	s_or_b32 exec_lo, exec_lo, s74
	s_and_b32 s11, s12, s33
	s_delay_alu instid0(SALU_CYCLE_1)
	s_and_saveexec_b32 s12, s11
	s_cbranch_execz .LBB52_11
	s_branch .LBB52_79
.LBB52_34:                              ;   in Loop: Header=BB52_12 Depth=3
	v_mov_b32_e32 v32, 0
	v_mov_b32_e32 v33, 0
	s_mov_b32 s74, exec_lo
	v_cmpx_neq_f64_e32 0, v[11:12]
	s_cbranch_execz .LBB52_36
; %bb.35:                               ;   in Loop: Header=BB52_12 Depth=3
	v_div_scale_f64 v[32:33], null, v[15:16], v[15:16], v[13:14]
	v_div_scale_f64 v[54:55], vcc_lo, v[13:14], v[15:16], v[13:14]
	s_delay_alu instid0(VALU_DEP_2) | instskip(SKIP_2) | instid1(VALU_DEP_1)
	v_rcp_f64_e32 v[34:35], v[32:33]
	s_waitcnt_depctr 0xfff
	v_fma_f64 v[36:37], -v[32:33], v[34:35], 1.0
	v_fma_f64 v[34:35], v[34:35], v[36:37], v[34:35]
	s_delay_alu instid0(VALU_DEP_1) | instskip(NEXT) | instid1(VALU_DEP_1)
	v_fma_f64 v[36:37], -v[32:33], v[34:35], 1.0
	v_fma_f64 v[34:35], v[34:35], v[36:37], v[34:35]
	s_delay_alu instid0(VALU_DEP_1) | instskip(NEXT) | instid1(VALU_DEP_1)
	v_mul_f64 v[36:37], v[54:55], v[34:35]
	v_fma_f64 v[32:33], -v[32:33], v[36:37], v[54:55]
	s_delay_alu instid0(VALU_DEP_1) | instskip(NEXT) | instid1(VALU_DEP_1)
	v_div_fmas_f64 v[32:33], v[32:33], v[34:35], v[36:37]
	v_div_fixup_f64 v[13:14], v[32:33], v[15:16], v[13:14]
	s_delay_alu instid0(VALU_DEP_1) | instskip(NEXT) | instid1(VALU_DEP_1)
	v_fma_f64 v[13:14], v[13:14], v[13:14], 1.0
	v_cmp_gt_f64_e32 vcc_lo, 0x10000000, v[13:14]
	v_cndmask_b32_e64 v21, 0, 1, vcc_lo
	s_delay_alu instid0(VALU_DEP_1) | instskip(NEXT) | instid1(VALU_DEP_1)
	v_lshlrev_b32_e32 v21, 8, v21
	v_ldexp_f64 v[13:14], v[13:14], v21
	v_cndmask_b32_e64 v21, 0, 0xffffff80, vcc_lo
	s_delay_alu instid0(VALU_DEP_2) | instskip(SKIP_4) | instid1(VALU_DEP_1)
	v_rsq_f64_e32 v[32:33], v[13:14]
	v_cmp_class_f64_e64 vcc_lo, v[13:14], 0x260
	s_waitcnt_depctr 0xfff
	v_mul_f64 v[34:35], v[13:14], v[32:33]
	v_mul_f64 v[32:33], v[32:33], 0.5
	v_fma_f64 v[36:37], -v[32:33], v[34:35], 0.5
	s_delay_alu instid0(VALU_DEP_1) | instskip(SKIP_1) | instid1(VALU_DEP_2)
	v_fma_f64 v[34:35], v[34:35], v[36:37], v[34:35]
	v_fma_f64 v[32:33], v[32:33], v[36:37], v[32:33]
	v_fma_f64 v[36:37], -v[34:35], v[34:35], v[13:14]
	s_delay_alu instid0(VALU_DEP_1) | instskip(NEXT) | instid1(VALU_DEP_1)
	v_fma_f64 v[34:35], v[36:37], v[32:33], v[34:35]
	v_fma_f64 v[36:37], -v[34:35], v[34:35], v[13:14]
	s_delay_alu instid0(VALU_DEP_1) | instskip(NEXT) | instid1(VALU_DEP_1)
	v_fma_f64 v[32:33], v[36:37], v[32:33], v[34:35]
	v_ldexp_f64 v[32:33], v[32:33], v21
	s_delay_alu instid0(VALU_DEP_1) | instskip(NEXT) | instid1(VALU_DEP_1)
	v_dual_cndmask_b32 v14, v33, v14 :: v_dual_cndmask_b32 v13, v32, v13
	v_mul_f64 v[32:33], v[15:16], v[13:14]
.LBB52_36:                              ;   in Loop: Header=BB52_12 Depth=3
	s_or_b32 exec_lo, exec_lo, s74
                                        ; implicit-def: $vgpr13_vgpr14
                                        ; implicit-def: $vgpr15_vgpr16
	s_and_not1_saveexec_b32 s12, s12
	s_cbranch_execz .LBB52_32
.LBB52_37:                              ;   in Loop: Header=BB52_12 Depth=3
	v_div_scale_f64 v[32:33], null, v[13:14], v[13:14], v[15:16]
	v_div_scale_f64 v[54:55], vcc_lo, v[15:16], v[13:14], v[15:16]
	s_delay_alu instid0(VALU_DEP_2) | instskip(SKIP_2) | instid1(VALU_DEP_1)
	v_rcp_f64_e32 v[34:35], v[32:33]
	s_waitcnt_depctr 0xfff
	v_fma_f64 v[36:37], -v[32:33], v[34:35], 1.0
	v_fma_f64 v[34:35], v[34:35], v[36:37], v[34:35]
	s_delay_alu instid0(VALU_DEP_1) | instskip(NEXT) | instid1(VALU_DEP_1)
	v_fma_f64 v[36:37], -v[32:33], v[34:35], 1.0
	v_fma_f64 v[34:35], v[34:35], v[36:37], v[34:35]
	s_delay_alu instid0(VALU_DEP_1) | instskip(NEXT) | instid1(VALU_DEP_1)
	v_mul_f64 v[36:37], v[54:55], v[34:35]
	v_fma_f64 v[32:33], -v[32:33], v[36:37], v[54:55]
	s_delay_alu instid0(VALU_DEP_1) | instskip(NEXT) | instid1(VALU_DEP_1)
	v_div_fmas_f64 v[32:33], v[32:33], v[34:35], v[36:37]
	v_div_fixup_f64 v[15:16], v[32:33], v[13:14], v[15:16]
	s_delay_alu instid0(VALU_DEP_1) | instskip(NEXT) | instid1(VALU_DEP_1)
	v_fma_f64 v[15:16], v[15:16], v[15:16], 1.0
	v_cmp_gt_f64_e32 vcc_lo, 0x10000000, v[15:16]
	v_cndmask_b32_e64 v21, 0, 1, vcc_lo
	s_delay_alu instid0(VALU_DEP_1) | instskip(NEXT) | instid1(VALU_DEP_1)
	v_lshlrev_b32_e32 v21, 8, v21
	v_ldexp_f64 v[15:16], v[15:16], v21
	v_cndmask_b32_e64 v21, 0, 0xffffff80, vcc_lo
	s_delay_alu instid0(VALU_DEP_2) | instskip(SKIP_4) | instid1(VALU_DEP_1)
	v_rsq_f64_e32 v[32:33], v[15:16]
	v_cmp_class_f64_e64 vcc_lo, v[15:16], 0x260
	s_waitcnt_depctr 0xfff
	v_mul_f64 v[34:35], v[15:16], v[32:33]
	v_mul_f64 v[32:33], v[32:33], 0.5
	v_fma_f64 v[36:37], -v[32:33], v[34:35], 0.5
	s_delay_alu instid0(VALU_DEP_1) | instskip(SKIP_1) | instid1(VALU_DEP_2)
	v_fma_f64 v[34:35], v[34:35], v[36:37], v[34:35]
	v_fma_f64 v[32:33], v[32:33], v[36:37], v[32:33]
	v_fma_f64 v[36:37], -v[34:35], v[34:35], v[15:16]
	s_delay_alu instid0(VALU_DEP_1) | instskip(NEXT) | instid1(VALU_DEP_1)
	v_fma_f64 v[34:35], v[36:37], v[32:33], v[34:35]
	v_fma_f64 v[36:37], -v[34:35], v[34:35], v[15:16]
	s_delay_alu instid0(VALU_DEP_1) | instskip(NEXT) | instid1(VALU_DEP_1)
	v_fma_f64 v[32:33], v[36:37], v[32:33], v[34:35]
	v_ldexp_f64 v[32:33], v[32:33], v21
	s_delay_alu instid0(VALU_DEP_1) | instskip(NEXT) | instid1(VALU_DEP_1)
	v_dual_cndmask_b32 v16, v33, v16 :: v_dual_cndmask_b32 v15, v32, v15
	v_mul_f64 v[32:33], v[13:14], v[15:16]
	s_or_b32 exec_lo, exec_lo, s12
	s_delay_alu instid0(VALU_DEP_1) | instskip(NEXT) | instid1(VALU_DEP_1)
	v_cmp_class_f64_e64 s12, v[32:33], 0x1f8
	s_and_saveexec_b32 s74, s12
	s_cbranch_execz .LBB52_33
.LBB52_38:                              ;   in Loop: Header=BB52_12 Depth=3
	s_and_saveexec_b32 s75, s11
	s_delay_alu instid0(SALU_CYCLE_1)
	s_xor_b32 s75, exec_lo, s75
	s_cbranch_execz .LBB52_63
; %bb.39:                               ;   in Loop: Header=BB52_12 Depth=3
	s_mov_b32 s11, exec_lo
	v_cmpx_ge_i32_e64 v19, v23
	s_xor_b32 s76, exec_lo, s11
	s_cbranch_execz .LBB52_47
; %bb.40:                               ;   in Loop: Header=BB52_12 Depth=3
	v_lshlrev_b64 v[13:14], 4, v[23:24]
	s_delay_alu instid0(VALU_DEP_1) | instskip(NEXT) | instid1(VALU_DEP_2)
	v_add_co_u32 v15, vcc_lo, s54, v13
	v_add_co_ci_u32_e32 v16, vcc_lo, s55, v14, vcc_lo
	s_and_not1_b32 vcc_lo, exec_lo, s58
	global_store_b128 v[15:16], v[9:12], off
	s_cbranch_vccnz .LBB52_46
; %bb.41:                               ;   in Loop: Header=BB52_12 Depth=3
	v_add_co_u32 v13, vcc_lo, s52, v13
	v_add_co_ci_u32_e32 v14, vcc_lo, s53, v14, vcc_lo
	global_load_b128 v[13:16], v[13:14], off
	s_waitcnt vmcnt(0)
	v_add_f64 v[9:10], v[13:14], -v[9:10]
	v_add_f64 v[15:16], v[15:16], -v[11:12]
                                        ; implicit-def: $vgpr13_vgpr14
	s_delay_alu instid0(VALU_DEP_2) | instskip(NEXT) | instid1(VALU_DEP_2)
	v_cmp_gt_f64_e32 vcc_lo, 0, v[9:10]
	v_cmp_gt_f64_e64 s11, 0, v[15:16]
	v_xor_b32_e32 v11, 0x80000000, v10
	v_xor_b32_e32 v12, 0x80000000, v16
	s_delay_alu instid0(VALU_DEP_2) | instskip(NEXT) | instid1(VALU_DEP_2)
	v_dual_cndmask_b32 v10, v10, v11 :: v_dual_cndmask_b32 v9, v9, v9
	v_cndmask_b32_e64 v12, v16, v12, s11
	v_cndmask_b32_e64 v11, v15, v15, s11
	s_mov_b32 s11, exec_lo
	s_delay_alu instid0(VALU_DEP_1)
	v_cmpx_ngt_f64_e32 v[9:10], v[11:12]
	s_xor_b32 s11, exec_lo, s11
	s_cbranch_execnz .LBB52_107
; %bb.42:                               ;   in Loop: Header=BB52_12 Depth=3
	s_and_not1_saveexec_b32 s11, s11
	s_cbranch_execnz .LBB52_110
.LBB52_43:                              ;   in Loop: Header=BB52_12 Depth=3
	s_or_b32 exec_lo, exec_lo, s11
	s_delay_alu instid0(VALU_DEP_1) | instskip(NEXT) | instid1(VALU_DEP_1)
	v_cmp_class_f64_e64 s77, v[13:14], 0x1f8
	s_and_saveexec_b32 s11, s77
.LBB52_44:                              ;   in Loop: Header=BB52_12 Depth=3
	v_cmp_lt_f64_e32 vcc_lo, v[3:4], v[13:14]
	v_dual_cndmask_b32 v4, v4, v14 :: v_dual_cndmask_b32 v3, v3, v13
.LBB52_45:                              ;   in Loop: Header=BB52_12 Depth=3
	s_or_b32 exec_lo, exec_lo, s11
.LBB52_46:                              ;   in Loop: Header=BB52_12 Depth=3
                                        ; implicit-def: $vgpr9_vgpr10
.LBB52_47:                              ;   in Loop: Header=BB52_12 Depth=3
	s_and_not1_saveexec_b32 s76, s76
	s_cbranch_execz .LBB52_62
; %bb.48:                               ;   in Loop: Header=BB52_12 Depth=3
	s_mov_b32 s77, exec_lo
	v_cmpx_lt_i32_e64 v31, v53
	s_cbranch_execz .LBB52_61
; %bb.49:                               ;   in Loop: Header=BB52_12 Depth=3
	v_mov_b32_e32 v15, v31
	s_mov_b32 s11, 0
                                        ; implicit-def: $sgpr78
                                        ; implicit-def: $sgpr80
                                        ; implicit-def: $sgpr79
	s_set_inst_prefetch_distance 0x1
	s_branch .LBB52_51
	.p2align	6
.LBB52_50:                              ;   in Loop: Header=BB52_51 Depth=4
	s_or_b32 exec_lo, exec_lo, s81
	s_delay_alu instid0(SALU_CYCLE_1) | instskip(NEXT) | instid1(SALU_CYCLE_1)
	s_and_b32 s81, exec_lo, s80
	s_or_b32 s11, s81, s11
	s_and_not1_b32 s78, s78, exec_lo
	s_and_b32 s81, s79, exec_lo
	s_delay_alu instid0(SALU_CYCLE_1)
	s_or_b32 s78, s78, s81
	s_and_not1_b32 exec_lo, exec_lo, s11
	s_cbranch_execz .LBB52_53
.LBB52_51:                              ;   Parent Loop BB52_3 Depth=1
                                        ;     Parent Loop BB52_7 Depth=2
                                        ;       Parent Loop BB52_12 Depth=3
                                        ; =>      This Inner Loop Header: Depth=4
	s_delay_alu instid0(VALU_DEP_1) | instskip(SKIP_3) | instid1(VALU_DEP_1)
	v_add_nc_u32_e32 v13, v29, v15
	s_or_b32 s79, s79, exec_lo
	s_or_b32 s80, s80, exec_lo
	s_mov_b32 s81, exec_lo
	v_ashrrev_i32_e32 v14, 31, v13
	s_delay_alu instid0(VALU_DEP_1) | instskip(NEXT) | instid1(VALU_DEP_1)
	v_lshlrev_b64 v[32:33], 2, v[13:14]
	v_add_co_u32 v32, vcc_lo, s20, v32
	s_delay_alu instid0(VALU_DEP_2) | instskip(SKIP_3) | instid1(VALU_DEP_1)
	v_add_co_ci_u32_e32 v33, vcc_lo, s21, v33, vcc_lo
	global_load_b32 v16, v[32:33], off
	s_waitcnt vmcnt(0)
	v_subrev_nc_u32_e32 v16, s65, v16
	v_cmpx_ne_u32_e64 v16, v19
	s_cbranch_execz .LBB52_50
; %bb.52:                               ;   in Loop: Header=BB52_51 Depth=4
	v_add_nc_u32_e32 v15, 1, v15
	s_and_not1_b32 s80, s80, exec_lo
	s_and_not1_b32 s79, s79, exec_lo
	s_delay_alu instid0(VALU_DEP_1) | instskip(SKIP_1) | instid1(SALU_CYCLE_1)
	v_cmp_ge_i32_e32 vcc_lo, v15, v53
	s_and_b32 s82, vcc_lo, exec_lo
	s_or_b32 s80, s80, s82
	s_branch .LBB52_50
.LBB52_53:                              ;   in Loop: Header=BB52_12 Depth=3
	s_set_inst_prefetch_distance 0x2
	s_or_b32 exec_lo, exec_lo, s11
	s_and_saveexec_b32 s11, s78
	s_delay_alu instid0(SALU_CYCLE_1)
	s_xor_b32 s78, exec_lo, s11
	s_cbranch_execz .LBB52_60
; %bb.54:                               ;   in Loop: Header=BB52_12 Depth=3
	v_lshlrev_b64 v[13:14], 4, v[13:14]
	s_delay_alu instid0(VALU_DEP_1) | instskip(NEXT) | instid1(VALU_DEP_2)
	v_add_co_u32 v15, vcc_lo, s34, v13
	v_add_co_ci_u32_e32 v16, vcc_lo, s35, v14, vcc_lo
	s_and_not1_b32 vcc_lo, exec_lo, s58
	global_store_b128 v[15:16], v[9:12], off
	s_cbranch_vccnz .LBB52_60
; %bb.55:                               ;   in Loop: Header=BB52_12 Depth=3
	v_add_co_u32 v13, vcc_lo, s22, v13
	v_add_co_ci_u32_e32 v14, vcc_lo, s23, v14, vcc_lo
	global_load_b128 v[13:16], v[13:14], off
	s_waitcnt vmcnt(0)
	v_add_f64 v[9:10], v[13:14], -v[9:10]
	v_add_f64 v[15:16], v[15:16], -v[11:12]
                                        ; implicit-def: $vgpr13_vgpr14
	s_delay_alu instid0(VALU_DEP_2) | instskip(NEXT) | instid1(VALU_DEP_2)
	v_cmp_gt_f64_e32 vcc_lo, 0, v[9:10]
	v_cmp_gt_f64_e64 s11, 0, v[15:16]
	v_xor_b32_e32 v11, 0x80000000, v10
	v_xor_b32_e32 v12, 0x80000000, v16
	s_delay_alu instid0(VALU_DEP_2) | instskip(NEXT) | instid1(VALU_DEP_2)
	v_dual_cndmask_b32 v10, v10, v11 :: v_dual_cndmask_b32 v9, v9, v9
	v_cndmask_b32_e64 v12, v16, v12, s11
	v_cndmask_b32_e64 v11, v15, v15, s11
	s_mov_b32 s11, exec_lo
	s_delay_alu instid0(VALU_DEP_1)
	v_cmpx_ngt_f64_e32 v[9:10], v[11:12]
	s_xor_b32 s11, exec_lo, s11
	s_cbranch_execnz .LBB52_115
; %bb.56:                               ;   in Loop: Header=BB52_12 Depth=3
	s_and_not1_saveexec_b32 s11, s11
	s_cbranch_execnz .LBB52_118
.LBB52_57:                              ;   in Loop: Header=BB52_12 Depth=3
	s_or_b32 exec_lo, exec_lo, s11
	s_delay_alu instid0(VALU_DEP_1) | instskip(NEXT) | instid1(VALU_DEP_1)
	v_cmp_class_f64_e64 s79, v[13:14], 0x1f8
	s_and_saveexec_b32 s11, s79
.LBB52_58:                              ;   in Loop: Header=BB52_12 Depth=3
	v_cmp_lt_f64_e32 vcc_lo, v[3:4], v[13:14]
	v_dual_cndmask_b32 v4, v4, v14 :: v_dual_cndmask_b32 v3, v3, v13
.LBB52_59:                              ;   in Loop: Header=BB52_12 Depth=3
	s_or_b32 exec_lo, exec_lo, s11
.LBB52_60:                              ;   in Loop: Header=BB52_12 Depth=3
	s_delay_alu instid0(SALU_CYCLE_1)
	s_or_b32 exec_lo, exec_lo, s78
.LBB52_61:                              ;   in Loop: Header=BB52_12 Depth=3
	s_delay_alu instid0(SALU_CYCLE_1)
	s_or_b32 exec_lo, exec_lo, s77
.LBB52_62:                              ;   in Loop: Header=BB52_12 Depth=3
	s_delay_alu instid0(SALU_CYCLE_1)
	s_or_b32 exec_lo, exec_lo, s76
                                        ; implicit-def: $vgpr9_vgpr10
.LBB52_63:                              ;   in Loop: Header=BB52_12 Depth=3
	s_and_not1_saveexec_b32 s75, s75
	s_cbranch_execz .LBB52_78
; %bb.64:                               ;   in Loop: Header=BB52_12 Depth=3
	s_mov_b32 s76, exec_lo
	v_cmpx_lt_i32_e64 v17, v48
	s_cbranch_execz .LBB52_77
; %bb.65:                               ;   in Loop: Header=BB52_12 Depth=3
	v_mov_b32_e32 v15, v17
	s_mov_b32 s11, 0
                                        ; implicit-def: $sgpr77
                                        ; implicit-def: $sgpr79
                                        ; implicit-def: $sgpr78
	s_set_inst_prefetch_distance 0x1
	s_branch .LBB52_67
	.p2align	6
.LBB52_66:                              ;   in Loop: Header=BB52_67 Depth=4
	s_or_b32 exec_lo, exec_lo, s80
	s_delay_alu instid0(SALU_CYCLE_1) | instskip(NEXT) | instid1(SALU_CYCLE_1)
	s_and_b32 s80, exec_lo, s79
	s_or_b32 s11, s80, s11
	s_and_not1_b32 s77, s77, exec_lo
	s_and_b32 s80, s78, exec_lo
	s_delay_alu instid0(SALU_CYCLE_1)
	s_or_b32 s77, s77, s80
	s_and_not1_b32 exec_lo, exec_lo, s11
	s_cbranch_execz .LBB52_69
.LBB52_67:                              ;   Parent Loop BB52_3 Depth=1
                                        ;     Parent Loop BB52_7 Depth=2
                                        ;       Parent Loop BB52_12 Depth=3
                                        ; =>      This Inner Loop Header: Depth=4
	s_delay_alu instid0(VALU_DEP_1) | instskip(SKIP_3) | instid1(VALU_DEP_1)
	v_add_nc_u32_e32 v13, v22, v15
	s_or_b32 s78, s78, exec_lo
	s_or_b32 s79, s79, exec_lo
	s_mov_b32 s80, exec_lo
	v_ashrrev_i32_e32 v14, 31, v13
	s_delay_alu instid0(VALU_DEP_1) | instskip(NEXT) | instid1(VALU_DEP_1)
	v_lshlrev_b64 v[32:33], 2, v[13:14]
	v_add_co_u32 v32, vcc_lo, s28, v32
	s_delay_alu instid0(VALU_DEP_2) | instskip(SKIP_3) | instid1(VALU_DEP_1)
	v_add_co_ci_u32_e32 v33, vcc_lo, s29, v33, vcc_lo
	global_load_b32 v16, v[32:33], off
	s_waitcnt vmcnt(0)
	v_subrev_nc_u32_e32 v16, s64, v16
	v_cmpx_ne_u32_e64 v16, v23
	s_cbranch_execz .LBB52_66
; %bb.68:                               ;   in Loop: Header=BB52_67 Depth=4
	v_add_nc_u32_e32 v15, 1, v15
	s_and_not1_b32 s79, s79, exec_lo
	s_and_not1_b32 s78, s78, exec_lo
	s_delay_alu instid0(VALU_DEP_1) | instskip(SKIP_1) | instid1(SALU_CYCLE_1)
	v_cmp_ge_i32_e32 vcc_lo, v15, v48
	s_and_b32 s81, vcc_lo, exec_lo
	s_or_b32 s79, s79, s81
	s_branch .LBB52_66
.LBB52_69:                              ;   in Loop: Header=BB52_12 Depth=3
	s_set_inst_prefetch_distance 0x2
	s_or_b32 exec_lo, exec_lo, s11
	s_and_saveexec_b32 s11, s77
	s_delay_alu instid0(SALU_CYCLE_1)
	s_xor_b32 s77, exec_lo, s11
	s_cbranch_execz .LBB52_76
; %bb.70:                               ;   in Loop: Header=BB52_12 Depth=3
	v_lshlrev_b64 v[13:14], 4, v[13:14]
	s_delay_alu instid0(VALU_DEP_1) | instskip(NEXT) | instid1(VALU_DEP_2)
	v_add_co_u32 v15, vcc_lo, s14, v13
	v_add_co_ci_u32_e32 v16, vcc_lo, s15, v14, vcc_lo
	s_and_not1_b32 vcc_lo, exec_lo, s58
	global_store_b128 v[15:16], v[9:12], off
	s_cbranch_vccnz .LBB52_76
; %bb.71:                               ;   in Loop: Header=BB52_12 Depth=3
	v_add_co_u32 v13, vcc_lo, s30, v13
	v_add_co_ci_u32_e32 v14, vcc_lo, s31, v14, vcc_lo
	global_load_b128 v[13:16], v[13:14], off
	s_waitcnt vmcnt(0)
	v_add_f64 v[9:10], v[13:14], -v[9:10]
	v_add_f64 v[15:16], v[15:16], -v[11:12]
                                        ; implicit-def: $vgpr13_vgpr14
	s_delay_alu instid0(VALU_DEP_2) | instskip(NEXT) | instid1(VALU_DEP_2)
	v_cmp_gt_f64_e32 vcc_lo, 0, v[9:10]
	v_cmp_gt_f64_e64 s11, 0, v[15:16]
	v_xor_b32_e32 v11, 0x80000000, v10
	v_xor_b32_e32 v12, 0x80000000, v16
	s_delay_alu instid0(VALU_DEP_2) | instskip(NEXT) | instid1(VALU_DEP_2)
	v_dual_cndmask_b32 v10, v10, v11 :: v_dual_cndmask_b32 v9, v9, v9
	v_cndmask_b32_e64 v12, v16, v12, s11
	v_cndmask_b32_e64 v11, v15, v15, s11
	s_mov_b32 s11, exec_lo
	s_delay_alu instid0(VALU_DEP_1)
	v_cmpx_ngt_f64_e32 v[9:10], v[11:12]
	s_xor_b32 s11, exec_lo, s11
	s_cbranch_execnz .LBB52_111
; %bb.72:                               ;   in Loop: Header=BB52_12 Depth=3
	s_and_not1_saveexec_b32 s11, s11
	s_cbranch_execnz .LBB52_114
.LBB52_73:                              ;   in Loop: Header=BB52_12 Depth=3
	s_or_b32 exec_lo, exec_lo, s11
	s_delay_alu instid0(VALU_DEP_1) | instskip(NEXT) | instid1(VALU_DEP_1)
	v_cmp_class_f64_e64 s78, v[13:14], 0x1f8
	s_and_saveexec_b32 s11, s78
.LBB52_74:                              ;   in Loop: Header=BB52_12 Depth=3
	v_cmp_lt_f64_e32 vcc_lo, v[3:4], v[13:14]
	v_dual_cndmask_b32 v4, v4, v14 :: v_dual_cndmask_b32 v3, v3, v13
.LBB52_75:                              ;   in Loop: Header=BB52_12 Depth=3
	s_or_b32 exec_lo, exec_lo, s11
.LBB52_76:                              ;   in Loop: Header=BB52_12 Depth=3
	s_delay_alu instid0(SALU_CYCLE_1)
	s_or_b32 exec_lo, exec_lo, s77
.LBB52_77:                              ;   in Loop: Header=BB52_12 Depth=3
	s_delay_alu instid0(SALU_CYCLE_1)
	s_or_b32 exec_lo, exec_lo, s76
.LBB52_78:                              ;   in Loop: Header=BB52_12 Depth=3
	s_delay_alu instid0(SALU_CYCLE_1) | instskip(NEXT) | instid1(SALU_CYCLE_1)
	s_or_b32 exec_lo, exec_lo, s75
	s_or_b32 exec_lo, exec_lo, s74
	s_and_b32 s11, s12, s33
	s_delay_alu instid0(SALU_CYCLE_1)
	s_and_saveexec_b32 s12, s11
	s_cbranch_execz .LBB52_11
.LBB52_79:                              ;   in Loop: Header=BB52_12 Depth=3
	s_mov_b32 s11, exec_lo
	v_cmpx_ge_i32_e64 v31, v53
	s_xor_b32 s11, exec_lo, s11
	s_cbranch_execnz .LBB52_86
; %bb.80:                               ;   in Loop: Header=BB52_12 Depth=3
	s_and_not1_saveexec_b32 s11, s11
	s_cbranch_execnz .LBB52_100
.LBB52_81:                              ;   in Loop: Header=BB52_12 Depth=3
	s_or_b32 exec_lo, exec_lo, s11
	s_delay_alu instid0(SALU_CYCLE_1)
	s_mov_b32 s11, exec_lo
	v_cmpx_eq_u32_e64 v19, v23
	s_cbranch_execz .LBB52_83
.LBB52_82:                              ;   in Loop: Header=BB52_12 Depth=3
	v_lshlrev_b64 v[9:10], 4, v[23:24]
	s_delay_alu instid0(VALU_DEP_1) | instskip(NEXT) | instid1(VALU_DEP_2)
	v_add_co_u32 v9, vcc_lo, s52, v9
	v_add_co_ci_u32_e32 v10, vcc_lo, s53, v10, vcc_lo
	global_load_b128 v[9:12], v[9:10], off
	s_waitcnt vmcnt(0)
	v_add_f64 v[25:26], v[25:26], v[9:10]
	v_add_f64 v[27:28], v[27:28], v[11:12]
.LBB52_83:                              ;   in Loop: Header=BB52_12 Depth=3
	s_or_b32 exec_lo, exec_lo, s11
	s_delay_alu instid0(VALU_DEP_2) | instskip(NEXT) | instid1(VALU_DEP_2)
	v_add_f64 v[5:6], v[5:6], -v[25:26]
	v_add_f64 v[11:12], v[7:8], -v[27:28]
                                        ; implicit-def: $vgpr9_vgpr10
	s_delay_alu instid0(VALU_DEP_2) | instskip(NEXT) | instid1(VALU_DEP_2)
	v_cmp_gt_f64_e32 vcc_lo, 0, v[5:6]
	v_cmp_gt_f64_e64 s11, 0, v[11:12]
	v_xor_b32_e32 v7, 0x80000000, v6
	v_xor_b32_e32 v8, 0x80000000, v12
	s_delay_alu instid0(VALU_DEP_2) | instskip(NEXT) | instid1(VALU_DEP_2)
	v_dual_cndmask_b32 v6, v6, v7 :: v_dual_cndmask_b32 v5, v5, v5
	v_cndmask_b32_e64 v8, v12, v8, s11
	v_cndmask_b32_e64 v7, v11, v11, s11
	s_mov_b32 s11, exec_lo
	s_delay_alu instid0(VALU_DEP_1)
	v_cmpx_ngt_f64_e32 v[5:6], v[7:8]
	s_xor_b32 s11, exec_lo, s11
	s_cbranch_execnz .LBB52_91
; %bb.84:                               ;   in Loop: Header=BB52_12 Depth=3
	s_and_not1_saveexec_b32 s11, s11
	s_cbranch_execnz .LBB52_94
.LBB52_85:                              ;   in Loop: Header=BB52_12 Depth=3
	s_or_b32 exec_lo, exec_lo, s11
	s_delay_alu instid0(VALU_DEP_1) | instskip(NEXT) | instid1(VALU_DEP_1)
	v_cmp_class_f64_e64 s74, v[9:10], 0x1f8
	s_and_saveexec_b32 s11, s74
	s_cbranch_execz .LBB52_10
	s_branch .LBB52_95
.LBB52_86:                              ;   in Loop: Header=BB52_12 Depth=3
	s_mov_b32 s74, exec_lo
	v_cmpx_lt_i32_e64 v17, v48
	s_cbranch_execz .LBB52_99
; %bb.87:                               ;   in Loop: Header=BB52_12 Depth=3
	s_mov_b32 s76, 0
                                        ; implicit-def: $sgpr75
                                        ; implicit-def: $sgpr78
                                        ; implicit-def: $sgpr77
	s_set_inst_prefetch_distance 0x1
	s_branch .LBB52_89
	.p2align	6
.LBB52_88:                              ;   in Loop: Header=BB52_89 Depth=4
	s_or_b32 exec_lo, exec_lo, s79
	s_delay_alu instid0(SALU_CYCLE_1) | instskip(NEXT) | instid1(SALU_CYCLE_1)
	s_and_b32 s79, exec_lo, s78
	s_or_b32 s76, s79, s76
	s_and_not1_b32 s75, s75, exec_lo
	s_and_b32 s79, s77, exec_lo
	s_delay_alu instid0(SALU_CYCLE_1)
	s_or_b32 s75, s75, s79
	s_and_not1_b32 exec_lo, exec_lo, s76
	s_cbranch_execz .LBB52_96
.LBB52_89:                              ;   Parent Loop BB52_3 Depth=1
                                        ;     Parent Loop BB52_7 Depth=2
                                        ;       Parent Loop BB52_12 Depth=3
                                        ; =>      This Inner Loop Header: Depth=4
	v_add_nc_u32_e32 v9, v22, v17
	s_or_b32 s77, s77, exec_lo
	s_or_b32 s78, s78, exec_lo
	s_mov_b32 s79, exec_lo
	s_delay_alu instid0(VALU_DEP_1) | instskip(NEXT) | instid1(VALU_DEP_1)
	v_ashrrev_i32_e32 v10, 31, v9
	v_lshlrev_b64 v[11:12], 2, v[9:10]
	s_delay_alu instid0(VALU_DEP_1) | instskip(NEXT) | instid1(VALU_DEP_2)
	v_add_co_u32 v11, vcc_lo, s28, v11
	v_add_co_ci_u32_e32 v12, vcc_lo, s29, v12, vcc_lo
	global_load_b32 v11, v[11:12], off
	s_waitcnt vmcnt(0)
	v_subrev_nc_u32_e32 v11, s64, v11
	s_delay_alu instid0(VALU_DEP_1)
	v_cmpx_ne_u32_e64 v11, v23
	s_cbranch_execz .LBB52_88
; %bb.90:                               ;   in Loop: Header=BB52_89 Depth=4
	v_add_nc_u32_e32 v17, 1, v17
	s_and_not1_b32 s78, s78, exec_lo
	s_and_not1_b32 s77, s77, exec_lo
	s_delay_alu instid0(VALU_DEP_1) | instskip(SKIP_1) | instid1(SALU_CYCLE_1)
	v_cmp_ge_i32_e32 vcc_lo, v17, v48
	s_and_b32 s80, vcc_lo, exec_lo
	s_or_b32 s78, s78, s80
	s_branch .LBB52_88
.LBB52_91:                              ;   in Loop: Header=BB52_12 Depth=3
	v_mov_b32_e32 v9, 0
	v_mov_b32_e32 v10, 0
	s_mov_b32 s74, exec_lo
	v_cmpx_neq_f64_e32 0, v[11:12]
	s_cbranch_execz .LBB52_93
; %bb.92:                               ;   in Loop: Header=BB52_12 Depth=3
	v_div_scale_f64 v[9:10], null, v[7:8], v[7:8], v[5:6]
	v_div_scale_f64 v[15:16], vcc_lo, v[5:6], v[7:8], v[5:6]
	s_delay_alu instid0(VALU_DEP_2) | instskip(SKIP_2) | instid1(VALU_DEP_1)
	v_rcp_f64_e32 v[11:12], v[9:10]
	s_waitcnt_depctr 0xfff
	v_fma_f64 v[13:14], -v[9:10], v[11:12], 1.0
	v_fma_f64 v[11:12], v[11:12], v[13:14], v[11:12]
	s_delay_alu instid0(VALU_DEP_1) | instskip(NEXT) | instid1(VALU_DEP_1)
	v_fma_f64 v[13:14], -v[9:10], v[11:12], 1.0
	v_fma_f64 v[11:12], v[11:12], v[13:14], v[11:12]
	s_delay_alu instid0(VALU_DEP_1) | instskip(NEXT) | instid1(VALU_DEP_1)
	v_mul_f64 v[13:14], v[15:16], v[11:12]
	v_fma_f64 v[9:10], -v[9:10], v[13:14], v[15:16]
	s_delay_alu instid0(VALU_DEP_1) | instskip(NEXT) | instid1(VALU_DEP_1)
	v_div_fmas_f64 v[9:10], v[9:10], v[11:12], v[13:14]
	v_div_fixup_f64 v[5:6], v[9:10], v[7:8], v[5:6]
	s_delay_alu instid0(VALU_DEP_1) | instskip(NEXT) | instid1(VALU_DEP_1)
	v_fma_f64 v[5:6], v[5:6], v[5:6], 1.0
	v_cmp_gt_f64_e32 vcc_lo, 0x10000000, v[5:6]
	v_cndmask_b32_e64 v9, 0, 1, vcc_lo
	s_delay_alu instid0(VALU_DEP_1) | instskip(NEXT) | instid1(VALU_DEP_1)
	v_lshlrev_b32_e32 v9, 8, v9
	v_ldexp_f64 v[5:6], v[5:6], v9
	s_delay_alu instid0(VALU_DEP_1) | instskip(SKIP_3) | instid1(VALU_DEP_1)
	v_rsq_f64_e32 v[9:10], v[5:6]
	s_waitcnt_depctr 0xfff
	v_mul_f64 v[11:12], v[5:6], v[9:10]
	v_mul_f64 v[9:10], v[9:10], 0.5
	v_fma_f64 v[13:14], -v[9:10], v[11:12], 0.5
	s_delay_alu instid0(VALU_DEP_1) | instskip(SKIP_1) | instid1(VALU_DEP_2)
	v_fma_f64 v[11:12], v[11:12], v[13:14], v[11:12]
	v_fma_f64 v[9:10], v[9:10], v[13:14], v[9:10]
	v_fma_f64 v[13:14], -v[11:12], v[11:12], v[5:6]
	s_delay_alu instid0(VALU_DEP_1) | instskip(NEXT) | instid1(VALU_DEP_1)
	v_fma_f64 v[11:12], v[13:14], v[9:10], v[11:12]
	v_fma_f64 v[13:14], -v[11:12], v[11:12], v[5:6]
	s_delay_alu instid0(VALU_DEP_1) | instskip(SKIP_2) | instid1(VALU_DEP_2)
	v_fma_f64 v[9:10], v[13:14], v[9:10], v[11:12]
	v_cndmask_b32_e64 v11, 0, 0xffffff80, vcc_lo
	v_cmp_class_f64_e64 vcc_lo, v[5:6], 0x260
	v_ldexp_f64 v[9:10], v[9:10], v11
	s_delay_alu instid0(VALU_DEP_1) | instskip(NEXT) | instid1(VALU_DEP_1)
	v_dual_cndmask_b32 v6, v10, v6 :: v_dual_cndmask_b32 v5, v9, v5
	v_mul_f64 v[9:10], v[7:8], v[5:6]
.LBB52_93:                              ;   in Loop: Header=BB52_12 Depth=3
	s_or_b32 exec_lo, exec_lo, s74
                                        ; implicit-def: $vgpr5_vgpr6
                                        ; implicit-def: $vgpr7_vgpr8
	s_and_not1_saveexec_b32 s11, s11
	s_cbranch_execz .LBB52_85
.LBB52_94:                              ;   in Loop: Header=BB52_12 Depth=3
	v_div_scale_f64 v[9:10], null, v[5:6], v[5:6], v[7:8]
	v_div_scale_f64 v[15:16], vcc_lo, v[7:8], v[5:6], v[7:8]
	s_delay_alu instid0(VALU_DEP_2) | instskip(SKIP_2) | instid1(VALU_DEP_1)
	v_rcp_f64_e32 v[11:12], v[9:10]
	s_waitcnt_depctr 0xfff
	v_fma_f64 v[13:14], -v[9:10], v[11:12], 1.0
	v_fma_f64 v[11:12], v[11:12], v[13:14], v[11:12]
	s_delay_alu instid0(VALU_DEP_1) | instskip(NEXT) | instid1(VALU_DEP_1)
	v_fma_f64 v[13:14], -v[9:10], v[11:12], 1.0
	v_fma_f64 v[11:12], v[11:12], v[13:14], v[11:12]
	s_delay_alu instid0(VALU_DEP_1) | instskip(NEXT) | instid1(VALU_DEP_1)
	v_mul_f64 v[13:14], v[15:16], v[11:12]
	v_fma_f64 v[9:10], -v[9:10], v[13:14], v[15:16]
	s_delay_alu instid0(VALU_DEP_1) | instskip(NEXT) | instid1(VALU_DEP_1)
	v_div_fmas_f64 v[9:10], v[9:10], v[11:12], v[13:14]
	v_div_fixup_f64 v[7:8], v[9:10], v[5:6], v[7:8]
	s_delay_alu instid0(VALU_DEP_1) | instskip(NEXT) | instid1(VALU_DEP_1)
	v_fma_f64 v[7:8], v[7:8], v[7:8], 1.0
	v_cmp_gt_f64_e32 vcc_lo, 0x10000000, v[7:8]
	v_cndmask_b32_e64 v9, 0, 1, vcc_lo
	s_delay_alu instid0(VALU_DEP_1) | instskip(NEXT) | instid1(VALU_DEP_1)
	v_lshlrev_b32_e32 v9, 8, v9
	v_ldexp_f64 v[7:8], v[7:8], v9
	s_delay_alu instid0(VALU_DEP_1) | instskip(SKIP_3) | instid1(VALU_DEP_1)
	v_rsq_f64_e32 v[9:10], v[7:8]
	s_waitcnt_depctr 0xfff
	v_mul_f64 v[11:12], v[7:8], v[9:10]
	v_mul_f64 v[9:10], v[9:10], 0.5
	v_fma_f64 v[13:14], -v[9:10], v[11:12], 0.5
	s_delay_alu instid0(VALU_DEP_1) | instskip(SKIP_1) | instid1(VALU_DEP_2)
	v_fma_f64 v[11:12], v[11:12], v[13:14], v[11:12]
	v_fma_f64 v[9:10], v[9:10], v[13:14], v[9:10]
	v_fma_f64 v[13:14], -v[11:12], v[11:12], v[7:8]
	s_delay_alu instid0(VALU_DEP_1) | instskip(NEXT) | instid1(VALU_DEP_1)
	v_fma_f64 v[11:12], v[13:14], v[9:10], v[11:12]
	v_fma_f64 v[13:14], -v[11:12], v[11:12], v[7:8]
	s_delay_alu instid0(VALU_DEP_1) | instskip(SKIP_2) | instid1(VALU_DEP_2)
	v_fma_f64 v[9:10], v[13:14], v[9:10], v[11:12]
	v_cndmask_b32_e64 v11, 0, 0xffffff80, vcc_lo
	v_cmp_class_f64_e64 vcc_lo, v[7:8], 0x260
	v_ldexp_f64 v[9:10], v[9:10], v11
	s_delay_alu instid0(VALU_DEP_1) | instskip(NEXT) | instid1(VALU_DEP_1)
	v_dual_cndmask_b32 v8, v10, v8 :: v_dual_cndmask_b32 v7, v9, v7
	v_mul_f64 v[9:10], v[5:6], v[7:8]
	s_or_b32 exec_lo, exec_lo, s11
	s_delay_alu instid0(VALU_DEP_1) | instskip(NEXT) | instid1(VALU_DEP_1)
	v_cmp_class_f64_e64 s74, v[9:10], 0x1f8
	s_and_saveexec_b32 s11, s74
	s_cbranch_execz .LBB52_10
.LBB52_95:                              ;   in Loop: Header=BB52_12 Depth=3
	v_cmp_lt_f64_e32 vcc_lo, v[1:2], v[9:10]
	v_dual_cndmask_b32 v2, v2, v10 :: v_dual_cndmask_b32 v1, v1, v9
	s_branch .LBB52_10
.LBB52_96:                              ;   in Loop: Header=BB52_12 Depth=3
	s_set_inst_prefetch_distance 0x2
	s_or_b32 exec_lo, exec_lo, s76
	s_and_saveexec_b32 s76, s75
	s_delay_alu instid0(SALU_CYCLE_1)
	s_xor_b32 s75, exec_lo, s76
	s_cbranch_execz .LBB52_98
; %bb.97:                               ;   in Loop: Header=BB52_12 Depth=3
	v_lshlrev_b64 v[11:12], 4, v[23:24]
	v_lshlrev_b64 v[9:10], 4, v[9:10]
	s_delay_alu instid0(VALU_DEP_2) | instskip(NEXT) | instid1(VALU_DEP_3)
	v_add_co_u32 v11, vcc_lo, s52, v11
	v_add_co_ci_u32_e32 v12, vcc_lo, s53, v12, vcc_lo
	s_delay_alu instid0(VALU_DEP_3) | instskip(NEXT) | instid1(VALU_DEP_4)
	v_add_co_u32 v13, vcc_lo, s30, v9
	v_add_co_ci_u32_e32 v14, vcc_lo, s31, v10, vcc_lo
	global_load_b128 v[9:12], v[11:12], off
	global_load_b128 v[13:16], v[13:14], off
	s_waitcnt vmcnt(0)
	v_mul_f64 v[29:30], v[11:12], -v[15:16]
	v_mul_f64 v[11:12], v[11:12], v[13:14]
	s_delay_alu instid0(VALU_DEP_2) | instskip(NEXT) | instid1(VALU_DEP_2)
	v_fma_f64 v[13:14], v[13:14], v[9:10], v[29:30]
	v_fma_f64 v[9:10], v[15:16], v[9:10], v[11:12]
	s_delay_alu instid0(VALU_DEP_2) | instskip(NEXT) | instid1(VALU_DEP_2)
	v_add_f64 v[25:26], v[25:26], v[13:14]
	v_add_f64 v[27:28], v[27:28], v[9:10]
.LBB52_98:                              ;   in Loop: Header=BB52_12 Depth=3
	s_or_b32 exec_lo, exec_lo, s75
.LBB52_99:                              ;   in Loop: Header=BB52_12 Depth=3
	s_delay_alu instid0(SALU_CYCLE_1)
	s_or_b32 exec_lo, exec_lo, s74
                                        ; implicit-def: $vgpr31
                                        ; implicit-def: $vgpr29
                                        ; implicit-def: $vgpr53
	s_and_not1_saveexec_b32 s11, s11
	s_cbranch_execz .LBB52_81
.LBB52_100:                             ;   in Loop: Header=BB52_12 Depth=3
	s_mov_b32 s75, 0
                                        ; implicit-def: $sgpr74
                                        ; implicit-def: $sgpr77
                                        ; implicit-def: $sgpr76
	s_set_inst_prefetch_distance 0x1
	s_branch .LBB52_102
	.p2align	6
.LBB52_101:                             ;   in Loop: Header=BB52_102 Depth=4
	s_or_b32 exec_lo, exec_lo, s78
	s_delay_alu instid0(SALU_CYCLE_1) | instskip(NEXT) | instid1(SALU_CYCLE_1)
	s_and_b32 s78, exec_lo, s77
	s_or_b32 s75, s78, s75
	s_and_not1_b32 s74, s74, exec_lo
	s_and_b32 s78, s76, exec_lo
	s_delay_alu instid0(SALU_CYCLE_1)
	s_or_b32 s74, s74, s78
	s_and_not1_b32 exec_lo, exec_lo, s75
	s_cbranch_execz .LBB52_104
.LBB52_102:                             ;   Parent Loop BB52_3 Depth=1
                                        ;     Parent Loop BB52_7 Depth=2
                                        ;       Parent Loop BB52_12 Depth=3
                                        ; =>      This Inner Loop Header: Depth=4
	v_add_nc_u32_e32 v9, v29, v31
	s_or_b32 s76, s76, exec_lo
	s_or_b32 s77, s77, exec_lo
	s_mov_b32 s78, exec_lo
	s_delay_alu instid0(VALU_DEP_1) | instskip(NEXT) | instid1(VALU_DEP_1)
	v_ashrrev_i32_e32 v10, 31, v9
	v_lshlrev_b64 v[11:12], 2, v[9:10]
	s_delay_alu instid0(VALU_DEP_1) | instskip(NEXT) | instid1(VALU_DEP_2)
	v_add_co_u32 v11, vcc_lo, s20, v11
	v_add_co_ci_u32_e32 v12, vcc_lo, s21, v12, vcc_lo
	global_load_b32 v11, v[11:12], off
	s_waitcnt vmcnt(0)
	v_subrev_nc_u32_e32 v11, s65, v11
	s_delay_alu instid0(VALU_DEP_1)
	v_cmpx_ne_u32_e64 v11, v19
	s_cbranch_execz .LBB52_101
; %bb.103:                              ;   in Loop: Header=BB52_102 Depth=4
	v_add_nc_u32_e32 v31, 1, v31
	s_and_not1_b32 s77, s77, exec_lo
	s_and_not1_b32 s76, s76, exec_lo
	s_delay_alu instid0(VALU_DEP_1) | instskip(SKIP_1) | instid1(SALU_CYCLE_1)
	v_cmp_ge_i32_e32 vcc_lo, v31, v53
	s_and_b32 s79, vcc_lo, exec_lo
	s_or_b32 s77, s77, s79
	s_branch .LBB52_101
.LBB52_104:                             ;   in Loop: Header=BB52_12 Depth=3
	s_set_inst_prefetch_distance 0x2
	s_or_b32 exec_lo, exec_lo, s75
	s_and_saveexec_b32 s75, s74
	s_delay_alu instid0(SALU_CYCLE_1)
	s_xor_b32 s74, exec_lo, s75
	s_cbranch_execz .LBB52_106
; %bb.105:                              ;   in Loop: Header=BB52_12 Depth=3
	v_lshlrev_b64 v[9:10], 4, v[9:10]
	s_delay_alu instid0(VALU_DEP_1) | instskip(NEXT) | instid1(VALU_DEP_2)
	v_add_co_u32 v9, vcc_lo, s22, v9
	v_add_co_ci_u32_e32 v10, vcc_lo, s23, v10, vcc_lo
	global_load_b128 v[9:12], v[9:10], off
	s_waitcnt vmcnt(0)
	v_add_f64 v[25:26], v[25:26], v[9:10]
	v_add_f64 v[27:28], v[27:28], v[11:12]
.LBB52_106:                             ;   in Loop: Header=BB52_12 Depth=3
	s_or_b32 exec_lo, exec_lo, s74
	s_delay_alu instid0(SALU_CYCLE_1) | instskip(NEXT) | instid1(SALU_CYCLE_1)
	s_or_b32 exec_lo, exec_lo, s11
	s_mov_b32 s11, exec_lo
	v_cmpx_eq_u32_e64 v19, v23
	s_cbranch_execnz .LBB52_82
	s_branch .LBB52_83
.LBB52_107:                             ;   in Loop: Header=BB52_12 Depth=3
	v_mov_b32_e32 v13, 0
	v_mov_b32_e32 v14, 0
	s_mov_b32 s77, exec_lo
	v_cmpx_neq_f64_e32 0, v[15:16]
	s_cbranch_execz .LBB52_109
; %bb.108:                              ;   in Loop: Header=BB52_12 Depth=3
	v_div_scale_f64 v[13:14], null, v[11:12], v[11:12], v[9:10]
	v_div_scale_f64 v[34:35], vcc_lo, v[9:10], v[11:12], v[9:10]
	s_delay_alu instid0(VALU_DEP_2) | instskip(SKIP_2) | instid1(VALU_DEP_1)
	v_rcp_f64_e32 v[15:16], v[13:14]
	s_waitcnt_depctr 0xfff
	v_fma_f64 v[32:33], -v[13:14], v[15:16], 1.0
	v_fma_f64 v[15:16], v[15:16], v[32:33], v[15:16]
	s_delay_alu instid0(VALU_DEP_1) | instskip(NEXT) | instid1(VALU_DEP_1)
	v_fma_f64 v[32:33], -v[13:14], v[15:16], 1.0
	v_fma_f64 v[15:16], v[15:16], v[32:33], v[15:16]
	s_delay_alu instid0(VALU_DEP_1) | instskip(NEXT) | instid1(VALU_DEP_1)
	v_mul_f64 v[32:33], v[34:35], v[15:16]
	v_fma_f64 v[13:14], -v[13:14], v[32:33], v[34:35]
	s_delay_alu instid0(VALU_DEP_1) | instskip(NEXT) | instid1(VALU_DEP_1)
	v_div_fmas_f64 v[13:14], v[13:14], v[15:16], v[32:33]
	v_div_fixup_f64 v[9:10], v[13:14], v[11:12], v[9:10]
	s_delay_alu instid0(VALU_DEP_1) | instskip(NEXT) | instid1(VALU_DEP_1)
	v_fma_f64 v[9:10], v[9:10], v[9:10], 1.0
	v_cmp_gt_f64_e32 vcc_lo, 0x10000000, v[9:10]
	v_cndmask_b32_e64 v13, 0, 1, vcc_lo
	s_delay_alu instid0(VALU_DEP_1) | instskip(NEXT) | instid1(VALU_DEP_1)
	v_lshlrev_b32_e32 v13, 8, v13
	v_ldexp_f64 v[9:10], v[9:10], v13
	s_delay_alu instid0(VALU_DEP_1) | instskip(SKIP_3) | instid1(VALU_DEP_1)
	v_rsq_f64_e32 v[13:14], v[9:10]
	s_waitcnt_depctr 0xfff
	v_mul_f64 v[15:16], v[9:10], v[13:14]
	v_mul_f64 v[13:14], v[13:14], 0.5
	v_fma_f64 v[32:33], -v[13:14], v[15:16], 0.5
	s_delay_alu instid0(VALU_DEP_1) | instskip(SKIP_1) | instid1(VALU_DEP_2)
	v_fma_f64 v[15:16], v[15:16], v[32:33], v[15:16]
	v_fma_f64 v[13:14], v[13:14], v[32:33], v[13:14]
	v_fma_f64 v[32:33], -v[15:16], v[15:16], v[9:10]
	s_delay_alu instid0(VALU_DEP_1) | instskip(NEXT) | instid1(VALU_DEP_1)
	v_fma_f64 v[15:16], v[32:33], v[13:14], v[15:16]
	v_fma_f64 v[32:33], -v[15:16], v[15:16], v[9:10]
	s_delay_alu instid0(VALU_DEP_1) | instskip(SKIP_2) | instid1(VALU_DEP_2)
	v_fma_f64 v[13:14], v[32:33], v[13:14], v[15:16]
	v_cndmask_b32_e64 v15, 0, 0xffffff80, vcc_lo
	v_cmp_class_f64_e64 vcc_lo, v[9:10], 0x260
	v_ldexp_f64 v[13:14], v[13:14], v15
	s_delay_alu instid0(VALU_DEP_1) | instskip(NEXT) | instid1(VALU_DEP_1)
	v_dual_cndmask_b32 v10, v14, v10 :: v_dual_cndmask_b32 v9, v13, v9
	v_mul_f64 v[13:14], v[11:12], v[9:10]
.LBB52_109:                             ;   in Loop: Header=BB52_12 Depth=3
	s_or_b32 exec_lo, exec_lo, s77
                                        ; implicit-def: $vgpr9_vgpr10
                                        ; implicit-def: $vgpr11_vgpr12
	s_and_not1_saveexec_b32 s11, s11
	s_cbranch_execz .LBB52_43
.LBB52_110:                             ;   in Loop: Header=BB52_12 Depth=3
	v_div_scale_f64 v[13:14], null, v[9:10], v[9:10], v[11:12]
	v_div_scale_f64 v[34:35], vcc_lo, v[11:12], v[9:10], v[11:12]
	s_delay_alu instid0(VALU_DEP_2) | instskip(SKIP_2) | instid1(VALU_DEP_1)
	v_rcp_f64_e32 v[15:16], v[13:14]
	s_waitcnt_depctr 0xfff
	v_fma_f64 v[32:33], -v[13:14], v[15:16], 1.0
	v_fma_f64 v[15:16], v[15:16], v[32:33], v[15:16]
	s_delay_alu instid0(VALU_DEP_1) | instskip(NEXT) | instid1(VALU_DEP_1)
	v_fma_f64 v[32:33], -v[13:14], v[15:16], 1.0
	v_fma_f64 v[15:16], v[15:16], v[32:33], v[15:16]
	s_delay_alu instid0(VALU_DEP_1) | instskip(NEXT) | instid1(VALU_DEP_1)
	v_mul_f64 v[32:33], v[34:35], v[15:16]
	v_fma_f64 v[13:14], -v[13:14], v[32:33], v[34:35]
	s_delay_alu instid0(VALU_DEP_1) | instskip(NEXT) | instid1(VALU_DEP_1)
	v_div_fmas_f64 v[13:14], v[13:14], v[15:16], v[32:33]
	v_div_fixup_f64 v[11:12], v[13:14], v[9:10], v[11:12]
	s_delay_alu instid0(VALU_DEP_1) | instskip(NEXT) | instid1(VALU_DEP_1)
	v_fma_f64 v[11:12], v[11:12], v[11:12], 1.0
	v_cmp_gt_f64_e32 vcc_lo, 0x10000000, v[11:12]
	v_cndmask_b32_e64 v13, 0, 1, vcc_lo
	s_delay_alu instid0(VALU_DEP_1) | instskip(NEXT) | instid1(VALU_DEP_1)
	v_lshlrev_b32_e32 v13, 8, v13
	v_ldexp_f64 v[11:12], v[11:12], v13
	s_delay_alu instid0(VALU_DEP_1) | instskip(SKIP_3) | instid1(VALU_DEP_1)
	v_rsq_f64_e32 v[13:14], v[11:12]
	s_waitcnt_depctr 0xfff
	v_mul_f64 v[15:16], v[11:12], v[13:14]
	v_mul_f64 v[13:14], v[13:14], 0.5
	v_fma_f64 v[32:33], -v[13:14], v[15:16], 0.5
	s_delay_alu instid0(VALU_DEP_1) | instskip(SKIP_1) | instid1(VALU_DEP_2)
	v_fma_f64 v[15:16], v[15:16], v[32:33], v[15:16]
	v_fma_f64 v[13:14], v[13:14], v[32:33], v[13:14]
	v_fma_f64 v[32:33], -v[15:16], v[15:16], v[11:12]
	s_delay_alu instid0(VALU_DEP_1) | instskip(NEXT) | instid1(VALU_DEP_1)
	v_fma_f64 v[15:16], v[32:33], v[13:14], v[15:16]
	v_fma_f64 v[32:33], -v[15:16], v[15:16], v[11:12]
	s_delay_alu instid0(VALU_DEP_1) | instskip(SKIP_2) | instid1(VALU_DEP_2)
	v_fma_f64 v[13:14], v[32:33], v[13:14], v[15:16]
	v_cndmask_b32_e64 v15, 0, 0xffffff80, vcc_lo
	v_cmp_class_f64_e64 vcc_lo, v[11:12], 0x260
	v_ldexp_f64 v[13:14], v[13:14], v15
	s_delay_alu instid0(VALU_DEP_1) | instskip(NEXT) | instid1(VALU_DEP_1)
	v_dual_cndmask_b32 v12, v14, v12 :: v_dual_cndmask_b32 v11, v13, v11
	v_mul_f64 v[13:14], v[9:10], v[11:12]
	s_or_b32 exec_lo, exec_lo, s11
	s_delay_alu instid0(VALU_DEP_1) | instskip(NEXT) | instid1(VALU_DEP_1)
	v_cmp_class_f64_e64 s77, v[13:14], 0x1f8
	s_and_saveexec_b32 s11, s77
	s_cbranch_execnz .LBB52_44
	s_branch .LBB52_45
.LBB52_111:                             ;   in Loop: Header=BB52_12 Depth=3
	v_mov_b32_e32 v13, 0
	v_mov_b32_e32 v14, 0
	s_mov_b32 s78, exec_lo
	v_cmpx_neq_f64_e32 0, v[15:16]
	s_cbranch_execz .LBB52_113
; %bb.112:                              ;   in Loop: Header=BB52_12 Depth=3
	v_div_scale_f64 v[13:14], null, v[11:12], v[11:12], v[9:10]
	v_div_scale_f64 v[34:35], vcc_lo, v[9:10], v[11:12], v[9:10]
	s_delay_alu instid0(VALU_DEP_2) | instskip(SKIP_2) | instid1(VALU_DEP_1)
	v_rcp_f64_e32 v[15:16], v[13:14]
	s_waitcnt_depctr 0xfff
	v_fma_f64 v[32:33], -v[13:14], v[15:16], 1.0
	v_fma_f64 v[15:16], v[15:16], v[32:33], v[15:16]
	s_delay_alu instid0(VALU_DEP_1) | instskip(NEXT) | instid1(VALU_DEP_1)
	v_fma_f64 v[32:33], -v[13:14], v[15:16], 1.0
	v_fma_f64 v[15:16], v[15:16], v[32:33], v[15:16]
	s_delay_alu instid0(VALU_DEP_1) | instskip(NEXT) | instid1(VALU_DEP_1)
	v_mul_f64 v[32:33], v[34:35], v[15:16]
	v_fma_f64 v[13:14], -v[13:14], v[32:33], v[34:35]
	s_delay_alu instid0(VALU_DEP_1) | instskip(NEXT) | instid1(VALU_DEP_1)
	v_div_fmas_f64 v[13:14], v[13:14], v[15:16], v[32:33]
	v_div_fixup_f64 v[9:10], v[13:14], v[11:12], v[9:10]
	s_delay_alu instid0(VALU_DEP_1) | instskip(NEXT) | instid1(VALU_DEP_1)
	v_fma_f64 v[9:10], v[9:10], v[9:10], 1.0
	v_cmp_gt_f64_e32 vcc_lo, 0x10000000, v[9:10]
	v_cndmask_b32_e64 v13, 0, 1, vcc_lo
	s_delay_alu instid0(VALU_DEP_1) | instskip(NEXT) | instid1(VALU_DEP_1)
	v_lshlrev_b32_e32 v13, 8, v13
	v_ldexp_f64 v[9:10], v[9:10], v13
	s_delay_alu instid0(VALU_DEP_1) | instskip(SKIP_3) | instid1(VALU_DEP_1)
	v_rsq_f64_e32 v[13:14], v[9:10]
	s_waitcnt_depctr 0xfff
	v_mul_f64 v[15:16], v[9:10], v[13:14]
	v_mul_f64 v[13:14], v[13:14], 0.5
	v_fma_f64 v[32:33], -v[13:14], v[15:16], 0.5
	s_delay_alu instid0(VALU_DEP_1) | instskip(SKIP_1) | instid1(VALU_DEP_2)
	v_fma_f64 v[15:16], v[15:16], v[32:33], v[15:16]
	v_fma_f64 v[13:14], v[13:14], v[32:33], v[13:14]
	v_fma_f64 v[32:33], -v[15:16], v[15:16], v[9:10]
	s_delay_alu instid0(VALU_DEP_1) | instskip(NEXT) | instid1(VALU_DEP_1)
	v_fma_f64 v[15:16], v[32:33], v[13:14], v[15:16]
	v_fma_f64 v[32:33], -v[15:16], v[15:16], v[9:10]
	s_delay_alu instid0(VALU_DEP_1) | instskip(SKIP_2) | instid1(VALU_DEP_2)
	v_fma_f64 v[13:14], v[32:33], v[13:14], v[15:16]
	v_cndmask_b32_e64 v15, 0, 0xffffff80, vcc_lo
	v_cmp_class_f64_e64 vcc_lo, v[9:10], 0x260
	v_ldexp_f64 v[13:14], v[13:14], v15
	s_delay_alu instid0(VALU_DEP_1) | instskip(NEXT) | instid1(VALU_DEP_1)
	v_dual_cndmask_b32 v10, v14, v10 :: v_dual_cndmask_b32 v9, v13, v9
	v_mul_f64 v[13:14], v[11:12], v[9:10]
.LBB52_113:                             ;   in Loop: Header=BB52_12 Depth=3
	s_or_b32 exec_lo, exec_lo, s78
                                        ; implicit-def: $vgpr9_vgpr10
                                        ; implicit-def: $vgpr11_vgpr12
	s_and_not1_saveexec_b32 s11, s11
	s_cbranch_execz .LBB52_73
.LBB52_114:                             ;   in Loop: Header=BB52_12 Depth=3
	v_div_scale_f64 v[13:14], null, v[9:10], v[9:10], v[11:12]
	v_div_scale_f64 v[34:35], vcc_lo, v[11:12], v[9:10], v[11:12]
	s_delay_alu instid0(VALU_DEP_2) | instskip(SKIP_2) | instid1(VALU_DEP_1)
	v_rcp_f64_e32 v[15:16], v[13:14]
	s_waitcnt_depctr 0xfff
	v_fma_f64 v[32:33], -v[13:14], v[15:16], 1.0
	v_fma_f64 v[15:16], v[15:16], v[32:33], v[15:16]
	s_delay_alu instid0(VALU_DEP_1) | instskip(NEXT) | instid1(VALU_DEP_1)
	v_fma_f64 v[32:33], -v[13:14], v[15:16], 1.0
	v_fma_f64 v[15:16], v[15:16], v[32:33], v[15:16]
	s_delay_alu instid0(VALU_DEP_1) | instskip(NEXT) | instid1(VALU_DEP_1)
	v_mul_f64 v[32:33], v[34:35], v[15:16]
	v_fma_f64 v[13:14], -v[13:14], v[32:33], v[34:35]
	s_delay_alu instid0(VALU_DEP_1) | instskip(NEXT) | instid1(VALU_DEP_1)
	v_div_fmas_f64 v[13:14], v[13:14], v[15:16], v[32:33]
	v_div_fixup_f64 v[11:12], v[13:14], v[9:10], v[11:12]
	s_delay_alu instid0(VALU_DEP_1) | instskip(NEXT) | instid1(VALU_DEP_1)
	v_fma_f64 v[11:12], v[11:12], v[11:12], 1.0
	v_cmp_gt_f64_e32 vcc_lo, 0x10000000, v[11:12]
	v_cndmask_b32_e64 v13, 0, 1, vcc_lo
	s_delay_alu instid0(VALU_DEP_1) | instskip(NEXT) | instid1(VALU_DEP_1)
	v_lshlrev_b32_e32 v13, 8, v13
	v_ldexp_f64 v[11:12], v[11:12], v13
	s_delay_alu instid0(VALU_DEP_1) | instskip(SKIP_3) | instid1(VALU_DEP_1)
	v_rsq_f64_e32 v[13:14], v[11:12]
	s_waitcnt_depctr 0xfff
	v_mul_f64 v[15:16], v[11:12], v[13:14]
	v_mul_f64 v[13:14], v[13:14], 0.5
	v_fma_f64 v[32:33], -v[13:14], v[15:16], 0.5
	s_delay_alu instid0(VALU_DEP_1) | instskip(SKIP_1) | instid1(VALU_DEP_2)
	v_fma_f64 v[15:16], v[15:16], v[32:33], v[15:16]
	v_fma_f64 v[13:14], v[13:14], v[32:33], v[13:14]
	v_fma_f64 v[32:33], -v[15:16], v[15:16], v[11:12]
	s_delay_alu instid0(VALU_DEP_1) | instskip(NEXT) | instid1(VALU_DEP_1)
	v_fma_f64 v[15:16], v[32:33], v[13:14], v[15:16]
	v_fma_f64 v[32:33], -v[15:16], v[15:16], v[11:12]
	s_delay_alu instid0(VALU_DEP_1) | instskip(SKIP_2) | instid1(VALU_DEP_2)
	v_fma_f64 v[13:14], v[32:33], v[13:14], v[15:16]
	v_cndmask_b32_e64 v15, 0, 0xffffff80, vcc_lo
	v_cmp_class_f64_e64 vcc_lo, v[11:12], 0x260
	v_ldexp_f64 v[13:14], v[13:14], v15
	s_delay_alu instid0(VALU_DEP_1) | instskip(NEXT) | instid1(VALU_DEP_1)
	v_dual_cndmask_b32 v12, v14, v12 :: v_dual_cndmask_b32 v11, v13, v11
	v_mul_f64 v[13:14], v[9:10], v[11:12]
	s_or_b32 exec_lo, exec_lo, s11
	s_delay_alu instid0(VALU_DEP_1) | instskip(NEXT) | instid1(VALU_DEP_1)
	v_cmp_class_f64_e64 s78, v[13:14], 0x1f8
	s_and_saveexec_b32 s11, s78
	s_cbranch_execnz .LBB52_74
	s_branch .LBB52_75
.LBB52_115:                             ;   in Loop: Header=BB52_12 Depth=3
	v_mov_b32_e32 v13, 0
	v_mov_b32_e32 v14, 0
	s_mov_b32 s79, exec_lo
	v_cmpx_neq_f64_e32 0, v[15:16]
	s_cbranch_execz .LBB52_117
; %bb.116:                              ;   in Loop: Header=BB52_12 Depth=3
	v_div_scale_f64 v[13:14], null, v[11:12], v[11:12], v[9:10]
	v_div_scale_f64 v[34:35], vcc_lo, v[9:10], v[11:12], v[9:10]
	s_delay_alu instid0(VALU_DEP_2) | instskip(SKIP_2) | instid1(VALU_DEP_1)
	v_rcp_f64_e32 v[15:16], v[13:14]
	s_waitcnt_depctr 0xfff
	v_fma_f64 v[32:33], -v[13:14], v[15:16], 1.0
	v_fma_f64 v[15:16], v[15:16], v[32:33], v[15:16]
	s_delay_alu instid0(VALU_DEP_1) | instskip(NEXT) | instid1(VALU_DEP_1)
	v_fma_f64 v[32:33], -v[13:14], v[15:16], 1.0
	v_fma_f64 v[15:16], v[15:16], v[32:33], v[15:16]
	s_delay_alu instid0(VALU_DEP_1) | instskip(NEXT) | instid1(VALU_DEP_1)
	v_mul_f64 v[32:33], v[34:35], v[15:16]
	v_fma_f64 v[13:14], -v[13:14], v[32:33], v[34:35]
	s_delay_alu instid0(VALU_DEP_1) | instskip(NEXT) | instid1(VALU_DEP_1)
	v_div_fmas_f64 v[13:14], v[13:14], v[15:16], v[32:33]
	v_div_fixup_f64 v[9:10], v[13:14], v[11:12], v[9:10]
	s_delay_alu instid0(VALU_DEP_1) | instskip(NEXT) | instid1(VALU_DEP_1)
	v_fma_f64 v[9:10], v[9:10], v[9:10], 1.0
	v_cmp_gt_f64_e32 vcc_lo, 0x10000000, v[9:10]
	v_cndmask_b32_e64 v13, 0, 1, vcc_lo
	s_delay_alu instid0(VALU_DEP_1) | instskip(NEXT) | instid1(VALU_DEP_1)
	v_lshlrev_b32_e32 v13, 8, v13
	v_ldexp_f64 v[9:10], v[9:10], v13
	s_delay_alu instid0(VALU_DEP_1) | instskip(SKIP_3) | instid1(VALU_DEP_1)
	v_rsq_f64_e32 v[13:14], v[9:10]
	s_waitcnt_depctr 0xfff
	v_mul_f64 v[15:16], v[9:10], v[13:14]
	v_mul_f64 v[13:14], v[13:14], 0.5
	v_fma_f64 v[32:33], -v[13:14], v[15:16], 0.5
	s_delay_alu instid0(VALU_DEP_1) | instskip(SKIP_1) | instid1(VALU_DEP_2)
	v_fma_f64 v[15:16], v[15:16], v[32:33], v[15:16]
	v_fma_f64 v[13:14], v[13:14], v[32:33], v[13:14]
	v_fma_f64 v[32:33], -v[15:16], v[15:16], v[9:10]
	s_delay_alu instid0(VALU_DEP_1) | instskip(NEXT) | instid1(VALU_DEP_1)
	v_fma_f64 v[15:16], v[32:33], v[13:14], v[15:16]
	v_fma_f64 v[32:33], -v[15:16], v[15:16], v[9:10]
	s_delay_alu instid0(VALU_DEP_1) | instskip(SKIP_2) | instid1(VALU_DEP_2)
	v_fma_f64 v[13:14], v[32:33], v[13:14], v[15:16]
	v_cndmask_b32_e64 v15, 0, 0xffffff80, vcc_lo
	v_cmp_class_f64_e64 vcc_lo, v[9:10], 0x260
	v_ldexp_f64 v[13:14], v[13:14], v15
	s_delay_alu instid0(VALU_DEP_1) | instskip(NEXT) | instid1(VALU_DEP_1)
	v_dual_cndmask_b32 v10, v14, v10 :: v_dual_cndmask_b32 v9, v13, v9
	v_mul_f64 v[13:14], v[11:12], v[9:10]
.LBB52_117:                             ;   in Loop: Header=BB52_12 Depth=3
	s_or_b32 exec_lo, exec_lo, s79
                                        ; implicit-def: $vgpr9_vgpr10
                                        ; implicit-def: $vgpr11_vgpr12
	s_and_not1_saveexec_b32 s11, s11
	s_cbranch_execz .LBB52_57
.LBB52_118:                             ;   in Loop: Header=BB52_12 Depth=3
	v_div_scale_f64 v[13:14], null, v[9:10], v[9:10], v[11:12]
	v_div_scale_f64 v[34:35], vcc_lo, v[11:12], v[9:10], v[11:12]
	s_delay_alu instid0(VALU_DEP_2) | instskip(SKIP_2) | instid1(VALU_DEP_1)
	v_rcp_f64_e32 v[15:16], v[13:14]
	s_waitcnt_depctr 0xfff
	v_fma_f64 v[32:33], -v[13:14], v[15:16], 1.0
	v_fma_f64 v[15:16], v[15:16], v[32:33], v[15:16]
	s_delay_alu instid0(VALU_DEP_1) | instskip(NEXT) | instid1(VALU_DEP_1)
	v_fma_f64 v[32:33], -v[13:14], v[15:16], 1.0
	v_fma_f64 v[15:16], v[15:16], v[32:33], v[15:16]
	s_delay_alu instid0(VALU_DEP_1) | instskip(NEXT) | instid1(VALU_DEP_1)
	v_mul_f64 v[32:33], v[34:35], v[15:16]
	v_fma_f64 v[13:14], -v[13:14], v[32:33], v[34:35]
	s_delay_alu instid0(VALU_DEP_1) | instskip(NEXT) | instid1(VALU_DEP_1)
	v_div_fmas_f64 v[13:14], v[13:14], v[15:16], v[32:33]
	v_div_fixup_f64 v[11:12], v[13:14], v[9:10], v[11:12]
	s_delay_alu instid0(VALU_DEP_1) | instskip(NEXT) | instid1(VALU_DEP_1)
	v_fma_f64 v[11:12], v[11:12], v[11:12], 1.0
	v_cmp_gt_f64_e32 vcc_lo, 0x10000000, v[11:12]
	v_cndmask_b32_e64 v13, 0, 1, vcc_lo
	s_delay_alu instid0(VALU_DEP_1) | instskip(NEXT) | instid1(VALU_DEP_1)
	v_lshlrev_b32_e32 v13, 8, v13
	v_ldexp_f64 v[11:12], v[11:12], v13
	s_delay_alu instid0(VALU_DEP_1) | instskip(SKIP_3) | instid1(VALU_DEP_1)
	v_rsq_f64_e32 v[13:14], v[11:12]
	s_waitcnt_depctr 0xfff
	v_mul_f64 v[15:16], v[11:12], v[13:14]
	v_mul_f64 v[13:14], v[13:14], 0.5
	v_fma_f64 v[32:33], -v[13:14], v[15:16], 0.5
	s_delay_alu instid0(VALU_DEP_1) | instskip(SKIP_1) | instid1(VALU_DEP_2)
	v_fma_f64 v[15:16], v[15:16], v[32:33], v[15:16]
	v_fma_f64 v[13:14], v[13:14], v[32:33], v[13:14]
	v_fma_f64 v[32:33], -v[15:16], v[15:16], v[11:12]
	s_delay_alu instid0(VALU_DEP_1) | instskip(NEXT) | instid1(VALU_DEP_1)
	v_fma_f64 v[15:16], v[32:33], v[13:14], v[15:16]
	v_fma_f64 v[32:33], -v[15:16], v[15:16], v[11:12]
	s_delay_alu instid0(VALU_DEP_1) | instskip(SKIP_2) | instid1(VALU_DEP_2)
	v_fma_f64 v[13:14], v[32:33], v[13:14], v[15:16]
	v_cndmask_b32_e64 v15, 0, 0xffffff80, vcc_lo
	v_cmp_class_f64_e64 vcc_lo, v[11:12], 0x260
	v_ldexp_f64 v[13:14], v[13:14], v15
	s_delay_alu instid0(VALU_DEP_1) | instskip(NEXT) | instid1(VALU_DEP_1)
	v_dual_cndmask_b32 v12, v14, v12 :: v_dual_cndmask_b32 v11, v13, v11
	v_mul_f64 v[13:14], v[9:10], v[11:12]
	s_or_b32 exec_lo, exec_lo, s11
	s_delay_alu instid0(VALU_DEP_1) | instskip(NEXT) | instid1(VALU_DEP_1)
	v_cmp_class_f64_e64 s79, v[13:14], 0x1f8
	s_and_saveexec_b32 s11, s79
	s_cbranch_execnz .LBB52_58
	s_branch .LBB52_59
.LBB52_119:                             ;   in Loop: Header=BB52_3 Depth=1
	v_xor_b32_e32 v9, 4, v40
	v_xor_b32_e32 v8, 2, v40
	v_xor_b32_e32 v7, 1, v40
	s_and_b32 vcc_lo, exec_lo, s58
	s_cbranch_vccnz .LBB52_122
; %bb.120:                              ;   in Loop: Header=BB52_3 Depth=1
	s_and_not1_b32 vcc_lo, exec_lo, s33
	s_cbranch_vccz .LBB52_139
.LBB52_121:                             ;   in Loop: Header=BB52_3 Depth=1
	s_and_saveexec_b32 s11, s7
	s_cbranch_execnz .LBB52_156
	s_branch .LBB52_167
.LBB52_122:                             ;   in Loop: Header=BB52_3 Depth=1
	v_cmp_gt_i32_e32 vcc_lo, 32, v9
	v_cmp_gt_i32_e64 s10, 32, v8
	s_delay_alu instid0(VALU_DEP_1) | instskip(SKIP_2) | instid1(VALU_DEP_3)
	v_cndmask_b32_e64 v10, v40, v8, s10
	v_cndmask_b32_e32 v5, v40, v9, vcc_lo
	v_cmp_gt_i32_e64 s10, 32, v7
	v_lshlrev_b32_e32 v10, 2, v10
	s_delay_alu instid0(VALU_DEP_3)
	v_lshlrev_b32_e32 v6, 2, v5
	ds_bpermute_b32 v5, v6, v3
	ds_bpermute_b32 v6, v6, v4
	s_waitcnt lgkmcnt(0)
	v_cmp_lt_f64_e32 vcc_lo, v[3:4], v[5:6]
	v_dual_cndmask_b32 v4, v4, v6 :: v_dual_cndmask_b32 v3, v3, v5
	ds_bpermute_b32 v6, v10, v4
	ds_bpermute_b32 v5, v10, v3
	v_cndmask_b32_e64 v10, v40, v7, s10
	s_waitcnt lgkmcnt(0)
	v_cmp_lt_f64_e32 vcc_lo, v[3:4], v[5:6]
	s_delay_alu instid0(VALU_DEP_2)
	v_dual_cndmask_b32 v3, v3, v5 :: v_dual_lshlrev_b32 v10, 2, v10
	v_cndmask_b32_e32 v4, v4, v6, vcc_lo
	ds_bpermute_b32 v5, v10, v3
	ds_bpermute_b32 v6, v10, v4
	s_and_saveexec_b32 s10, s0
	s_cbranch_execz .LBB52_124
; %bb.123:                              ;   in Loop: Header=BB52_3 Depth=1
	s_waitcnt lgkmcnt(0)
	v_cmp_lt_f64_e32 vcc_lo, v[3:4], v[5:6]
	v_dual_cndmask_b32 v4, v4, v6 :: v_dual_cndmask_b32 v3, v3, v5
	ds_store_b64 v43, v[3:4]
.LBB52_124:                             ;   in Loop: Header=BB52_3 Depth=1
	s_or_b32 exec_lo, exec_lo, s10
	s_waitcnt lgkmcnt(0)
	s_waitcnt_vscnt null, 0x0
	s_barrier
	buffer_gl0_inv
	s_and_saveexec_b32 s10, s1
	s_cbranch_execz .LBB52_126
; %bb.125:                              ;   in Loop: Header=BB52_3 Depth=1
	ds_load_2addr_stride64_b64 v[3:6], v41 offset1:1
	s_waitcnt lgkmcnt(0)
	v_cmp_lt_f64_e32 vcc_lo, v[3:4], v[5:6]
	v_dual_cndmask_b32 v4, v4, v6 :: v_dual_cndmask_b32 v3, v3, v5
	ds_store_b64 v41, v[3:4]
.LBB52_126:                             ;   in Loop: Header=BB52_3 Depth=1
	s_or_b32 exec_lo, exec_lo, s10
	s_waitcnt lgkmcnt(0)
	s_barrier
	buffer_gl0_inv
	s_and_saveexec_b32 s10, s2
	s_cbranch_execz .LBB52_128
; %bb.127:                              ;   in Loop: Header=BB52_3 Depth=1
	ds_load_2addr_b64 v[3:6], v41 offset1:32
	s_waitcnt lgkmcnt(0)
	v_cmp_lt_f64_e32 vcc_lo, v[3:4], v[5:6]
	v_dual_cndmask_b32 v4, v4, v6 :: v_dual_cndmask_b32 v3, v3, v5
	ds_store_b64 v41, v[3:4]
.LBB52_128:                             ;   in Loop: Header=BB52_3 Depth=1
	s_or_b32 exec_lo, exec_lo, s10
	s_waitcnt lgkmcnt(0)
	s_barrier
	buffer_gl0_inv
	s_and_saveexec_b32 s10, s3
	s_cbranch_execz .LBB52_130
; %bb.129:                              ;   in Loop: Header=BB52_3 Depth=1
	ds_load_2addr_b64 v[3:6], v41 offset1:16
	s_waitcnt lgkmcnt(0)
	v_cmp_lt_f64_e32 vcc_lo, v[3:4], v[5:6]
	v_dual_cndmask_b32 v4, v4, v6 :: v_dual_cndmask_b32 v3, v3, v5
	ds_store_b64 v41, v[3:4]
.LBB52_130:                             ;   in Loop: Header=BB52_3 Depth=1
	;; [unrolled: 13-line block ×5, first 2 shown]
	s_or_b32 exec_lo, exec_lo, s10
	s_waitcnt lgkmcnt(0)
	s_barrier
	buffer_gl0_inv
	s_and_saveexec_b32 s10, s8
	s_cbranch_execz .LBB52_138
; %bb.137:                              ;   in Loop: Header=BB52_3 Depth=1
	ds_load_b128 v[3:6], v18
	s_waitcnt lgkmcnt(0)
	v_cmp_lt_f64_e32 vcc_lo, v[3:4], v[5:6]
	v_dual_cndmask_b32 v4, v4, v6 :: v_dual_cndmask_b32 v3, v3, v5
	ds_store_b64 v18, v[3:4]
.LBB52_138:                             ;   in Loop: Header=BB52_3 Depth=1
	s_or_b32 exec_lo, exec_lo, s10
	s_waitcnt lgkmcnt(0)
	s_barrier
	buffer_gl0_inv
	ds_load_b64 v[3:4], v18
	s_load_b64 s[10:11], s[56:57], 0x0
	s_waitcnt lgkmcnt(0)
	v_div_scale_f64 v[5:6], null, s[10:11], s[10:11], v[3:4]
	s_delay_alu instid0(VALU_DEP_1) | instskip(SKIP_2) | instid1(VALU_DEP_1)
	v_rcp_f64_e32 v[10:11], v[5:6]
	s_waitcnt_depctr 0xfff
	v_fma_f64 v[12:13], -v[5:6], v[10:11], 1.0
	v_fma_f64 v[10:11], v[10:11], v[12:13], v[10:11]
	s_delay_alu instid0(VALU_DEP_1) | instskip(NEXT) | instid1(VALU_DEP_1)
	v_fma_f64 v[12:13], -v[5:6], v[10:11], 1.0
	v_fma_f64 v[10:11], v[10:11], v[12:13], v[10:11]
	v_div_scale_f64 v[12:13], vcc_lo, v[3:4], s[10:11], v[3:4]
	s_delay_alu instid0(VALU_DEP_1) | instskip(NEXT) | instid1(VALU_DEP_1)
	v_mul_f64 v[14:15], v[12:13], v[10:11]
	v_fma_f64 v[5:6], -v[5:6], v[14:15], v[12:13]
	s_delay_alu instid0(VALU_DEP_1) | instskip(NEXT) | instid1(VALU_DEP_1)
	v_div_fmas_f64 v[5:6], v[5:6], v[10:11], v[14:15]
	v_div_fixup_f64 v[3:4], v[5:6], s[10:11], v[3:4]
	s_and_not1_b32 vcc_lo, exec_lo, s33
	s_cbranch_vccnz .LBB52_121
.LBB52_139:                             ;   in Loop: Header=BB52_3 Depth=1
	v_cmp_gt_i32_e32 vcc_lo, 32, v9
	v_cmp_gt_i32_e64 s10, 32, v8
	s_delay_alu instid0(VALU_DEP_1) | instskip(SKIP_2) | instid1(VALU_DEP_3)
	v_cndmask_b32_e64 v8, v40, v8, s10
	v_cndmask_b32_e32 v5, v40, v9, vcc_lo
	v_cmp_gt_i32_e64 s10, 32, v7
	v_lshlrev_b32_e32 v8, 2, v8
	s_delay_alu instid0(VALU_DEP_3) | instskip(NEXT) | instid1(VALU_DEP_3)
	v_lshlrev_b32_e32 v6, 2, v5
	v_cndmask_b32_e64 v7, v40, v7, s10
	ds_bpermute_b32 v5, v6, v1
	ds_bpermute_b32 v6, v6, v2
	s_waitcnt lgkmcnt(0)
	v_cmp_lt_f64_e32 vcc_lo, v[1:2], v[5:6]
	v_dual_cndmask_b32 v2, v2, v6 :: v_dual_cndmask_b32 v1, v1, v5
	ds_bpermute_b32 v6, v8, v2
	ds_bpermute_b32 v5, v8, v1
	s_waitcnt lgkmcnt(0)
	v_cmp_lt_f64_e32 vcc_lo, v[1:2], v[5:6]
	v_dual_cndmask_b32 v2, v2, v6 :: v_dual_lshlrev_b32 v7, 2, v7
	v_cndmask_b32_e32 v1, v1, v5, vcc_lo
	ds_bpermute_b32 v6, v7, v2
	ds_bpermute_b32 v5, v7, v1
	s_and_saveexec_b32 s10, s0
	s_cbranch_execz .LBB52_141
; %bb.140:                              ;   in Loop: Header=BB52_3 Depth=1
	s_waitcnt lgkmcnt(0)
	v_cmp_lt_f64_e32 vcc_lo, v[1:2], v[5:6]
	v_dual_cndmask_b32 v2, v2, v6 :: v_dual_cndmask_b32 v1, v1, v5
	ds_store_b64 v43, v[1:2]
.LBB52_141:                             ;   in Loop: Header=BB52_3 Depth=1
	s_or_b32 exec_lo, exec_lo, s10
	s_waitcnt lgkmcnt(0)
	s_waitcnt_vscnt null, 0x0
	s_barrier
	buffer_gl0_inv
	s_and_saveexec_b32 s10, s1
	s_cbranch_execz .LBB52_143
; %bb.142:                              ;   in Loop: Header=BB52_3 Depth=1
	ds_load_2addr_stride64_b64 v[5:8], v41 offset1:1
	s_waitcnt lgkmcnt(0)
	v_cmp_lt_f64_e32 vcc_lo, v[5:6], v[7:8]
	v_dual_cndmask_b32 v2, v6, v8 :: v_dual_cndmask_b32 v1, v5, v7
	ds_store_b64 v41, v[1:2]
.LBB52_143:                             ;   in Loop: Header=BB52_3 Depth=1
	s_or_b32 exec_lo, exec_lo, s10
	s_waitcnt lgkmcnt(0)
	s_barrier
	buffer_gl0_inv
	s_and_saveexec_b32 s10, s2
	s_cbranch_execz .LBB52_145
; %bb.144:                              ;   in Loop: Header=BB52_3 Depth=1
	ds_load_2addr_b64 v[5:8], v41 offset1:32
	s_waitcnt lgkmcnt(0)
	v_cmp_lt_f64_e32 vcc_lo, v[5:6], v[7:8]
	v_dual_cndmask_b32 v2, v6, v8 :: v_dual_cndmask_b32 v1, v5, v7
	ds_store_b64 v41, v[1:2]
.LBB52_145:                             ;   in Loop: Header=BB52_3 Depth=1
	s_or_b32 exec_lo, exec_lo, s10
	s_waitcnt lgkmcnt(0)
	s_barrier
	buffer_gl0_inv
	s_and_saveexec_b32 s10, s3
	s_cbranch_execz .LBB52_147
; %bb.146:                              ;   in Loop: Header=BB52_3 Depth=1
	ds_load_2addr_b64 v[5:8], v41 offset1:16
	s_waitcnt lgkmcnt(0)
	v_cmp_lt_f64_e32 vcc_lo, v[5:6], v[7:8]
	v_dual_cndmask_b32 v2, v6, v8 :: v_dual_cndmask_b32 v1, v5, v7
	ds_store_b64 v41, v[1:2]
.LBB52_147:                             ;   in Loop: Header=BB52_3 Depth=1
	;; [unrolled: 13-line block ×5, first 2 shown]
	s_or_b32 exec_lo, exec_lo, s10
	s_waitcnt lgkmcnt(0)
	s_barrier
	buffer_gl0_inv
	s_and_saveexec_b32 s10, s8
	s_cbranch_execz .LBB52_155
; %bb.154:                              ;   in Loop: Header=BB52_3 Depth=1
	ds_load_b128 v[5:8], v18
	s_waitcnt lgkmcnt(0)
	v_cmp_lt_f64_e32 vcc_lo, v[5:6], v[7:8]
	v_dual_cndmask_b32 v2, v6, v8 :: v_dual_cndmask_b32 v1, v5, v7
	ds_store_b64 v18, v[1:2]
.LBB52_155:                             ;   in Loop: Header=BB52_3 Depth=1
	s_or_b32 exec_lo, exec_lo, s10
	s_waitcnt lgkmcnt(0)
	s_barrier
	buffer_gl0_inv
	ds_load_b64 v[1:2], v18
	s_load_b64 s[10:11], s[56:57], 0x0
	s_waitcnt lgkmcnt(0)
	v_div_scale_f64 v[5:6], null, s[10:11], s[10:11], v[1:2]
	s_delay_alu instid0(VALU_DEP_1) | instskip(SKIP_2) | instid1(VALU_DEP_1)
	v_rcp_f64_e32 v[7:8], v[5:6]
	s_waitcnt_depctr 0xfff
	v_fma_f64 v[9:10], -v[5:6], v[7:8], 1.0
	v_fma_f64 v[7:8], v[7:8], v[9:10], v[7:8]
	s_delay_alu instid0(VALU_DEP_1) | instskip(NEXT) | instid1(VALU_DEP_1)
	v_fma_f64 v[9:10], -v[5:6], v[7:8], 1.0
	v_fma_f64 v[7:8], v[7:8], v[9:10], v[7:8]
	v_div_scale_f64 v[9:10], vcc_lo, v[1:2], s[10:11], v[1:2]
	s_delay_alu instid0(VALU_DEP_1) | instskip(NEXT) | instid1(VALU_DEP_1)
	v_mul_f64 v[11:12], v[9:10], v[7:8]
	v_fma_f64 v[5:6], -v[5:6], v[11:12], v[9:10]
	s_delay_alu instid0(VALU_DEP_1) | instskip(NEXT) | instid1(VALU_DEP_1)
	v_div_fmas_f64 v[5:6], v[5:6], v[7:8], v[11:12]
	v_div_fixup_f64 v[1:2], v[5:6], s[10:11], v[1:2]
	s_and_saveexec_b32 s11, s7
	s_cbranch_execz .LBB52_167
.LBB52_156:                             ;   in Loop: Header=BB52_3 Depth=1
	v_mov_b32_e32 v5, v42
	s_mov_b32 s12, 0
	s_branch .LBB52_158
.LBB52_157:                             ;   in Loop: Header=BB52_158 Depth=2
	s_or_b32 exec_lo, exec_lo, s70
	v_add_nc_u32_e32 v5, 0x80, v5
	s_delay_alu instid0(VALU_DEP_1) | instskip(SKIP_1) | instid1(SALU_CYCLE_1)
	v_cmp_le_u32_e32 vcc_lo, s66, v5
	s_or_b32 s12, vcc_lo, s12
	s_and_not1_b32 exec_lo, exec_lo, s12
	s_cbranch_execz .LBB52_167
.LBB52_158:                             ;   Parent Loop BB52_3 Depth=1
                                        ; =>  This Loop Header: Depth=2
                                        ;       Child Loop BB52_161 Depth 3
                                        ;       Child Loop BB52_164 Depth 3
	s_mov_b32 s70, exec_lo
	s_delay_alu instid0(VALU_DEP_1)
	v_cmpx_gt_i32_e64 s59, v5
	s_cbranch_execz .LBB52_157
; %bb.159:                              ;   in Loop: Header=BB52_158 Depth=2
	v_ashrrev_i32_e32 v6, 31, v5
	s_mov_b32 s71, exec_lo
	s_delay_alu instid0(VALU_DEP_1) | instskip(NEXT) | instid1(VALU_DEP_1)
	v_lshlrev_b64 v[7:8], 2, v[5:6]
	v_add_co_u32 v9, vcc_lo, s24, v7
	s_delay_alu instid0(VALU_DEP_2)
	v_add_co_ci_u32_e32 v10, vcc_lo, s25, v8, vcc_lo
	v_add_co_u32 v11, vcc_lo, s26, v7
	v_add_co_ci_u32_e32 v12, vcc_lo, s27, v8, vcc_lo
	global_load_b32 v9, v[9:10], off
	global_load_b32 v10, v[11:12], off
	s_waitcnt vmcnt(1)
	v_add_nc_u32_e32 v9, v45, v9
	s_waitcnt vmcnt(0)
	v_subrev_nc_u32_e32 v14, s64, v10
	s_delay_alu instid0(VALU_DEP_1)
	v_cmpx_lt_i32_e64 v9, v14
	s_cbranch_execz .LBB52_162
; %bb.160:                              ;   in Loop: Header=BB52_158 Depth=2
	v_ashrrev_i32_e32 v10, 31, v9
	s_mov_b32 s72, 0
	s_delay_alu instid0(VALU_DEP_1) | instskip(NEXT) | instid1(VALU_DEP_1)
	v_lshlrev_b64 v[12:13], 4, v[9:10]
	v_add_co_u32 v10, vcc_lo, s30, v12
	s_delay_alu instid0(VALU_DEP_2)
	v_add_co_ci_u32_e32 v11, vcc_lo, s31, v13, vcc_lo
	v_add_co_u32 v12, vcc_lo, s14, v12
	v_add_co_ci_u32_e32 v13, vcc_lo, s15, v13, vcc_lo
	.p2align	6
.LBB52_161:                             ;   Parent Loop BB52_3 Depth=1
                                        ;     Parent Loop BB52_158 Depth=2
                                        ; =>    This Inner Loop Header: Depth=3
	global_load_b128 v[19:22], v[12:13], off
	v_add_nc_u32_e32 v9, 8, v9
	v_add_co_u32 v12, vcc_lo, 0x80, v12
	v_add_co_ci_u32_e32 v13, vcc_lo, 0, v13, vcc_lo
	s_delay_alu instid0(VALU_DEP_3) | instskip(SKIP_4) | instid1(VALU_DEP_1)
	v_cmp_ge_i32_e32 vcc_lo, v9, v14
	s_or_b32 s72, vcc_lo, s72
	s_waitcnt vmcnt(0)
	global_store_b128 v[10:11], v[19:22], off
	v_add_co_u32 v10, s10, 0x80, v10
	v_add_co_ci_u32_e64 v11, s10, 0, v11, s10
	s_and_not1_b32 exec_lo, exec_lo, s72
	s_cbranch_execnz .LBB52_161
.LBB52_162:                             ;   in Loop: Header=BB52_158 Depth=2
	s_or_b32 exec_lo, exec_lo, s71
	v_add_co_u32 v9, vcc_lo, s16, v7
	v_add_co_ci_u32_e32 v10, vcc_lo, s17, v8, vcc_lo
	v_add_co_u32 v7, vcc_lo, s18, v7
	v_add_co_ci_u32_e32 v8, vcc_lo, s19, v8, vcc_lo
	s_mov_b32 s71, exec_lo
	global_load_b32 v9, v[9:10], off
	global_load_b32 v8, v[7:8], off
	s_waitcnt vmcnt(1)
	v_add_nc_u32_e32 v7, v46, v9
	s_waitcnt vmcnt(0)
	v_subrev_nc_u32_e32 v12, s65, v8
	s_delay_alu instid0(VALU_DEP_1)
	v_cmpx_lt_i32_e64 v7, v12
	s_cbranch_execz .LBB52_165
; %bb.163:                              ;   in Loop: Header=BB52_158 Depth=2
	v_ashrrev_i32_e32 v8, 31, v7
	s_mov_b32 s72, 0
	s_delay_alu instid0(VALU_DEP_1) | instskip(NEXT) | instid1(VALU_DEP_1)
	v_lshlrev_b64 v[10:11], 4, v[7:8]
	v_add_co_u32 v8, vcc_lo, s22, v10
	s_delay_alu instid0(VALU_DEP_2)
	v_add_co_ci_u32_e32 v9, vcc_lo, s23, v11, vcc_lo
	v_add_co_u32 v10, vcc_lo, s34, v10
	v_add_co_ci_u32_e32 v11, vcc_lo, s35, v11, vcc_lo
	.p2align	6
.LBB52_164:                             ;   Parent Loop BB52_3 Depth=1
                                        ;     Parent Loop BB52_158 Depth=2
                                        ; =>    This Inner Loop Header: Depth=3
	global_load_b128 v[13:16], v[10:11], off
	v_add_nc_u32_e32 v7, 8, v7
	v_add_co_u32 v10, vcc_lo, 0x80, v10
	v_add_co_ci_u32_e32 v11, vcc_lo, 0, v11, vcc_lo
	s_delay_alu instid0(VALU_DEP_3) | instskip(SKIP_4) | instid1(VALU_DEP_1)
	v_cmp_ge_i32_e32 vcc_lo, v7, v12
	s_or_b32 s72, vcc_lo, s72
	s_waitcnt vmcnt(0)
	global_store_b128 v[8:9], v[13:16], off
	v_add_co_u32 v8, s10, 0x80, v8
	v_add_co_ci_u32_e64 v9, s10, 0, v9, s10
	s_and_not1_b32 exec_lo, exec_lo, s72
	s_cbranch_execnz .LBB52_164
.LBB52_165:                             ;   in Loop: Header=BB52_158 Depth=2
	s_or_b32 exec_lo, exec_lo, s71
	s_delay_alu instid0(SALU_CYCLE_1)
	s_and_b32 exec_lo, exec_lo, s9
	s_cbranch_execz .LBB52_157
; %bb.166:                              ;   in Loop: Header=BB52_158 Depth=2
	v_lshlrev_b64 v[10:11], 4, v[5:6]
	s_delay_alu instid0(VALU_DEP_1) | instskip(NEXT) | instid1(VALU_DEP_2)
	v_add_co_u32 v6, vcc_lo, s54, v10
	v_add_co_ci_u32_e32 v7, vcc_lo, s55, v11, vcc_lo
	v_add_co_u32 v10, vcc_lo, s52, v10
	v_add_co_ci_u32_e32 v11, vcc_lo, s53, v11, vcc_lo
	global_load_b128 v[6:9], v[6:7], off
	s_waitcnt vmcnt(0)
	global_store_b128 v[10:11], v[6:9], off
	s_branch .LBB52_157
.LBB52_167:                             ;   in Loop: Header=BB52_3 Depth=1
	s_or_b32 exec_lo, exec_lo, s11
	s_mov_b32 s11, -1
	s_and_b32 vcc_lo, exec_lo, s60
	s_mov_b32 s10, -1
	s_cbranch_vccz .LBB52_177
; %bb.168:                              ;   in Loop: Header=BB52_3 Depth=1
	s_and_b32 vcc_lo, exec_lo, s68
                                        ; implicit-def: $sgpr12
	s_cbranch_vccz .LBB52_174
; %bb.169:                              ;   in Loop: Header=BB52_3 Depth=1
	s_and_b32 vcc_lo, exec_lo, s67
                                        ; implicit-def: $sgpr12
	s_cbranch_vccz .LBB52_171
; %bb.170:                              ;   in Loop: Header=BB52_3 Depth=1
	s_delay_alu instid0(VALU_DEP_1)
	v_cmp_ge_f64_e32 vcc_lo, s[50:51], v[1:2]
	s_mov_b32 s10, 0
	s_and_b32 s12, vcc_lo, exec_lo
.LBB52_171:                             ;   in Loop: Header=BB52_3 Depth=1
	s_and_not1_b32 vcc_lo, exec_lo, s10
	s_cbranch_vccnz .LBB52_173
; %bb.172:                              ;   in Loop: Header=BB52_3 Depth=1
	s_delay_alu instid0(VALU_DEP_1) | instskip(SKIP_2) | instid1(SALU_CYCLE_1)
	v_cmp_ge_f64_e32 vcc_lo, s[50:51], v[3:4]
	s_and_not1_b32 s10, s12, exec_lo
	s_and_b32 s12, vcc_lo, exec_lo
	s_or_b32 s12, s10, s12
.LBB52_173:                             ;   in Loop: Header=BB52_3 Depth=1
	s_mov_b32 s10, 0
.LBB52_174:                             ;   in Loop: Header=BB52_3 Depth=1
	s_delay_alu instid0(SALU_CYCLE_1)
	s_and_not1_b32 vcc_lo, exec_lo, s10
	s_cbranch_vccnz .LBB52_176
; %bb.175:                              ;   in Loop: Header=BB52_3 Depth=1
	s_delay_alu instid0(VALU_DEP_1) | instskip(NEXT) | instid1(VALU_DEP_2)
	v_cmp_ge_f64_e32 vcc_lo, s[50:51], v[3:4]
	v_cmp_ge_f64_e64 s10, s[50:51], v[1:2]
	s_and_not1_b32 s12, s12, exec_lo
	s_delay_alu instid0(VALU_DEP_1) | instskip(NEXT) | instid1(SALU_CYCLE_1)
	s_and_b32 s10, vcc_lo, s10
	s_and_b32 s10, s10, exec_lo
	s_delay_alu instid0(SALU_CYCLE_1)
	s_or_b32 s12, s12, s10
.LBB52_176:                             ;   in Loop: Header=BB52_3 Depth=1
	s_delay_alu instid0(SALU_CYCLE_1)
	s_xor_b32 s10, s12, -1
.LBB52_177:                             ;   in Loop: Header=BB52_3 Depth=1
	v_mov_b32_e32 v5, s69
	s_and_saveexec_b32 s12, s10
	s_cbranch_execz .LBB52_2
; %bb.178:                              ;   in Loop: Header=BB52_3 Depth=1
	s_add_i32 s69, s69, 1
	v_mov_b32_e32 v5, s13
	s_cmp_eq_u32 s69, s13
	s_cselect_b32 s10, -1, 0
	s_delay_alu instid0(SALU_CYCLE_1)
	s_or_not1_b32 s11, s10, exec_lo
	s_branch .LBB52_2
.LBB52_179:
	s_or_b32 exec_lo, exec_lo, s61
.LBB52_180:
	s_delay_alu instid0(SALU_CYCLE_1) | instskip(NEXT) | instid1(SALU_CYCLE_1)
	s_or_b32 exec_lo, exec_lo, s62
	s_and_not1_b32 vcc_lo, exec_lo, s60
	s_cbranch_vccnz .LBB52_201
; %bb.181:
	v_xor_b32_e32 v6, 4, v40
	v_xor_b32_e32 v7, 2, v40
	s_mov_b32 s0, exec_lo
	s_delay_alu instid0(VALU_DEP_2) | instskip(SKIP_1) | instid1(VALU_DEP_3)
	v_cmp_gt_i32_e32 vcc_lo, 32, v6
	v_cndmask_b32_e32 v6, v40, v6, vcc_lo
	v_cmp_gt_i32_e32 vcc_lo, 32, v7
	v_cndmask_b32_e32 v7, v40, v7, vcc_lo
	s_delay_alu instid0(VALU_DEP_1) | instskip(NEXT) | instid1(VALU_DEP_4)
	v_lshlrev_b32_e32 v7, 2, v7
	v_lshlrev_b32_e32 v6, 2, v6
	ds_bpermute_b32 v6, v6, v5
	s_waitcnt lgkmcnt(0)
	v_max_i32_e32 v5, v5, v6
	ds_bpermute_b32 v6, v7, v5
	v_xor_b32_e32 v7, 1, v40
	s_delay_alu instid0(VALU_DEP_1) | instskip(SKIP_3) | instid1(VALU_DEP_2)
	v_cmp_gt_i32_e32 vcc_lo, 32, v7
	v_cndmask_b32_e32 v7, v40, v7, vcc_lo
	s_waitcnt lgkmcnt(0)
	v_max_i32_e32 v5, v5, v6
	v_lshlrev_b32_e32 v6, 2, v7
	ds_bpermute_b32 v6, v6, v5
	v_cmpx_eq_u32_e32 7, v39
	s_cbranch_execz .LBB52_183
; %bb.182:
	v_lshlrev_b32_e32 v7, 2, v38
	s_waitcnt lgkmcnt(0)
	v_max_i32_e32 v5, v5, v6
	ds_store_b32 v7, v5 offset:1024
.LBB52_183:
	s_or_b32 exec_lo, exec_lo, s0
	v_lshlrev_b32_e32 v5, 2, v0
	s_mov_b32 s0, exec_lo
	s_waitcnt lgkmcnt(0)
	s_waitcnt_vscnt null, 0x0
	s_barrier
	buffer_gl0_inv
	v_cmpx_gt_u32_e32 64, v0
	s_cbranch_execz .LBB52_185
; %bb.184:
	ds_load_2addr_stride64_b32 v[6:7], v5 offset0:4 offset1:5
	s_waitcnt lgkmcnt(0)
	v_max_i32_e32 v6, v6, v7
	ds_store_b32 v5, v6 offset:1024
.LBB52_185:
	s_or_b32 exec_lo, exec_lo, s0
	s_delay_alu instid0(SALU_CYCLE_1)
	s_mov_b32 s0, exec_lo
	s_waitcnt lgkmcnt(0)
	s_barrier
	buffer_gl0_inv
	v_cmpx_gt_u32_e32 32, v0
	s_cbranch_execz .LBB52_187
; %bb.186:
	v_add_nc_u32_e32 v6, 0x400, v5
	ds_load_2addr_b32 v[6:7], v6 offset1:32
	s_waitcnt lgkmcnt(0)
	v_max_i32_e32 v6, v6, v7
	ds_store_b32 v5, v6 offset:1024
.LBB52_187:
	s_or_b32 exec_lo, exec_lo, s0
	s_delay_alu instid0(SALU_CYCLE_1)
	s_mov_b32 s0, exec_lo
	s_waitcnt lgkmcnt(0)
	s_barrier
	buffer_gl0_inv
	v_cmpx_gt_u32_e32 16, v0
	s_cbranch_execz .LBB52_189
; %bb.188:
	v_add_nc_u32_e32 v6, 0x400, v5
	ds_load_2addr_b32 v[6:7], v6 offset1:16
	s_waitcnt lgkmcnt(0)
	v_max_i32_e32 v6, v6, v7
	ds_store_b32 v5, v6 offset:1024
.LBB52_189:
	;; [unrolled: 15-line block ×5, first 2 shown]
	s_or_b32 exec_lo, exec_lo, s0
	v_cmp_eq_u32_e32 vcc_lo, 0, v0
	s_waitcnt lgkmcnt(0)
	s_barrier
	buffer_gl0_inv
	s_and_saveexec_b32 s0, vcc_lo
	s_cbranch_execz .LBB52_197
; %bb.196:
	v_mov_b32_e32 v7, 0
	ds_load_b64 v[5:6], v7 offset:1024
	s_waitcnt lgkmcnt(0)
	v_max_i32_e32 v5, v5, v6
	ds_store_b32 v7, v5 offset:1024
.LBB52_197:
	s_or_b32 exec_lo, exec_lo, s0
	s_waitcnt lgkmcnt(0)
	s_barrier
	buffer_gl0_inv
	s_and_saveexec_b32 s0, vcc_lo
	s_cbranch_execz .LBB52_200
; %bb.198:
	v_mbcnt_lo_u32_b32 v5, exec_lo, 0
	s_delay_alu instid0(VALU_DEP_1)
	v_cmp_eq_u32_e32 vcc_lo, 0, v5
	s_and_b32 exec_lo, exec_lo, vcc_lo
	s_cbranch_execz .LBB52_200
; %bb.199:
	v_mov_b32_e32 v5, 0
	ds_load_b32 v6, v5 offset:1024
	s_waitcnt lgkmcnt(0)
	v_add_nc_u32_e32 v6, 1, v6
	global_atomic_max_i32 v5, v6, s[48:49]
.LBB52_200:
	s_or_b32 exec_lo, exec_lo, s0
.LBB52_201:
	v_cmp_eq_u32_e32 vcc_lo, 0, v0
	s_mov_b32 s2, 0
	s_and_b32 s0, vcc_lo, s58
	s_delay_alu instid0(SALU_CYCLE_1)
	s_and_saveexec_b32 s4, s0
	s_cbranch_execz .LBB52_206
; %bb.202:
	v_mov_b32_e32 v0, 0
	s_delay_alu instid0(VALU_DEP_4)
	v_cmp_eq_f64_e64 s0, 0, v[3:4]
	s_brev_b32 s3, 1
                                        ; implicit-def: $sgpr5
	global_load_b64 v[5:6], v0, s[44:45] glc
	s_waitcnt vmcnt(0)
	v_cmp_eq_u64_e64 s6, s[2:3], v[5:6]
                                        ; implicit-def: $sgpr3
	s_set_inst_prefetch_distance 0x1
	s_branch .LBB52_204
	.p2align	6
.LBB52_203:                             ;   in Loop: Header=BB52_204 Depth=1
	s_or_b32 exec_lo, exec_lo, s7
	s_delay_alu instid0(SALU_CYCLE_1) | instskip(NEXT) | instid1(SALU_CYCLE_1)
	s_and_b32 s1, exec_lo, s3
	s_or_b32 s2, s1, s2
	s_and_not1_b32 s1, s6, exec_lo
	s_and_b32 s6, s5, exec_lo
	s_delay_alu instid0(SALU_CYCLE_1)
	s_or_b32 s6, s1, s6
	s_and_not1_b32 exec_lo, exec_lo, s2
	s_cbranch_execz .LBB52_206
.LBB52_204:                             ; =>This Inner Loop Header: Depth=1
	v_cmp_lt_f64_e64 s1, v[5:6], v[3:4]
	s_delay_alu instid0(VALU_DEP_2) | instskip(SKIP_2) | instid1(VALU_DEP_1)
	s_and_b32 s7, s0, s6
	s_and_not1_b32 s5, s5, exec_lo
	s_or_b32 s3, s3, exec_lo
	s_or_b32 s1, s1, s7
	s_delay_alu instid0(SALU_CYCLE_1)
	s_and_saveexec_b32 s7, s1
	s_cbranch_execz .LBB52_203
; %bb.205:                              ;   in Loop: Header=BB52_204 Depth=1
	global_atomic_cmpswap_b64 v[7:8], v0, v[3:6], s[44:45] glc
	s_and_not1_b32 s5, s5, exec_lo
	s_and_not1_b32 s3, s3, exec_lo
	s_waitcnt vmcnt(0)
	v_cmp_eq_u64_e64 s1, v[7:8], v[5:6]
	s_delay_alu instid0(VALU_DEP_1) | instskip(SKIP_2) | instid1(SALU_CYCLE_1)
	v_cndmask_b32_e64 v6, v8, v6, s1
	v_cndmask_b32_e64 v5, v7, v5, s1
	s_and_b32 s1, s1, exec_lo
	s_or_b32 s3, s3, s1
	s_delay_alu instid0(VALU_DEP_1) | instskip(SKIP_1) | instid1(VALU_DEP_2)
	v_cmp_class_f64_e64 s6, v[5:6], 32
	v_dual_mov_b32 v5, v7 :: v_dual_mov_b32 v6, v8
	s_and_b32 s6, s6, exec_lo
	s_delay_alu instid0(SALU_CYCLE_1)
	s_or_b32 s5, s5, s6
                                        ; implicit-def: $sgpr6
	s_branch .LBB52_203
.LBB52_206:
	s_set_inst_prefetch_distance 0x2
	s_or_b32 exec_lo, exec_lo, s4
	s_and_b32 s0, vcc_lo, s33
	s_delay_alu instid0(SALU_CYCLE_1)
	s_and_saveexec_b32 s1, s0
	s_cbranch_execz .LBB52_211
; %bb.207:
	v_mov_b32_e32 v0, 0
	s_delay_alu instid0(VALU_DEP_4)
	v_cmp_eq_f64_e32 vcc_lo, 0, v[1:2]
	s_brev_b32 s3, 1
	s_mov_b32 s2, 0
                                        ; implicit-def: $sgpr1
	global_load_b64 v[3:4], v0, s[46:47] glc
	s_waitcnt vmcnt(0)
	v_cmp_eq_u64_e64 s4, s[2:3], v[3:4]
                                        ; implicit-def: $sgpr3
	s_set_inst_prefetch_distance 0x1
	s_branch .LBB52_209
	.p2align	6
.LBB52_208:                             ;   in Loop: Header=BB52_209 Depth=1
	s_or_b32 exec_lo, exec_lo, s5
	s_delay_alu instid0(SALU_CYCLE_1) | instskip(NEXT) | instid1(SALU_CYCLE_1)
	s_and_b32 s0, exec_lo, s1
	s_or_b32 s2, s0, s2
	s_and_not1_b32 s0, s4, exec_lo
	s_and_b32 s4, s3, exec_lo
	s_delay_alu instid0(SALU_CYCLE_1)
	s_or_b32 s4, s0, s4
	s_and_not1_b32 exec_lo, exec_lo, s2
	s_cbranch_execz .LBB52_211
.LBB52_209:                             ; =>This Inner Loop Header: Depth=1
	v_cmp_lt_f64_e64 s0, v[3:4], v[1:2]
	s_delay_alu instid0(VALU_DEP_2) | instskip(SKIP_2) | instid1(VALU_DEP_1)
	s_and_b32 s5, vcc_lo, s4
	s_and_not1_b32 s3, s3, exec_lo
	s_or_b32 s1, s1, exec_lo
	s_or_b32 s0, s0, s5
	s_delay_alu instid0(SALU_CYCLE_1)
	s_and_saveexec_b32 s5, s0
	s_cbranch_execz .LBB52_208
; %bb.210:                              ;   in Loop: Header=BB52_209 Depth=1
	global_atomic_cmpswap_b64 v[5:6], v0, v[1:4], s[46:47] glc
	s_and_not1_b32 s3, s3, exec_lo
	s_and_not1_b32 s1, s1, exec_lo
	s_waitcnt vmcnt(0)
	v_cmp_eq_u64_e64 s0, v[5:6], v[3:4]
	s_delay_alu instid0(VALU_DEP_1) | instskip(SKIP_2) | instid1(SALU_CYCLE_1)
	v_cndmask_b32_e64 v4, v6, v4, s0
	v_cndmask_b32_e64 v3, v5, v3, s0
	s_and_b32 s0, s0, exec_lo
	s_or_b32 s1, s1, s0
	s_delay_alu instid0(VALU_DEP_1) | instskip(SKIP_1) | instid1(VALU_DEP_2)
	v_cmp_class_f64_e64 s4, v[3:4], 32
	v_dual_mov_b32 v3, v5 :: v_dual_mov_b32 v4, v6
	s_and_b32 s4, s4, exec_lo
	s_delay_alu instid0(SALU_CYCLE_1)
	s_or_b32 s3, s3, s4
                                        ; implicit-def: $sgpr4
	s_branch .LBB52_208
.LBB52_211:
	s_set_inst_prefetch_distance 0x2
	s_nop 0
	s_sendmsg sendmsg(MSG_DEALLOC_VGPRS)
	s_endpgm
	.section	.rodata,"a",@progbits
	.p2align	6, 0x0
	.amdhsa_kernel _ZN9rocsparseL6kernelILi1024ELi8E21rocsparse_complex_numIdEiiEEvbbbT3_PS3_NS_15floating_traitsIT1_E6data_tES3_T2_PKS9_SB_PKS3_PKS6_21rocsparse_index_base_SB_SB_SD_PS6_SH_SG_SB_SB_SD_SH_SH_SG_SH_SH_PS8_SI_PKS8_
		.amdhsa_group_segment_fixed_size 1536
		.amdhsa_private_segment_fixed_size 0
		.amdhsa_kernarg_size 208
		.amdhsa_user_sgpr_count 15
		.amdhsa_user_sgpr_dispatch_ptr 0
		.amdhsa_user_sgpr_queue_ptr 0
		.amdhsa_user_sgpr_kernarg_segment_ptr 1
		.amdhsa_user_sgpr_dispatch_id 0
		.amdhsa_user_sgpr_private_segment_size 0
		.amdhsa_wavefront_size32 1
		.amdhsa_uses_dynamic_stack 0
		.amdhsa_enable_private_segment 0
		.amdhsa_system_sgpr_workgroup_id_x 1
		.amdhsa_system_sgpr_workgroup_id_y 0
		.amdhsa_system_sgpr_workgroup_id_z 0
		.amdhsa_system_sgpr_workgroup_info 0
		.amdhsa_system_vgpr_workitem_id 0
		.amdhsa_next_free_vgpr 60
		.amdhsa_next_free_sgpr 83
		.amdhsa_reserve_vcc 1
		.amdhsa_float_round_mode_32 0
		.amdhsa_float_round_mode_16_64 0
		.amdhsa_float_denorm_mode_32 3
		.amdhsa_float_denorm_mode_16_64 3
		.amdhsa_dx10_clamp 1
		.amdhsa_ieee_mode 1
		.amdhsa_fp16_overflow 0
		.amdhsa_workgroup_processor_mode 1
		.amdhsa_memory_ordered 1
		.amdhsa_forward_progress 0
		.amdhsa_shared_vgpr_count 0
		.amdhsa_exception_fp_ieee_invalid_op 0
		.amdhsa_exception_fp_denorm_src 0
		.amdhsa_exception_fp_ieee_div_zero 0
		.amdhsa_exception_fp_ieee_overflow 0
		.amdhsa_exception_fp_ieee_underflow 0
		.amdhsa_exception_fp_ieee_inexact 0
		.amdhsa_exception_int_div_zero 0
	.end_amdhsa_kernel
	.section	.text._ZN9rocsparseL6kernelILi1024ELi8E21rocsparse_complex_numIdEiiEEvbbbT3_PS3_NS_15floating_traitsIT1_E6data_tES3_T2_PKS9_SB_PKS3_PKS6_21rocsparse_index_base_SB_SB_SD_PS6_SH_SG_SB_SB_SD_SH_SH_SG_SH_SH_PS8_SI_PKS8_,"axG",@progbits,_ZN9rocsparseL6kernelILi1024ELi8E21rocsparse_complex_numIdEiiEEvbbbT3_PS3_NS_15floating_traitsIT1_E6data_tES3_T2_PKS9_SB_PKS3_PKS6_21rocsparse_index_base_SB_SB_SD_PS6_SH_SG_SB_SB_SD_SH_SH_SG_SH_SH_PS8_SI_PKS8_,comdat
.Lfunc_end52:
	.size	_ZN9rocsparseL6kernelILi1024ELi8E21rocsparse_complex_numIdEiiEEvbbbT3_PS3_NS_15floating_traitsIT1_E6data_tES3_T2_PKS9_SB_PKS3_PKS6_21rocsparse_index_base_SB_SB_SD_PS6_SH_SG_SB_SB_SD_SH_SH_SG_SH_SH_PS8_SI_PKS8_, .Lfunc_end52-_ZN9rocsparseL6kernelILi1024ELi8E21rocsparse_complex_numIdEiiEEvbbbT3_PS3_NS_15floating_traitsIT1_E6data_tES3_T2_PKS9_SB_PKS3_PKS6_21rocsparse_index_base_SB_SB_SD_PS6_SH_SG_SB_SB_SD_SH_SH_SG_SH_SH_PS8_SI_PKS8_
                                        ; -- End function
	.section	.AMDGPU.csdata,"",@progbits
; Kernel info:
; codeLenInByte = 11380
; NumSgprs: 85
; NumVgprs: 60
; ScratchSize: 0
; MemoryBound: 1
; FloatMode: 240
; IeeeMode: 1
; LDSByteSize: 1536 bytes/workgroup (compile time only)
; SGPRBlocks: 10
; VGPRBlocks: 7
; NumSGPRsForWavesPerEU: 85
; NumVGPRsForWavesPerEU: 60
; Occupancy: 16
; WaveLimiterHint : 1
; COMPUTE_PGM_RSRC2:SCRATCH_EN: 0
; COMPUTE_PGM_RSRC2:USER_SGPR: 15
; COMPUTE_PGM_RSRC2:TRAP_HANDLER: 0
; COMPUTE_PGM_RSRC2:TGID_X_EN: 1
; COMPUTE_PGM_RSRC2:TGID_Y_EN: 0
; COMPUTE_PGM_RSRC2:TGID_Z_EN: 0
; COMPUTE_PGM_RSRC2:TIDIG_COMP_CNT: 0
	.section	.text._ZN9rocsparseL6kernelILi1024ELi16E21rocsparse_complex_numIdEiiEEvbbbT3_PS3_NS_15floating_traitsIT1_E6data_tES3_T2_PKS9_SB_PKS3_PKS6_21rocsparse_index_base_SB_SB_SD_PS6_SH_SG_SB_SB_SD_SH_SH_SG_SH_SH_PS8_SI_PKS8_,"axG",@progbits,_ZN9rocsparseL6kernelILi1024ELi16E21rocsparse_complex_numIdEiiEEvbbbT3_PS3_NS_15floating_traitsIT1_E6data_tES3_T2_PKS9_SB_PKS3_PKS6_21rocsparse_index_base_SB_SB_SD_PS6_SH_SG_SB_SB_SD_SH_SH_SG_SH_SH_PS8_SI_PKS8_,comdat
	.globl	_ZN9rocsparseL6kernelILi1024ELi16E21rocsparse_complex_numIdEiiEEvbbbT3_PS3_NS_15floating_traitsIT1_E6data_tES3_T2_PKS9_SB_PKS3_PKS6_21rocsparse_index_base_SB_SB_SD_PS6_SH_SG_SB_SB_SD_SH_SH_SG_SH_SH_PS8_SI_PKS8_ ; -- Begin function _ZN9rocsparseL6kernelILi1024ELi16E21rocsparse_complex_numIdEiiEEvbbbT3_PS3_NS_15floating_traitsIT1_E6data_tES3_T2_PKS9_SB_PKS3_PKS6_21rocsparse_index_base_SB_SB_SD_PS6_SH_SG_SB_SB_SD_SH_SH_SG_SH_SH_PS8_SI_PKS8_
	.p2align	8
	.type	_ZN9rocsparseL6kernelILi1024ELi16E21rocsparse_complex_numIdEiiEEvbbbT3_PS3_NS_15floating_traitsIT1_E6data_tES3_T2_PKS9_SB_PKS3_PKS6_21rocsparse_index_base_SB_SB_SD_PS6_SH_SG_SB_SB_SD_SH_SH_SG_SH_SH_PS8_SI_PKS8_,@function
_ZN9rocsparseL6kernelILi1024ELi16E21rocsparse_complex_numIdEiiEEvbbbT3_PS3_NS_15floating_traitsIT1_E6data_tES3_T2_PKS9_SB_PKS3_PKS6_21rocsparse_index_base_SB_SB_SD_PS6_SH_SG_SB_SB_SD_SH_SH_SG_SH_SH_PS8_SI_PKS8_: ; @_ZN9rocsparseL6kernelILi1024ELi16E21rocsparse_complex_numIdEiiEEvbbbT3_PS3_NS_15floating_traitsIT1_E6data_tES3_T2_PKS9_SB_PKS3_PKS6_21rocsparse_index_base_SB_SB_SD_PS6_SH_SG_SB_SB_SD_SH_SH_SG_SH_SH_PS8_SI_PKS8_
; %bb.0:
	s_clause 0x4
	s_load_b32 s2, s[0:1], 0x0
	s_load_b64 s[34:35], s[0:1], 0x0
	s_load_b32 s59, s[0:1], 0x18
	s_load_b128 s[44:47], s[0:1], 0x8
	s_load_b128 s[28:31], s[0:1], 0xb8
	v_lshrrev_b32_e32 v38, 4, v0
	v_mov_b32_e32 v3, 0
	v_dual_mov_b32 v5, 0 :: v_dual_mov_b32 v4, 0
	s_delay_alu instid0(VALU_DEP_2) | instskip(SKIP_1) | instid1(VALU_DEP_3)
	v_mov_b32_e32 v1, v3
	v_lshlrev_b32_e32 v41, 3, v0
	v_dual_mov_b32 v6, v5 :: v_dual_and_b32 v39, 15, v0
	s_delay_alu instid0(VALU_DEP_4)
	v_mov_b32_e32 v2, v4
	v_mbcnt_lo_u32_b32 v40, -1, 0
	ds_store_b64 v41, v[5:6]
	s_waitcnt lgkmcnt(0)
	s_barrier
	s_bitcmp1_b32 s2, 0
	buffer_gl0_inv
	s_cselect_b32 s60, -1, 0
	s_bitcmp1_b32 s2, 8
	s_cselect_b32 s58, -1, 0
	s_bitcmp1_b32 s34, 16
	s_mov_b32 s34, 0
	s_cselect_b32 s33, -1, 0
	s_lshl_b32 s65, s15, 10
	s_cmp_gt_i32 s35, 0
	v_or_b32_e32 v42, s65, v38
	s_cselect_b32 s2, -1, 0
	s_delay_alu instid0(VALU_DEP_1) | instskip(SKIP_1) | instid1(SALU_CYCLE_1)
	v_cmp_gt_i32_e32 vcc_lo, s59, v42
	s_and_b32 s2, s2, vcc_lo
	s_and_saveexec_b32 s61, s2
	s_cbranch_execz .LBB53_176
; %bb.1:
	s_clause 0x9
	s_load_b32 s62, s[0:1], 0x40
	s_load_b32 s63, s[0:1], 0x70
	s_load_b64 s[52:53], s[0:1], 0x98
	s_load_b32 s64, s[0:1], 0xa0
	s_load_b64 s[54:55], s[0:1], 0x68
	s_load_b64 s[56:57], s[0:1], 0xc8
	s_load_b128 s[48:51], s[0:1], 0xa8
	s_load_b256 s[12:19], s[0:1], 0x78
	s_load_b256 s[20:27], s[0:1], 0x48
	;; [unrolled: 1-line block ×3, first 2 shown]
	v_dual_mov_b32 v1, 0 :: v_dual_mov_b32 v18, 0
	v_dual_mov_b32 v2, 0 :: v_dual_lshlrev_b32 v43, 3, v38
	s_addk_i32 s65, 0x400
	v_cmp_eq_u32_e64 s0, 15, v39
	v_cmp_gt_u32_e64 s1, 32, v0
	v_cmp_gt_u32_e64 s2, 16, v0
	;; [unrolled: 1-line block ×5, first 2 shown]
	v_cmp_eq_u32_e64 s6, 0, v0
	v_cmp_gt_u32_e64 s7, s65, v42
	s_waitcnt lgkmcnt(0)
	v_subrev_nc_u32_e32 v44, s62, v39
	v_subrev_nc_u32_e32 v45, s63, v39
	;; [unrolled: 1-line block ×3, first 2 shown]
	v_cmp_eq_u32_e64 s8, 0, v39
	v_dual_mov_b32 v4, v2 :: v_dual_mov_b32 v3, v1
	s_and_b32 s9, s58, s33
	s_xor_b32 s66, s58, -1
	s_xor_b32 s67, s9, -1
	s_mov_b32 s68, 0
	s_branch .LBB53_3
.LBB53_2:                               ;   in Loop: Header=BB53_3 Depth=1
	s_or_b32 exec_lo, exec_lo, s11
	s_delay_alu instid0(SALU_CYCLE_1) | instskip(NEXT) | instid1(SALU_CYCLE_1)
	s_and_b32 s9, exec_lo, s10
	s_or_b32 s34, s9, s34
	s_delay_alu instid0(SALU_CYCLE_1)
	s_and_not1_b32 exec_lo, exec_lo, s34
	s_cbranch_execz .LBB53_175
.LBB53_3:                               ; =>This Loop Header: Depth=1
                                        ;     Child Loop BB53_7 Depth 2
                                        ;       Child Loop BB53_12 Depth 3
                                        ;         Child Loop BB53_16 Depth 4
                                        ;         Child Loop BB53_51 Depth 4
                                        ;         Child Loop BB53_67 Depth 4
                                        ;         Child Loop BB53_89 Depth 4
                                        ;         Child Loop BB53_102 Depth 4
                                        ;     Child Loop BB53_154 Depth 2
                                        ;       Child Loop BB53_157 Depth 3
                                        ;       Child Loop BB53_160 Depth 3
	s_delay_alu instid0(VALU_DEP_2) | instskip(NEXT) | instid1(VALU_DEP_3)
	v_cndmask_b32_e64 v4, v4, 0, s58
	v_cndmask_b32_e64 v3, v3, 0, s58
	s_delay_alu instid0(VALU_DEP_4)
	v_cndmask_b32_e64 v2, v2, 0, s33
	v_cndmask_b32_e64 v1, v1, 0, s33
	s_mov_b32 s69, 0
	s_branch .LBB53_7
.LBB53_4:                               ;   in Loop: Header=BB53_7 Depth=2
	s_or_b32 exec_lo, exec_lo, s72
.LBB53_5:                               ;   in Loop: Header=BB53_7 Depth=2
	s_delay_alu instid0(SALU_CYCLE_1)
	s_or_b32 exec_lo, exec_lo, s71
.LBB53_6:                               ;   in Loop: Header=BB53_7 Depth=2
	s_delay_alu instid0(SALU_CYCLE_1) | instskip(SKIP_1) | instid1(SALU_CYCLE_1)
	s_or_b32 exec_lo, exec_lo, s70
	s_add_i32 s69, s69, 1
	s_cmp_eq_u32 s69, 16
	s_cbranch_scc1 .LBB53_119
.LBB53_7:                               ;   Parent Loop BB53_3 Depth=1
                                        ; =>  This Loop Header: Depth=2
                                        ;       Child Loop BB53_12 Depth 3
                                        ;         Child Loop BB53_16 Depth 4
                                        ;         Child Loop BB53_51 Depth 4
	;; [unrolled: 1-line block ×5, first 2 shown]
	v_lshl_add_u32 v19, s69, 6, v42
	s_mov_b32 s70, exec_lo
	s_delay_alu instid0(VALU_DEP_1)
	v_cmpx_gt_i32_e64 s59, v19
	s_cbranch_execz .LBB53_6
; %bb.8:                                ;   in Loop: Header=BB53_7 Depth=2
	v_ashrrev_i32_e32 v20, 31, v19
	s_mov_b32 s71, exec_lo
	s_delay_alu instid0(VALU_DEP_1) | instskip(NEXT) | instid1(VALU_DEP_1)
	v_lshlrev_b64 v[5:6], 2, v[19:20]
	v_add_co_u32 v7, vcc_lo, s36, v5
	s_delay_alu instid0(VALU_DEP_2)
	v_add_co_ci_u32_e32 v8, vcc_lo, s37, v6, vcc_lo
	v_add_co_u32 v9, vcc_lo, s38, v5
	v_add_co_ci_u32_e32 v10, vcc_lo, s39, v6, vcc_lo
	global_load_b32 v7, v[7:8], off
	global_load_b32 v8, v[9:10], off
	s_waitcnt vmcnt(1)
	v_add_nc_u32_e32 v20, v44, v7
	s_waitcnt vmcnt(0)
	v_subrev_nc_u32_e32 v47, s62, v8
	s_delay_alu instid0(VALU_DEP_1)
	v_cmpx_lt_i32_e64 v20, v47
	s_cbranch_execz .LBB53_5
; %bb.9:                                ;   in Loop: Header=BB53_7 Depth=2
	v_add_co_u32 v7, vcc_lo, s20, v5
	v_add_co_ci_u32_e32 v8, vcc_lo, s21, v6, vcc_lo
	v_add_co_u32 v5, vcc_lo, s22, v5
	v_add_co_ci_u32_e32 v6, vcc_lo, s23, v6, vcc_lo
	global_load_b32 v7, v[7:8], off
	s_mov_b32 s72, 0
	global_load_b32 v8, v[5:6], off
	s_waitcnt vmcnt(1)
	v_subrev_nc_u32_e32 v22, s63, v7
	s_waitcnt vmcnt(0)
	v_sub_nc_u32_e32 v48, v8, v7
	s_delay_alu instid0(VALU_DEP_2) | instskip(NEXT) | instid1(VALU_DEP_2)
	v_ashrrev_i32_e32 v23, 31, v22
	v_cmp_lt_i32_e64 s9, 0, v48
	s_delay_alu instid0(VALU_DEP_2) | instskip(SKIP_1) | instid1(VALU_DEP_2)
	v_lshlrev_b64 v[5:6], 2, v[22:23]
	v_lshlrev_b64 v[7:8], 4, v[22:23]
	v_add_co_u32 v49, vcc_lo, s24, v5
	s_delay_alu instid0(VALU_DEP_3) | instskip(NEXT) | instid1(VALU_DEP_3)
	v_add_co_ci_u32_e32 v50, vcc_lo, s25, v6, vcc_lo
	v_add_co_u32 v51, vcc_lo, s26, v7
	s_delay_alu instid0(VALU_DEP_4)
	v_add_co_ci_u32_e32 v52, vcc_lo, s27, v8, vcc_lo
	s_branch .LBB53_12
.LBB53_10:                              ;   in Loop: Header=BB53_12 Depth=3
	s_or_b32 exec_lo, exec_lo, s10
.LBB53_11:                              ;   in Loop: Header=BB53_12 Depth=3
	s_delay_alu instid0(SALU_CYCLE_1) | instskip(SKIP_1) | instid1(VALU_DEP_1)
	s_or_b32 exec_lo, exec_lo, s11
	v_add_nc_u32_e32 v20, 16, v20
	v_cmp_ge_i32_e32 vcc_lo, v20, v47
	s_or_b32 s72, vcc_lo, s72
	s_delay_alu instid0(SALU_CYCLE_1)
	s_and_not1_b32 exec_lo, exec_lo, s72
	s_cbranch_execz .LBB53_4
.LBB53_12:                              ;   Parent Loop BB53_3 Depth=1
                                        ;     Parent Loop BB53_7 Depth=2
                                        ; =>    This Loop Header: Depth=3
                                        ;         Child Loop BB53_16 Depth 4
                                        ;         Child Loop BB53_51 Depth 4
	;; [unrolled: 1-line block ×5, first 2 shown]
	v_ashrrev_i32_e32 v21, 31, v20
	v_mov_b32_e32 v25, 0
	v_dual_mov_b32 v26, 0 :: v_dual_mov_b32 v17, 0
	v_mov_b32_e32 v31, 0
	s_delay_alu instid0(VALU_DEP_4) | instskip(NEXT) | instid1(VALU_DEP_3)
	v_lshlrev_b64 v[5:6], 2, v[20:21]
	v_dual_mov_b32 v28, v26 :: v_dual_mov_b32 v27, v25
	s_delay_alu instid0(VALU_DEP_2) | instskip(NEXT) | instid1(VALU_DEP_3)
	v_add_co_u32 v5, vcc_lo, s40, v5
	v_add_co_ci_u32_e32 v6, vcc_lo, s41, v6, vcc_lo
	global_load_b32 v5, v[5:6], off
	s_waitcnt vmcnt(0)
	v_subrev_nc_u32_e32 v23, s62, v5
	s_delay_alu instid0(VALU_DEP_1) | instskip(NEXT) | instid1(VALU_DEP_1)
	v_ashrrev_i32_e32 v24, 31, v23
	v_lshlrev_b64 v[5:6], 2, v[23:24]
	s_delay_alu instid0(VALU_DEP_1) | instskip(NEXT) | instid1(VALU_DEP_2)
	v_add_co_u32 v7, vcc_lo, s12, v5
	v_add_co_ci_u32_e32 v8, vcc_lo, s13, v6, vcc_lo
	v_add_co_u32 v5, vcc_lo, s14, v5
	v_add_co_ci_u32_e32 v6, vcc_lo, s15, v6, vcc_lo
	global_load_b32 v7, v[7:8], off
	global_load_b32 v5, v[5:6], off
	s_waitcnt vmcnt(1)
	v_subrev_nc_u32_e32 v29, s64, v7
	s_waitcnt vmcnt(0)
	v_sub_nc_u32_e32 v53, v5, v7
	s_and_saveexec_b32 s11, s9
	s_cbranch_execz .LBB53_20
; %bb.13:                               ;   in Loop: Header=BB53_12 Depth=3
	v_ashrrev_i32_e32 v30, 31, v29
	v_mov_b32_e32 v25, 0
	v_dual_mov_b32 v31, 0 :: v_dual_mov_b32 v26, 0
	s_mov_b32 s73, 0
	s_delay_alu instid0(VALU_DEP_3) | instskip(SKIP_1) | instid1(VALU_DEP_3)
	v_lshlrev_b64 v[5:6], 2, v[29:30]
	v_lshlrev_b64 v[7:8], 4, v[29:30]
	v_dual_mov_b32 v17, v31 :: v_dual_mov_b32 v28, v26
	v_mov_b32_e32 v27, v25
                                        ; implicit-def: $sgpr74
	s_delay_alu instid0(VALU_DEP_4)
	v_add_co_u32 v5, vcc_lo, s16, v5
	v_add_co_ci_u32_e32 v6, vcc_lo, s17, v6, vcc_lo
	v_add_co_u32 v7, vcc_lo, s18, v7
	v_add_co_ci_u32_e32 v8, vcc_lo, s19, v8, vcc_lo
	s_branch .LBB53_16
.LBB53_14:                              ;   in Loop: Header=BB53_16 Depth=4
	s_or_b32 exec_lo, exec_lo, s10
	v_cmp_le_i32_e32 vcc_lo, v9, v10
	v_cmp_ge_i32_e64 s10, v9, v10
	v_add_co_ci_u32_e32 v17, vcc_lo, 0, v17, vcc_lo
	s_delay_alu instid0(VALU_DEP_2) | instskip(SKIP_1) | instid1(VALU_DEP_2)
	v_add_co_ci_u32_e64 v31, s10, 0, v31, s10
	s_and_not1_b32 s10, s74, exec_lo
	v_cmp_ge_i32_e32 vcc_lo, v17, v48
	s_and_b32 s74, vcc_lo, exec_lo
	s_delay_alu instid0(SALU_CYCLE_1)
	s_or_b32 s74, s10, s74
.LBB53_15:                              ;   in Loop: Header=BB53_16 Depth=4
	s_or_b32 exec_lo, exec_lo, s75
	s_delay_alu instid0(SALU_CYCLE_1) | instskip(NEXT) | instid1(SALU_CYCLE_1)
	s_and_b32 s10, exec_lo, s74
	s_or_b32 s73, s10, s73
	s_delay_alu instid0(SALU_CYCLE_1)
	s_and_not1_b32 exec_lo, exec_lo, s73
	s_cbranch_execz .LBB53_19
.LBB53_16:                              ;   Parent Loop BB53_3 Depth=1
                                        ;     Parent Loop BB53_7 Depth=2
                                        ;       Parent Loop BB53_12 Depth=3
                                        ; =>      This Inner Loop Header: Depth=4
	s_or_b32 s74, s74, exec_lo
	s_mov_b32 s75, exec_lo
	v_cmpx_lt_i32_e64 v31, v53
	s_cbranch_execz .LBB53_15
; %bb.17:                               ;   in Loop: Header=BB53_16 Depth=4
	v_mov_b32_e32 v32, v18
	v_lshlrev_b64 v[9:10], 2, v[17:18]
	s_mov_b32 s10, exec_lo
	s_delay_alu instid0(VALU_DEP_2) | instskip(NEXT) | instid1(VALU_DEP_2)
	v_lshlrev_b64 v[11:12], 2, v[31:32]
	v_add_co_u32 v9, vcc_lo, v49, v9
	s_delay_alu instid0(VALU_DEP_3) | instskip(NEXT) | instid1(VALU_DEP_3)
	v_add_co_ci_u32_e32 v10, vcc_lo, v50, v10, vcc_lo
	v_add_co_u32 v11, vcc_lo, v5, v11
	s_delay_alu instid0(VALU_DEP_4)
	v_add_co_ci_u32_e32 v12, vcc_lo, v6, v12, vcc_lo
	global_load_b32 v9, v[9:10], off
	global_load_b32 v10, v[11:12], off
	s_waitcnt vmcnt(1)
	v_subrev_nc_u32_e32 v9, s63, v9
	s_waitcnt vmcnt(0)
	v_subrev_nc_u32_e32 v10, s64, v10
	s_delay_alu instid0(VALU_DEP_1)
	v_cmpx_eq_u32_e64 v9, v10
	s_cbranch_execz .LBB53_14
; %bb.18:                               ;   in Loop: Header=BB53_16 Depth=4
	v_lshlrev_b64 v[11:12], 4, v[17:18]
	v_lshlrev_b64 v[13:14], 4, v[31:32]
	s_delay_alu instid0(VALU_DEP_2) | instskip(NEXT) | instid1(VALU_DEP_3)
	v_add_co_u32 v11, vcc_lo, v51, v11
	v_add_co_ci_u32_e32 v12, vcc_lo, v52, v12, vcc_lo
	s_delay_alu instid0(VALU_DEP_3) | instskip(NEXT) | instid1(VALU_DEP_4)
	v_add_co_u32 v15, vcc_lo, v7, v13
	v_add_co_ci_u32_e32 v16, vcc_lo, v8, v14, vcc_lo
	global_load_b128 v[11:14], v[11:12], off
	global_load_b128 v[32:35], v[15:16], off
	s_waitcnt vmcnt(0)
	v_fma_f64 v[15:16], v[11:12], v[32:33], v[25:26]
	v_fma_f64 v[27:28], v[13:14], v[32:33], v[27:28]
	s_delay_alu instid0(VALU_DEP_2) | instskip(NEXT) | instid1(VALU_DEP_2)
	v_fma_f64 v[25:26], -v[13:14], v[34:35], v[15:16]
	v_fma_f64 v[27:28], v[11:12], v[34:35], v[27:28]
	s_branch .LBB53_14
.LBB53_19:                              ;   in Loop: Header=BB53_12 Depth=3
	s_or_b32 exec_lo, exec_lo, s73
.LBB53_20:                              ;   in Loop: Header=BB53_12 Depth=3
	s_delay_alu instid0(SALU_CYCLE_1) | instskip(SKIP_3) | instid1(VALU_DEP_2)
	s_or_b32 exec_lo, exec_lo, s11
	v_lshlrev_b64 v[5:6], 4, v[20:21]
	v_cmp_le_i32_e64 s10, v19, v23
	s_mov_b32 s11, exec_lo
	v_add_co_u32 v5, vcc_lo, s42, v5
	s_delay_alu instid0(VALU_DEP_3)
	v_add_co_ci_u32_e32 v6, vcc_lo, s43, v6, vcc_lo
	global_load_b128 v[5:8], v[5:6], off
	s_waitcnt vmcnt(0)
	v_add_f64 v[9:10], v[5:6], -v[25:26]
	v_add_f64 v[11:12], v[7:8], -v[27:28]
	v_cmpx_gt_i32_e64 v19, v23
	s_cbranch_execz .LBB53_30
; %bb.21:                               ;   in Loop: Header=BB53_12 Depth=3
	v_lshlrev_b64 v[13:14], 4, v[23:24]
	s_mov_b32 s73, exec_lo
                                        ; implicit-def: $vgpr36_vgpr37
	s_delay_alu instid0(VALU_DEP_1) | instskip(NEXT) | instid1(VALU_DEP_2)
	v_add_co_u32 v13, vcc_lo, s48, v13
	v_add_co_ci_u32_e32 v14, vcc_lo, s49, v14, vcc_lo
	global_load_b128 v[13:16], v[13:14], off
	s_waitcnt vmcnt(0)
	v_cmp_gt_f64_e32 vcc_lo, 0, v[13:14]
	v_xor_b32_e32 v21, 0x80000000, v14
	v_mov_b32_e32 v32, v13
	v_xor_b32_e32 v30, 0x80000000, v16
	s_delay_alu instid0(VALU_DEP_3) | instskip(SKIP_1) | instid1(VALU_DEP_3)
	v_dual_mov_b32 v34, v15 :: v_dual_cndmask_b32 v33, v14, v21
	v_cmp_gt_f64_e32 vcc_lo, 0, v[15:16]
	v_cndmask_b32_e32 v35, v16, v30, vcc_lo
	s_delay_alu instid0(VALU_DEP_1)
	v_cmpx_ngt_f64_e32 v[32:33], v[34:35]
	s_xor_b32 s73, exec_lo, s73
	s_cbranch_execz .LBB53_25
; %bb.22:                               ;   in Loop: Header=BB53_12 Depth=3
	v_mov_b32_e32 v36, 0
	v_mov_b32_e32 v37, 0
	s_mov_b32 s74, exec_lo
	v_cmpx_neq_f64_e32 0, v[15:16]
	s_cbranch_execz .LBB53_24
; %bb.23:                               ;   in Loop: Header=BB53_12 Depth=3
	v_div_scale_f64 v[36:37], null, v[34:35], v[34:35], v[32:33]
	v_div_scale_f64 v[58:59], vcc_lo, v[32:33], v[34:35], v[32:33]
	s_delay_alu instid0(VALU_DEP_2) | instskip(SKIP_2) | instid1(VALU_DEP_1)
	v_rcp_f64_e32 v[54:55], v[36:37]
	s_waitcnt_depctr 0xfff
	v_fma_f64 v[56:57], -v[36:37], v[54:55], 1.0
	v_fma_f64 v[54:55], v[54:55], v[56:57], v[54:55]
	s_delay_alu instid0(VALU_DEP_1) | instskip(NEXT) | instid1(VALU_DEP_1)
	v_fma_f64 v[56:57], -v[36:37], v[54:55], 1.0
	v_fma_f64 v[54:55], v[54:55], v[56:57], v[54:55]
	s_delay_alu instid0(VALU_DEP_1) | instskip(NEXT) | instid1(VALU_DEP_1)
	v_mul_f64 v[56:57], v[58:59], v[54:55]
	v_fma_f64 v[36:37], -v[36:37], v[56:57], v[58:59]
	s_delay_alu instid0(VALU_DEP_1) | instskip(NEXT) | instid1(VALU_DEP_1)
	v_div_fmas_f64 v[36:37], v[36:37], v[54:55], v[56:57]
	v_div_fixup_f64 v[32:33], v[36:37], v[34:35], v[32:33]
	s_delay_alu instid0(VALU_DEP_1) | instskip(NEXT) | instid1(VALU_DEP_1)
	v_fma_f64 v[32:33], v[32:33], v[32:33], 1.0
	v_cmp_gt_f64_e32 vcc_lo, 0x10000000, v[32:33]
	v_cndmask_b32_e64 v21, 0, 1, vcc_lo
	s_delay_alu instid0(VALU_DEP_1) | instskip(NEXT) | instid1(VALU_DEP_1)
	v_lshlrev_b32_e32 v21, 8, v21
	v_ldexp_f64 v[32:33], v[32:33], v21
	v_cndmask_b32_e64 v21, 0, 0xffffff80, vcc_lo
	s_delay_alu instid0(VALU_DEP_2) | instskip(SKIP_4) | instid1(VALU_DEP_1)
	v_rsq_f64_e32 v[36:37], v[32:33]
	v_cmp_class_f64_e64 vcc_lo, v[32:33], 0x260
	s_waitcnt_depctr 0xfff
	v_mul_f64 v[54:55], v[32:33], v[36:37]
	v_mul_f64 v[36:37], v[36:37], 0.5
	v_fma_f64 v[56:57], -v[36:37], v[54:55], 0.5
	s_delay_alu instid0(VALU_DEP_1) | instskip(SKIP_1) | instid1(VALU_DEP_2)
	v_fma_f64 v[54:55], v[54:55], v[56:57], v[54:55]
	v_fma_f64 v[36:37], v[36:37], v[56:57], v[36:37]
	v_fma_f64 v[56:57], -v[54:55], v[54:55], v[32:33]
	s_delay_alu instid0(VALU_DEP_1) | instskip(NEXT) | instid1(VALU_DEP_1)
	v_fma_f64 v[54:55], v[56:57], v[36:37], v[54:55]
	v_fma_f64 v[56:57], -v[54:55], v[54:55], v[32:33]
	s_delay_alu instid0(VALU_DEP_1) | instskip(NEXT) | instid1(VALU_DEP_1)
	v_fma_f64 v[36:37], v[56:57], v[36:37], v[54:55]
	v_ldexp_f64 v[36:37], v[36:37], v21
	s_delay_alu instid0(VALU_DEP_1) | instskip(NEXT) | instid1(VALU_DEP_1)
	v_dual_cndmask_b32 v32, v36, v32 :: v_dual_cndmask_b32 v33, v37, v33
	v_mul_f64 v[36:37], v[34:35], v[32:33]
.LBB53_24:                              ;   in Loop: Header=BB53_12 Depth=3
	s_or_b32 exec_lo, exec_lo, s74
                                        ; implicit-def: $vgpr32_vgpr33
                                        ; implicit-def: $vgpr34_vgpr35
.LBB53_25:                              ;   in Loop: Header=BB53_12 Depth=3
	s_and_not1_saveexec_b32 s73, s73
	s_cbranch_execz .LBB53_27
; %bb.26:                               ;   in Loop: Header=BB53_12 Depth=3
	v_div_scale_f64 v[36:37], null, v[32:33], v[32:33], v[34:35]
	v_div_scale_f64 v[58:59], vcc_lo, v[34:35], v[32:33], v[34:35]
	s_delay_alu instid0(VALU_DEP_2) | instskip(SKIP_2) | instid1(VALU_DEP_1)
	v_rcp_f64_e32 v[54:55], v[36:37]
	s_waitcnt_depctr 0xfff
	v_fma_f64 v[56:57], -v[36:37], v[54:55], 1.0
	v_fma_f64 v[54:55], v[54:55], v[56:57], v[54:55]
	s_delay_alu instid0(VALU_DEP_1) | instskip(NEXT) | instid1(VALU_DEP_1)
	v_fma_f64 v[56:57], -v[36:37], v[54:55], 1.0
	v_fma_f64 v[54:55], v[54:55], v[56:57], v[54:55]
	s_delay_alu instid0(VALU_DEP_1) | instskip(NEXT) | instid1(VALU_DEP_1)
	v_mul_f64 v[56:57], v[58:59], v[54:55]
	v_fma_f64 v[36:37], -v[36:37], v[56:57], v[58:59]
	s_delay_alu instid0(VALU_DEP_1) | instskip(NEXT) | instid1(VALU_DEP_1)
	v_div_fmas_f64 v[36:37], v[36:37], v[54:55], v[56:57]
	v_div_fixup_f64 v[34:35], v[36:37], v[32:33], v[34:35]
	s_delay_alu instid0(VALU_DEP_1) | instskip(NEXT) | instid1(VALU_DEP_1)
	v_fma_f64 v[34:35], v[34:35], v[34:35], 1.0
	v_cmp_gt_f64_e32 vcc_lo, 0x10000000, v[34:35]
	v_cndmask_b32_e64 v21, 0, 1, vcc_lo
	s_delay_alu instid0(VALU_DEP_1) | instskip(NEXT) | instid1(VALU_DEP_1)
	v_lshlrev_b32_e32 v21, 8, v21
	v_ldexp_f64 v[34:35], v[34:35], v21
	v_cndmask_b32_e64 v21, 0, 0xffffff80, vcc_lo
	s_delay_alu instid0(VALU_DEP_2) | instskip(SKIP_4) | instid1(VALU_DEP_1)
	v_rsq_f64_e32 v[36:37], v[34:35]
	v_cmp_class_f64_e64 vcc_lo, v[34:35], 0x260
	s_waitcnt_depctr 0xfff
	v_mul_f64 v[54:55], v[34:35], v[36:37]
	v_mul_f64 v[36:37], v[36:37], 0.5
	v_fma_f64 v[56:57], -v[36:37], v[54:55], 0.5
	s_delay_alu instid0(VALU_DEP_1) | instskip(SKIP_1) | instid1(VALU_DEP_2)
	v_fma_f64 v[54:55], v[54:55], v[56:57], v[54:55]
	v_fma_f64 v[36:37], v[36:37], v[56:57], v[36:37]
	v_fma_f64 v[56:57], -v[54:55], v[54:55], v[34:35]
	s_delay_alu instid0(VALU_DEP_1) | instskip(NEXT) | instid1(VALU_DEP_1)
	v_fma_f64 v[54:55], v[56:57], v[36:37], v[54:55]
	v_fma_f64 v[56:57], -v[54:55], v[54:55], v[34:35]
	s_delay_alu instid0(VALU_DEP_1) | instskip(NEXT) | instid1(VALU_DEP_1)
	v_fma_f64 v[36:37], v[56:57], v[36:37], v[54:55]
	v_ldexp_f64 v[36:37], v[36:37], v21
	s_delay_alu instid0(VALU_DEP_1) | instskip(NEXT) | instid1(VALU_DEP_1)
	v_dual_cndmask_b32 v34, v36, v34 :: v_dual_cndmask_b32 v35, v37, v35
	v_mul_f64 v[36:37], v[32:33], v[34:35]
.LBB53_27:                              ;   in Loop: Header=BB53_12 Depth=3
	s_or_b32 exec_lo, exec_lo, s73
	v_mov_b32_e32 v32, 0
	v_mov_b32_e32 v33, 0
	s_mov_b32 s73, exec_lo
	s_delay_alu instid0(VALU_DEP_1) | instskip(NEXT) | instid1(VALU_DEP_4)
	v_dual_mov_b32 v35, v33 :: v_dual_mov_b32 v34, v32
	v_cmpx_lt_f64_e32 0, v[36:37]
	s_cbranch_execz .LBB53_29
; %bb.28:                               ;   in Loop: Header=BB53_12 Depth=3
	v_mul_f64 v[32:33], v[15:16], v[15:16]
	s_delay_alu instid0(VALU_DEP_1) | instskip(NEXT) | instid1(VALU_DEP_1)
	v_fma_f64 v[32:33], v[13:14], v[13:14], v[32:33]
	v_div_scale_f64 v[34:35], null, v[32:33], v[32:33], 1.0
	v_div_scale_f64 v[56:57], vcc_lo, 1.0, v[32:33], 1.0
	s_delay_alu instid0(VALU_DEP_2) | instskip(SKIP_2) | instid1(VALU_DEP_1)
	v_rcp_f64_e32 v[36:37], v[34:35]
	s_waitcnt_depctr 0xfff
	v_fma_f64 v[54:55], -v[34:35], v[36:37], 1.0
	v_fma_f64 v[36:37], v[36:37], v[54:55], v[36:37]
	s_delay_alu instid0(VALU_DEP_1) | instskip(NEXT) | instid1(VALU_DEP_1)
	v_fma_f64 v[54:55], -v[34:35], v[36:37], 1.0
	v_fma_f64 v[36:37], v[36:37], v[54:55], v[36:37]
	s_delay_alu instid0(VALU_DEP_1) | instskip(NEXT) | instid1(VALU_DEP_1)
	v_mul_f64 v[54:55], v[56:57], v[36:37]
	v_fma_f64 v[34:35], -v[34:35], v[54:55], v[56:57]
	v_mul_f64 v[56:57], v[11:12], v[15:16]
	v_mul_f64 v[15:16], v[15:16], -v[9:10]
	s_delay_alu instid0(VALU_DEP_3) | instskip(NEXT) | instid1(VALU_DEP_3)
	v_div_fmas_f64 v[34:35], v[34:35], v[36:37], v[54:55]
	v_fma_f64 v[9:10], v[9:10], v[13:14], v[56:57]
	s_delay_alu instid0(VALU_DEP_3) | instskip(NEXT) | instid1(VALU_DEP_3)
	v_fma_f64 v[11:12], v[11:12], v[13:14], v[15:16]
	v_div_fixup_f64 v[32:33], v[34:35], v[32:33], 1.0
	s_delay_alu instid0(VALU_DEP_1) | instskip(NEXT) | instid1(VALU_DEP_3)
	v_mul_f64 v[34:35], v[9:10], v[32:33]
	v_mul_f64 v[32:33], v[11:12], v[32:33]
.LBB53_29:                              ;   in Loop: Header=BB53_12 Depth=3
	s_or_b32 exec_lo, exec_lo, s73
	s_delay_alu instid0(VALU_DEP_1) | instskip(NEXT) | instid1(VALU_DEP_3)
	v_dual_mov_b32 v11, v32 :: v_dual_mov_b32 v12, v33
	v_dual_mov_b32 v9, v34 :: v_dual_mov_b32 v10, v35
.LBB53_30:                              ;   in Loop: Header=BB53_12 Depth=3
	s_or_b32 exec_lo, exec_lo, s11
	s_delay_alu instid0(VALU_DEP_1) | instskip(NEXT) | instid1(VALU_DEP_3)
	v_cmp_gt_f64_e32 vcc_lo, 0, v[9:10]
	v_cmp_gt_f64_e64 s11, 0, v[11:12]
	v_xor_b32_e32 v13, 0x80000000, v10
	v_xor_b32_e32 v15, 0x80000000, v12
                                        ; implicit-def: $vgpr32_vgpr33
	s_delay_alu instid0(VALU_DEP_2) | instskip(NEXT) | instid1(VALU_DEP_2)
	v_cndmask_b32_e32 v14, v10, v13, vcc_lo
	v_cndmask_b32_e64 v16, v12, v15, s11
	v_cndmask_b32_e32 v13, v9, v9, vcc_lo
	v_cndmask_b32_e64 v15, v11, v11, s11
	s_mov_b32 s11, exec_lo
	s_delay_alu instid0(VALU_DEP_1)
	v_cmpx_ngt_f64_e32 v[13:14], v[15:16]
	s_xor_b32 s11, exec_lo, s11
	s_cbranch_execnz .LBB53_34
; %bb.31:                               ;   in Loop: Header=BB53_12 Depth=3
	s_and_not1_saveexec_b32 s11, s11
	s_cbranch_execnz .LBB53_37
.LBB53_32:                              ;   in Loop: Header=BB53_12 Depth=3
	s_or_b32 exec_lo, exec_lo, s11
	s_delay_alu instid0(VALU_DEP_1) | instskip(NEXT) | instid1(VALU_DEP_1)
	v_cmp_class_f64_e64 s11, v[32:33], 0x1f8
	s_and_saveexec_b32 s73, s11
	s_cbranch_execnz .LBB53_38
.LBB53_33:                              ;   in Loop: Header=BB53_12 Depth=3
	s_or_b32 exec_lo, exec_lo, s73
	s_and_b32 s10, s11, s33
	s_delay_alu instid0(SALU_CYCLE_1)
	s_and_saveexec_b32 s11, s10
	s_cbranch_execz .LBB53_11
	s_branch .LBB53_79
.LBB53_34:                              ;   in Loop: Header=BB53_12 Depth=3
	v_mov_b32_e32 v32, 0
	v_mov_b32_e32 v33, 0
	s_mov_b32 s73, exec_lo
	v_cmpx_neq_f64_e32 0, v[11:12]
	s_cbranch_execz .LBB53_36
; %bb.35:                               ;   in Loop: Header=BB53_12 Depth=3
	v_div_scale_f64 v[32:33], null, v[15:16], v[15:16], v[13:14]
	v_div_scale_f64 v[54:55], vcc_lo, v[13:14], v[15:16], v[13:14]
	s_delay_alu instid0(VALU_DEP_2) | instskip(SKIP_2) | instid1(VALU_DEP_1)
	v_rcp_f64_e32 v[34:35], v[32:33]
	s_waitcnt_depctr 0xfff
	v_fma_f64 v[36:37], -v[32:33], v[34:35], 1.0
	v_fma_f64 v[34:35], v[34:35], v[36:37], v[34:35]
	s_delay_alu instid0(VALU_DEP_1) | instskip(NEXT) | instid1(VALU_DEP_1)
	v_fma_f64 v[36:37], -v[32:33], v[34:35], 1.0
	v_fma_f64 v[34:35], v[34:35], v[36:37], v[34:35]
	s_delay_alu instid0(VALU_DEP_1) | instskip(NEXT) | instid1(VALU_DEP_1)
	v_mul_f64 v[36:37], v[54:55], v[34:35]
	v_fma_f64 v[32:33], -v[32:33], v[36:37], v[54:55]
	s_delay_alu instid0(VALU_DEP_1) | instskip(NEXT) | instid1(VALU_DEP_1)
	v_div_fmas_f64 v[32:33], v[32:33], v[34:35], v[36:37]
	v_div_fixup_f64 v[13:14], v[32:33], v[15:16], v[13:14]
	s_delay_alu instid0(VALU_DEP_1) | instskip(NEXT) | instid1(VALU_DEP_1)
	v_fma_f64 v[13:14], v[13:14], v[13:14], 1.0
	v_cmp_gt_f64_e32 vcc_lo, 0x10000000, v[13:14]
	v_cndmask_b32_e64 v21, 0, 1, vcc_lo
	s_delay_alu instid0(VALU_DEP_1) | instskip(NEXT) | instid1(VALU_DEP_1)
	v_lshlrev_b32_e32 v21, 8, v21
	v_ldexp_f64 v[13:14], v[13:14], v21
	v_cndmask_b32_e64 v21, 0, 0xffffff80, vcc_lo
	s_delay_alu instid0(VALU_DEP_2) | instskip(SKIP_4) | instid1(VALU_DEP_1)
	v_rsq_f64_e32 v[32:33], v[13:14]
	v_cmp_class_f64_e64 vcc_lo, v[13:14], 0x260
	s_waitcnt_depctr 0xfff
	v_mul_f64 v[34:35], v[13:14], v[32:33]
	v_mul_f64 v[32:33], v[32:33], 0.5
	v_fma_f64 v[36:37], -v[32:33], v[34:35], 0.5
	s_delay_alu instid0(VALU_DEP_1) | instskip(SKIP_1) | instid1(VALU_DEP_2)
	v_fma_f64 v[34:35], v[34:35], v[36:37], v[34:35]
	v_fma_f64 v[32:33], v[32:33], v[36:37], v[32:33]
	v_fma_f64 v[36:37], -v[34:35], v[34:35], v[13:14]
	s_delay_alu instid0(VALU_DEP_1) | instskip(NEXT) | instid1(VALU_DEP_1)
	v_fma_f64 v[34:35], v[36:37], v[32:33], v[34:35]
	v_fma_f64 v[36:37], -v[34:35], v[34:35], v[13:14]
	s_delay_alu instid0(VALU_DEP_1) | instskip(NEXT) | instid1(VALU_DEP_1)
	v_fma_f64 v[32:33], v[36:37], v[32:33], v[34:35]
	v_ldexp_f64 v[32:33], v[32:33], v21
	s_delay_alu instid0(VALU_DEP_1) | instskip(NEXT) | instid1(VALU_DEP_1)
	v_dual_cndmask_b32 v14, v33, v14 :: v_dual_cndmask_b32 v13, v32, v13
	v_mul_f64 v[32:33], v[15:16], v[13:14]
.LBB53_36:                              ;   in Loop: Header=BB53_12 Depth=3
	s_or_b32 exec_lo, exec_lo, s73
                                        ; implicit-def: $vgpr13_vgpr14
                                        ; implicit-def: $vgpr15_vgpr16
	s_and_not1_saveexec_b32 s11, s11
	s_cbranch_execz .LBB53_32
.LBB53_37:                              ;   in Loop: Header=BB53_12 Depth=3
	v_div_scale_f64 v[32:33], null, v[13:14], v[13:14], v[15:16]
	v_div_scale_f64 v[54:55], vcc_lo, v[15:16], v[13:14], v[15:16]
	s_delay_alu instid0(VALU_DEP_2) | instskip(SKIP_2) | instid1(VALU_DEP_1)
	v_rcp_f64_e32 v[34:35], v[32:33]
	s_waitcnt_depctr 0xfff
	v_fma_f64 v[36:37], -v[32:33], v[34:35], 1.0
	v_fma_f64 v[34:35], v[34:35], v[36:37], v[34:35]
	s_delay_alu instid0(VALU_DEP_1) | instskip(NEXT) | instid1(VALU_DEP_1)
	v_fma_f64 v[36:37], -v[32:33], v[34:35], 1.0
	v_fma_f64 v[34:35], v[34:35], v[36:37], v[34:35]
	s_delay_alu instid0(VALU_DEP_1) | instskip(NEXT) | instid1(VALU_DEP_1)
	v_mul_f64 v[36:37], v[54:55], v[34:35]
	v_fma_f64 v[32:33], -v[32:33], v[36:37], v[54:55]
	s_delay_alu instid0(VALU_DEP_1) | instskip(NEXT) | instid1(VALU_DEP_1)
	v_div_fmas_f64 v[32:33], v[32:33], v[34:35], v[36:37]
	v_div_fixup_f64 v[15:16], v[32:33], v[13:14], v[15:16]
	s_delay_alu instid0(VALU_DEP_1) | instskip(NEXT) | instid1(VALU_DEP_1)
	v_fma_f64 v[15:16], v[15:16], v[15:16], 1.0
	v_cmp_gt_f64_e32 vcc_lo, 0x10000000, v[15:16]
	v_cndmask_b32_e64 v21, 0, 1, vcc_lo
	s_delay_alu instid0(VALU_DEP_1) | instskip(NEXT) | instid1(VALU_DEP_1)
	v_lshlrev_b32_e32 v21, 8, v21
	v_ldexp_f64 v[15:16], v[15:16], v21
	v_cndmask_b32_e64 v21, 0, 0xffffff80, vcc_lo
	s_delay_alu instid0(VALU_DEP_2) | instskip(SKIP_4) | instid1(VALU_DEP_1)
	v_rsq_f64_e32 v[32:33], v[15:16]
	v_cmp_class_f64_e64 vcc_lo, v[15:16], 0x260
	s_waitcnt_depctr 0xfff
	v_mul_f64 v[34:35], v[15:16], v[32:33]
	v_mul_f64 v[32:33], v[32:33], 0.5
	v_fma_f64 v[36:37], -v[32:33], v[34:35], 0.5
	s_delay_alu instid0(VALU_DEP_1) | instskip(SKIP_1) | instid1(VALU_DEP_2)
	v_fma_f64 v[34:35], v[34:35], v[36:37], v[34:35]
	v_fma_f64 v[32:33], v[32:33], v[36:37], v[32:33]
	v_fma_f64 v[36:37], -v[34:35], v[34:35], v[15:16]
	s_delay_alu instid0(VALU_DEP_1) | instskip(NEXT) | instid1(VALU_DEP_1)
	v_fma_f64 v[34:35], v[36:37], v[32:33], v[34:35]
	v_fma_f64 v[36:37], -v[34:35], v[34:35], v[15:16]
	s_delay_alu instid0(VALU_DEP_1) | instskip(NEXT) | instid1(VALU_DEP_1)
	v_fma_f64 v[32:33], v[36:37], v[32:33], v[34:35]
	v_ldexp_f64 v[32:33], v[32:33], v21
	s_delay_alu instid0(VALU_DEP_1) | instskip(NEXT) | instid1(VALU_DEP_1)
	v_dual_cndmask_b32 v16, v33, v16 :: v_dual_cndmask_b32 v15, v32, v15
	v_mul_f64 v[32:33], v[13:14], v[15:16]
	s_or_b32 exec_lo, exec_lo, s11
	s_delay_alu instid0(VALU_DEP_1) | instskip(NEXT) | instid1(VALU_DEP_1)
	v_cmp_class_f64_e64 s11, v[32:33], 0x1f8
	s_and_saveexec_b32 s73, s11
	s_cbranch_execz .LBB53_33
.LBB53_38:                              ;   in Loop: Header=BB53_12 Depth=3
	s_and_saveexec_b32 s74, s10
	s_delay_alu instid0(SALU_CYCLE_1)
	s_xor_b32 s74, exec_lo, s74
	s_cbranch_execz .LBB53_63
; %bb.39:                               ;   in Loop: Header=BB53_12 Depth=3
	s_mov_b32 s10, exec_lo
	v_cmpx_ge_i32_e64 v19, v23
	s_xor_b32 s75, exec_lo, s10
	s_cbranch_execz .LBB53_47
; %bb.40:                               ;   in Loop: Header=BB53_12 Depth=3
	v_lshlrev_b64 v[13:14], 4, v[23:24]
	s_delay_alu instid0(VALU_DEP_1) | instskip(NEXT) | instid1(VALU_DEP_2)
	v_add_co_u32 v15, vcc_lo, s50, v13
	v_add_co_ci_u32_e32 v16, vcc_lo, s51, v14, vcc_lo
	s_and_not1_b32 vcc_lo, exec_lo, s58
	global_store_b128 v[15:16], v[9:12], off
	s_cbranch_vccnz .LBB53_46
; %bb.41:                               ;   in Loop: Header=BB53_12 Depth=3
	v_add_co_u32 v13, vcc_lo, s48, v13
	v_add_co_ci_u32_e32 v14, vcc_lo, s49, v14, vcc_lo
	global_load_b128 v[13:16], v[13:14], off
	s_waitcnt vmcnt(0)
	v_add_f64 v[9:10], v[13:14], -v[9:10]
	v_add_f64 v[15:16], v[15:16], -v[11:12]
                                        ; implicit-def: $vgpr13_vgpr14
	s_delay_alu instid0(VALU_DEP_2) | instskip(NEXT) | instid1(VALU_DEP_2)
	v_cmp_gt_f64_e32 vcc_lo, 0, v[9:10]
	v_cmp_gt_f64_e64 s10, 0, v[15:16]
	v_xor_b32_e32 v11, 0x80000000, v10
	v_xor_b32_e32 v12, 0x80000000, v16
	s_delay_alu instid0(VALU_DEP_2) | instskip(NEXT) | instid1(VALU_DEP_2)
	v_dual_cndmask_b32 v10, v10, v11 :: v_dual_cndmask_b32 v9, v9, v9
	v_cndmask_b32_e64 v12, v16, v12, s10
	v_cndmask_b32_e64 v11, v15, v15, s10
	s_mov_b32 s10, exec_lo
	s_delay_alu instid0(VALU_DEP_1)
	v_cmpx_ngt_f64_e32 v[9:10], v[11:12]
	s_xor_b32 s10, exec_lo, s10
	s_cbranch_execnz .LBB53_107
; %bb.42:                               ;   in Loop: Header=BB53_12 Depth=3
	s_and_not1_saveexec_b32 s10, s10
	s_cbranch_execnz .LBB53_110
.LBB53_43:                              ;   in Loop: Header=BB53_12 Depth=3
	s_or_b32 exec_lo, exec_lo, s10
	s_delay_alu instid0(VALU_DEP_1) | instskip(NEXT) | instid1(VALU_DEP_1)
	v_cmp_class_f64_e64 s76, v[13:14], 0x1f8
	s_and_saveexec_b32 s10, s76
.LBB53_44:                              ;   in Loop: Header=BB53_12 Depth=3
	v_cmp_lt_f64_e32 vcc_lo, v[3:4], v[13:14]
	v_dual_cndmask_b32 v4, v4, v14 :: v_dual_cndmask_b32 v3, v3, v13
.LBB53_45:                              ;   in Loop: Header=BB53_12 Depth=3
	s_or_b32 exec_lo, exec_lo, s10
.LBB53_46:                              ;   in Loop: Header=BB53_12 Depth=3
                                        ; implicit-def: $vgpr9_vgpr10
.LBB53_47:                              ;   in Loop: Header=BB53_12 Depth=3
	s_and_not1_saveexec_b32 s75, s75
	s_cbranch_execz .LBB53_62
; %bb.48:                               ;   in Loop: Header=BB53_12 Depth=3
	s_mov_b32 s76, exec_lo
	v_cmpx_lt_i32_e64 v31, v53
	s_cbranch_execz .LBB53_61
; %bb.49:                               ;   in Loop: Header=BB53_12 Depth=3
	v_mov_b32_e32 v15, v31
	s_mov_b32 s10, 0
                                        ; implicit-def: $sgpr77
                                        ; implicit-def: $sgpr79
                                        ; implicit-def: $sgpr78
	s_set_inst_prefetch_distance 0x1
	s_branch .LBB53_51
	.p2align	6
.LBB53_50:                              ;   in Loop: Header=BB53_51 Depth=4
	s_or_b32 exec_lo, exec_lo, s80
	s_delay_alu instid0(SALU_CYCLE_1) | instskip(NEXT) | instid1(SALU_CYCLE_1)
	s_and_b32 s80, exec_lo, s79
	s_or_b32 s10, s80, s10
	s_and_not1_b32 s77, s77, exec_lo
	s_and_b32 s80, s78, exec_lo
	s_delay_alu instid0(SALU_CYCLE_1)
	s_or_b32 s77, s77, s80
	s_and_not1_b32 exec_lo, exec_lo, s10
	s_cbranch_execz .LBB53_53
.LBB53_51:                              ;   Parent Loop BB53_3 Depth=1
                                        ;     Parent Loop BB53_7 Depth=2
                                        ;       Parent Loop BB53_12 Depth=3
                                        ; =>      This Inner Loop Header: Depth=4
	s_delay_alu instid0(VALU_DEP_1) | instskip(SKIP_3) | instid1(VALU_DEP_1)
	v_add_nc_u32_e32 v13, v29, v15
	s_or_b32 s78, s78, exec_lo
	s_or_b32 s79, s79, exec_lo
	s_mov_b32 s80, exec_lo
	v_ashrrev_i32_e32 v14, 31, v13
	s_delay_alu instid0(VALU_DEP_1) | instskip(NEXT) | instid1(VALU_DEP_1)
	v_lshlrev_b64 v[32:33], 2, v[13:14]
	v_add_co_u32 v32, vcc_lo, s16, v32
	s_delay_alu instid0(VALU_DEP_2) | instskip(SKIP_3) | instid1(VALU_DEP_1)
	v_add_co_ci_u32_e32 v33, vcc_lo, s17, v33, vcc_lo
	global_load_b32 v16, v[32:33], off
	s_waitcnt vmcnt(0)
	v_subrev_nc_u32_e32 v16, s64, v16
	v_cmpx_ne_u32_e64 v16, v19
	s_cbranch_execz .LBB53_50
; %bb.52:                               ;   in Loop: Header=BB53_51 Depth=4
	v_add_nc_u32_e32 v15, 1, v15
	s_and_not1_b32 s79, s79, exec_lo
	s_and_not1_b32 s78, s78, exec_lo
	s_delay_alu instid0(VALU_DEP_1) | instskip(SKIP_1) | instid1(SALU_CYCLE_1)
	v_cmp_ge_i32_e32 vcc_lo, v15, v53
	s_and_b32 s81, vcc_lo, exec_lo
	s_or_b32 s79, s79, s81
	s_branch .LBB53_50
.LBB53_53:                              ;   in Loop: Header=BB53_12 Depth=3
	s_set_inst_prefetch_distance 0x2
	s_or_b32 exec_lo, exec_lo, s10
	s_and_saveexec_b32 s10, s77
	s_delay_alu instid0(SALU_CYCLE_1)
	s_xor_b32 s77, exec_lo, s10
	s_cbranch_execz .LBB53_60
; %bb.54:                               ;   in Loop: Header=BB53_12 Depth=3
	v_lshlrev_b64 v[13:14], 4, v[13:14]
	s_delay_alu instid0(VALU_DEP_1) | instskip(NEXT) | instid1(VALU_DEP_2)
	v_add_co_u32 v15, vcc_lo, s52, v13
	v_add_co_ci_u32_e32 v16, vcc_lo, s53, v14, vcc_lo
	s_and_not1_b32 vcc_lo, exec_lo, s58
	global_store_b128 v[15:16], v[9:12], off
	s_cbranch_vccnz .LBB53_60
; %bb.55:                               ;   in Loop: Header=BB53_12 Depth=3
	v_add_co_u32 v13, vcc_lo, s18, v13
	v_add_co_ci_u32_e32 v14, vcc_lo, s19, v14, vcc_lo
	global_load_b128 v[13:16], v[13:14], off
	s_waitcnt vmcnt(0)
	v_add_f64 v[9:10], v[13:14], -v[9:10]
	v_add_f64 v[15:16], v[15:16], -v[11:12]
                                        ; implicit-def: $vgpr13_vgpr14
	s_delay_alu instid0(VALU_DEP_2) | instskip(NEXT) | instid1(VALU_DEP_2)
	v_cmp_gt_f64_e32 vcc_lo, 0, v[9:10]
	v_cmp_gt_f64_e64 s10, 0, v[15:16]
	v_xor_b32_e32 v11, 0x80000000, v10
	v_xor_b32_e32 v12, 0x80000000, v16
	s_delay_alu instid0(VALU_DEP_2) | instskip(NEXT) | instid1(VALU_DEP_2)
	v_dual_cndmask_b32 v10, v10, v11 :: v_dual_cndmask_b32 v9, v9, v9
	v_cndmask_b32_e64 v12, v16, v12, s10
	v_cndmask_b32_e64 v11, v15, v15, s10
	s_mov_b32 s10, exec_lo
	s_delay_alu instid0(VALU_DEP_1)
	v_cmpx_ngt_f64_e32 v[9:10], v[11:12]
	s_xor_b32 s10, exec_lo, s10
	s_cbranch_execnz .LBB53_115
; %bb.56:                               ;   in Loop: Header=BB53_12 Depth=3
	s_and_not1_saveexec_b32 s10, s10
	s_cbranch_execnz .LBB53_118
.LBB53_57:                              ;   in Loop: Header=BB53_12 Depth=3
	s_or_b32 exec_lo, exec_lo, s10
	s_delay_alu instid0(VALU_DEP_1) | instskip(NEXT) | instid1(VALU_DEP_1)
	v_cmp_class_f64_e64 s78, v[13:14], 0x1f8
	s_and_saveexec_b32 s10, s78
.LBB53_58:                              ;   in Loop: Header=BB53_12 Depth=3
	v_cmp_lt_f64_e32 vcc_lo, v[3:4], v[13:14]
	v_dual_cndmask_b32 v4, v4, v14 :: v_dual_cndmask_b32 v3, v3, v13
.LBB53_59:                              ;   in Loop: Header=BB53_12 Depth=3
	s_or_b32 exec_lo, exec_lo, s10
.LBB53_60:                              ;   in Loop: Header=BB53_12 Depth=3
	s_delay_alu instid0(SALU_CYCLE_1)
	s_or_b32 exec_lo, exec_lo, s77
.LBB53_61:                              ;   in Loop: Header=BB53_12 Depth=3
	s_delay_alu instid0(SALU_CYCLE_1)
	s_or_b32 exec_lo, exec_lo, s76
.LBB53_62:                              ;   in Loop: Header=BB53_12 Depth=3
	s_delay_alu instid0(SALU_CYCLE_1)
	s_or_b32 exec_lo, exec_lo, s75
                                        ; implicit-def: $vgpr9_vgpr10
.LBB53_63:                              ;   in Loop: Header=BB53_12 Depth=3
	s_and_not1_saveexec_b32 s74, s74
	s_cbranch_execz .LBB53_78
; %bb.64:                               ;   in Loop: Header=BB53_12 Depth=3
	s_mov_b32 s75, exec_lo
	v_cmpx_lt_i32_e64 v17, v48
	s_cbranch_execz .LBB53_77
; %bb.65:                               ;   in Loop: Header=BB53_12 Depth=3
	v_mov_b32_e32 v15, v17
	s_mov_b32 s10, 0
                                        ; implicit-def: $sgpr76
                                        ; implicit-def: $sgpr78
                                        ; implicit-def: $sgpr77
	s_set_inst_prefetch_distance 0x1
	s_branch .LBB53_67
	.p2align	6
.LBB53_66:                              ;   in Loop: Header=BB53_67 Depth=4
	s_or_b32 exec_lo, exec_lo, s79
	s_delay_alu instid0(SALU_CYCLE_1) | instskip(NEXT) | instid1(SALU_CYCLE_1)
	s_and_b32 s79, exec_lo, s78
	s_or_b32 s10, s79, s10
	s_and_not1_b32 s76, s76, exec_lo
	s_and_b32 s79, s77, exec_lo
	s_delay_alu instid0(SALU_CYCLE_1)
	s_or_b32 s76, s76, s79
	s_and_not1_b32 exec_lo, exec_lo, s10
	s_cbranch_execz .LBB53_69
.LBB53_67:                              ;   Parent Loop BB53_3 Depth=1
                                        ;     Parent Loop BB53_7 Depth=2
                                        ;       Parent Loop BB53_12 Depth=3
                                        ; =>      This Inner Loop Header: Depth=4
	s_delay_alu instid0(VALU_DEP_1) | instskip(SKIP_3) | instid1(VALU_DEP_1)
	v_add_nc_u32_e32 v13, v22, v15
	s_or_b32 s77, s77, exec_lo
	s_or_b32 s78, s78, exec_lo
	s_mov_b32 s79, exec_lo
	v_ashrrev_i32_e32 v14, 31, v13
	s_delay_alu instid0(VALU_DEP_1) | instskip(NEXT) | instid1(VALU_DEP_1)
	v_lshlrev_b64 v[32:33], 2, v[13:14]
	v_add_co_u32 v32, vcc_lo, s24, v32
	s_delay_alu instid0(VALU_DEP_2) | instskip(SKIP_3) | instid1(VALU_DEP_1)
	v_add_co_ci_u32_e32 v33, vcc_lo, s25, v33, vcc_lo
	global_load_b32 v16, v[32:33], off
	s_waitcnt vmcnt(0)
	v_subrev_nc_u32_e32 v16, s63, v16
	v_cmpx_ne_u32_e64 v16, v23
	s_cbranch_execz .LBB53_66
; %bb.68:                               ;   in Loop: Header=BB53_67 Depth=4
	v_add_nc_u32_e32 v15, 1, v15
	s_and_not1_b32 s78, s78, exec_lo
	s_and_not1_b32 s77, s77, exec_lo
	s_delay_alu instid0(VALU_DEP_1) | instskip(SKIP_1) | instid1(SALU_CYCLE_1)
	v_cmp_ge_i32_e32 vcc_lo, v15, v48
	s_and_b32 s80, vcc_lo, exec_lo
	s_or_b32 s78, s78, s80
	s_branch .LBB53_66
.LBB53_69:                              ;   in Loop: Header=BB53_12 Depth=3
	s_set_inst_prefetch_distance 0x2
	s_or_b32 exec_lo, exec_lo, s10
	s_and_saveexec_b32 s10, s76
	s_delay_alu instid0(SALU_CYCLE_1)
	s_xor_b32 s76, exec_lo, s10
	s_cbranch_execz .LBB53_76
; %bb.70:                               ;   in Loop: Header=BB53_12 Depth=3
	v_lshlrev_b64 v[13:14], 4, v[13:14]
	s_delay_alu instid0(VALU_DEP_1) | instskip(NEXT) | instid1(VALU_DEP_2)
	v_add_co_u32 v15, vcc_lo, s54, v13
	v_add_co_ci_u32_e32 v16, vcc_lo, s55, v14, vcc_lo
	s_and_not1_b32 vcc_lo, exec_lo, s58
	global_store_b128 v[15:16], v[9:12], off
	s_cbranch_vccnz .LBB53_76
; %bb.71:                               ;   in Loop: Header=BB53_12 Depth=3
	v_add_co_u32 v13, vcc_lo, s26, v13
	v_add_co_ci_u32_e32 v14, vcc_lo, s27, v14, vcc_lo
	global_load_b128 v[13:16], v[13:14], off
	s_waitcnt vmcnt(0)
	v_add_f64 v[9:10], v[13:14], -v[9:10]
	v_add_f64 v[15:16], v[15:16], -v[11:12]
                                        ; implicit-def: $vgpr13_vgpr14
	s_delay_alu instid0(VALU_DEP_2) | instskip(NEXT) | instid1(VALU_DEP_2)
	v_cmp_gt_f64_e32 vcc_lo, 0, v[9:10]
	v_cmp_gt_f64_e64 s10, 0, v[15:16]
	v_xor_b32_e32 v11, 0x80000000, v10
	v_xor_b32_e32 v12, 0x80000000, v16
	s_delay_alu instid0(VALU_DEP_2) | instskip(NEXT) | instid1(VALU_DEP_2)
	v_dual_cndmask_b32 v10, v10, v11 :: v_dual_cndmask_b32 v9, v9, v9
	v_cndmask_b32_e64 v12, v16, v12, s10
	v_cndmask_b32_e64 v11, v15, v15, s10
	s_mov_b32 s10, exec_lo
	s_delay_alu instid0(VALU_DEP_1)
	v_cmpx_ngt_f64_e32 v[9:10], v[11:12]
	s_xor_b32 s10, exec_lo, s10
	s_cbranch_execnz .LBB53_111
; %bb.72:                               ;   in Loop: Header=BB53_12 Depth=3
	s_and_not1_saveexec_b32 s10, s10
	s_cbranch_execnz .LBB53_114
.LBB53_73:                              ;   in Loop: Header=BB53_12 Depth=3
	s_or_b32 exec_lo, exec_lo, s10
	s_delay_alu instid0(VALU_DEP_1) | instskip(NEXT) | instid1(VALU_DEP_1)
	v_cmp_class_f64_e64 s77, v[13:14], 0x1f8
	s_and_saveexec_b32 s10, s77
.LBB53_74:                              ;   in Loop: Header=BB53_12 Depth=3
	v_cmp_lt_f64_e32 vcc_lo, v[3:4], v[13:14]
	v_dual_cndmask_b32 v4, v4, v14 :: v_dual_cndmask_b32 v3, v3, v13
.LBB53_75:                              ;   in Loop: Header=BB53_12 Depth=3
	s_or_b32 exec_lo, exec_lo, s10
.LBB53_76:                              ;   in Loop: Header=BB53_12 Depth=3
	s_delay_alu instid0(SALU_CYCLE_1)
	s_or_b32 exec_lo, exec_lo, s76
.LBB53_77:                              ;   in Loop: Header=BB53_12 Depth=3
	s_delay_alu instid0(SALU_CYCLE_1)
	s_or_b32 exec_lo, exec_lo, s75
.LBB53_78:                              ;   in Loop: Header=BB53_12 Depth=3
	s_delay_alu instid0(SALU_CYCLE_1) | instskip(NEXT) | instid1(SALU_CYCLE_1)
	s_or_b32 exec_lo, exec_lo, s74
	s_or_b32 exec_lo, exec_lo, s73
	s_and_b32 s10, s11, s33
	s_delay_alu instid0(SALU_CYCLE_1)
	s_and_saveexec_b32 s11, s10
	s_cbranch_execz .LBB53_11
.LBB53_79:                              ;   in Loop: Header=BB53_12 Depth=3
	s_mov_b32 s10, exec_lo
	v_cmpx_ge_i32_e64 v31, v53
	s_xor_b32 s10, exec_lo, s10
	s_cbranch_execnz .LBB53_86
; %bb.80:                               ;   in Loop: Header=BB53_12 Depth=3
	s_and_not1_saveexec_b32 s10, s10
	s_cbranch_execnz .LBB53_100
.LBB53_81:                              ;   in Loop: Header=BB53_12 Depth=3
	s_or_b32 exec_lo, exec_lo, s10
	s_delay_alu instid0(SALU_CYCLE_1)
	s_mov_b32 s10, exec_lo
	v_cmpx_eq_u32_e64 v19, v23
	s_cbranch_execz .LBB53_83
.LBB53_82:                              ;   in Loop: Header=BB53_12 Depth=3
	v_lshlrev_b64 v[9:10], 4, v[23:24]
	s_delay_alu instid0(VALU_DEP_1) | instskip(NEXT) | instid1(VALU_DEP_2)
	v_add_co_u32 v9, vcc_lo, s48, v9
	v_add_co_ci_u32_e32 v10, vcc_lo, s49, v10, vcc_lo
	global_load_b128 v[9:12], v[9:10], off
	s_waitcnt vmcnt(0)
	v_add_f64 v[25:26], v[25:26], v[9:10]
	v_add_f64 v[27:28], v[27:28], v[11:12]
.LBB53_83:                              ;   in Loop: Header=BB53_12 Depth=3
	s_or_b32 exec_lo, exec_lo, s10
	s_delay_alu instid0(VALU_DEP_2) | instskip(NEXT) | instid1(VALU_DEP_2)
	v_add_f64 v[5:6], v[5:6], -v[25:26]
	v_add_f64 v[11:12], v[7:8], -v[27:28]
                                        ; implicit-def: $vgpr9_vgpr10
	s_delay_alu instid0(VALU_DEP_2) | instskip(NEXT) | instid1(VALU_DEP_2)
	v_cmp_gt_f64_e32 vcc_lo, 0, v[5:6]
	v_cmp_gt_f64_e64 s10, 0, v[11:12]
	v_xor_b32_e32 v7, 0x80000000, v6
	v_xor_b32_e32 v8, 0x80000000, v12
	s_delay_alu instid0(VALU_DEP_2) | instskip(NEXT) | instid1(VALU_DEP_2)
	v_dual_cndmask_b32 v6, v6, v7 :: v_dual_cndmask_b32 v5, v5, v5
	v_cndmask_b32_e64 v8, v12, v8, s10
	v_cndmask_b32_e64 v7, v11, v11, s10
	s_mov_b32 s10, exec_lo
	s_delay_alu instid0(VALU_DEP_1)
	v_cmpx_ngt_f64_e32 v[5:6], v[7:8]
	s_xor_b32 s10, exec_lo, s10
	s_cbranch_execnz .LBB53_91
; %bb.84:                               ;   in Loop: Header=BB53_12 Depth=3
	s_and_not1_saveexec_b32 s10, s10
	s_cbranch_execnz .LBB53_94
.LBB53_85:                              ;   in Loop: Header=BB53_12 Depth=3
	s_or_b32 exec_lo, exec_lo, s10
	s_delay_alu instid0(VALU_DEP_1) | instskip(NEXT) | instid1(VALU_DEP_1)
	v_cmp_class_f64_e64 s73, v[9:10], 0x1f8
	s_and_saveexec_b32 s10, s73
	s_cbranch_execz .LBB53_10
	s_branch .LBB53_95
.LBB53_86:                              ;   in Loop: Header=BB53_12 Depth=3
	s_mov_b32 s73, exec_lo
	v_cmpx_lt_i32_e64 v17, v48
	s_cbranch_execz .LBB53_99
; %bb.87:                               ;   in Loop: Header=BB53_12 Depth=3
	s_mov_b32 s75, 0
                                        ; implicit-def: $sgpr74
                                        ; implicit-def: $sgpr77
                                        ; implicit-def: $sgpr76
	s_set_inst_prefetch_distance 0x1
	s_branch .LBB53_89
	.p2align	6
.LBB53_88:                              ;   in Loop: Header=BB53_89 Depth=4
	s_or_b32 exec_lo, exec_lo, s78
	s_delay_alu instid0(SALU_CYCLE_1) | instskip(NEXT) | instid1(SALU_CYCLE_1)
	s_and_b32 s78, exec_lo, s77
	s_or_b32 s75, s78, s75
	s_and_not1_b32 s74, s74, exec_lo
	s_and_b32 s78, s76, exec_lo
	s_delay_alu instid0(SALU_CYCLE_1)
	s_or_b32 s74, s74, s78
	s_and_not1_b32 exec_lo, exec_lo, s75
	s_cbranch_execz .LBB53_96
.LBB53_89:                              ;   Parent Loop BB53_3 Depth=1
                                        ;     Parent Loop BB53_7 Depth=2
                                        ;       Parent Loop BB53_12 Depth=3
                                        ; =>      This Inner Loop Header: Depth=4
	v_add_nc_u32_e32 v9, v22, v17
	s_or_b32 s76, s76, exec_lo
	s_or_b32 s77, s77, exec_lo
	s_mov_b32 s78, exec_lo
	s_delay_alu instid0(VALU_DEP_1) | instskip(NEXT) | instid1(VALU_DEP_1)
	v_ashrrev_i32_e32 v10, 31, v9
	v_lshlrev_b64 v[11:12], 2, v[9:10]
	s_delay_alu instid0(VALU_DEP_1) | instskip(NEXT) | instid1(VALU_DEP_2)
	v_add_co_u32 v11, vcc_lo, s24, v11
	v_add_co_ci_u32_e32 v12, vcc_lo, s25, v12, vcc_lo
	global_load_b32 v11, v[11:12], off
	s_waitcnt vmcnt(0)
	v_subrev_nc_u32_e32 v11, s63, v11
	s_delay_alu instid0(VALU_DEP_1)
	v_cmpx_ne_u32_e64 v11, v23
	s_cbranch_execz .LBB53_88
; %bb.90:                               ;   in Loop: Header=BB53_89 Depth=4
	v_add_nc_u32_e32 v17, 1, v17
	s_and_not1_b32 s77, s77, exec_lo
	s_and_not1_b32 s76, s76, exec_lo
	s_delay_alu instid0(VALU_DEP_1) | instskip(SKIP_1) | instid1(SALU_CYCLE_1)
	v_cmp_ge_i32_e32 vcc_lo, v17, v48
	s_and_b32 s79, vcc_lo, exec_lo
	s_or_b32 s77, s77, s79
	s_branch .LBB53_88
.LBB53_91:                              ;   in Loop: Header=BB53_12 Depth=3
	v_mov_b32_e32 v9, 0
	v_mov_b32_e32 v10, 0
	s_mov_b32 s73, exec_lo
	v_cmpx_neq_f64_e32 0, v[11:12]
	s_cbranch_execz .LBB53_93
; %bb.92:                               ;   in Loop: Header=BB53_12 Depth=3
	v_div_scale_f64 v[9:10], null, v[7:8], v[7:8], v[5:6]
	v_div_scale_f64 v[15:16], vcc_lo, v[5:6], v[7:8], v[5:6]
	s_delay_alu instid0(VALU_DEP_2) | instskip(SKIP_2) | instid1(VALU_DEP_1)
	v_rcp_f64_e32 v[11:12], v[9:10]
	s_waitcnt_depctr 0xfff
	v_fma_f64 v[13:14], -v[9:10], v[11:12], 1.0
	v_fma_f64 v[11:12], v[11:12], v[13:14], v[11:12]
	s_delay_alu instid0(VALU_DEP_1) | instskip(NEXT) | instid1(VALU_DEP_1)
	v_fma_f64 v[13:14], -v[9:10], v[11:12], 1.0
	v_fma_f64 v[11:12], v[11:12], v[13:14], v[11:12]
	s_delay_alu instid0(VALU_DEP_1) | instskip(NEXT) | instid1(VALU_DEP_1)
	v_mul_f64 v[13:14], v[15:16], v[11:12]
	v_fma_f64 v[9:10], -v[9:10], v[13:14], v[15:16]
	s_delay_alu instid0(VALU_DEP_1) | instskip(NEXT) | instid1(VALU_DEP_1)
	v_div_fmas_f64 v[9:10], v[9:10], v[11:12], v[13:14]
	v_div_fixup_f64 v[5:6], v[9:10], v[7:8], v[5:6]
	s_delay_alu instid0(VALU_DEP_1) | instskip(NEXT) | instid1(VALU_DEP_1)
	v_fma_f64 v[5:6], v[5:6], v[5:6], 1.0
	v_cmp_gt_f64_e32 vcc_lo, 0x10000000, v[5:6]
	v_cndmask_b32_e64 v9, 0, 1, vcc_lo
	s_delay_alu instid0(VALU_DEP_1) | instskip(NEXT) | instid1(VALU_DEP_1)
	v_lshlrev_b32_e32 v9, 8, v9
	v_ldexp_f64 v[5:6], v[5:6], v9
	s_delay_alu instid0(VALU_DEP_1) | instskip(SKIP_3) | instid1(VALU_DEP_1)
	v_rsq_f64_e32 v[9:10], v[5:6]
	s_waitcnt_depctr 0xfff
	v_mul_f64 v[11:12], v[5:6], v[9:10]
	v_mul_f64 v[9:10], v[9:10], 0.5
	v_fma_f64 v[13:14], -v[9:10], v[11:12], 0.5
	s_delay_alu instid0(VALU_DEP_1) | instskip(SKIP_1) | instid1(VALU_DEP_2)
	v_fma_f64 v[11:12], v[11:12], v[13:14], v[11:12]
	v_fma_f64 v[9:10], v[9:10], v[13:14], v[9:10]
	v_fma_f64 v[13:14], -v[11:12], v[11:12], v[5:6]
	s_delay_alu instid0(VALU_DEP_1) | instskip(NEXT) | instid1(VALU_DEP_1)
	v_fma_f64 v[11:12], v[13:14], v[9:10], v[11:12]
	v_fma_f64 v[13:14], -v[11:12], v[11:12], v[5:6]
	s_delay_alu instid0(VALU_DEP_1) | instskip(SKIP_2) | instid1(VALU_DEP_2)
	v_fma_f64 v[9:10], v[13:14], v[9:10], v[11:12]
	v_cndmask_b32_e64 v11, 0, 0xffffff80, vcc_lo
	v_cmp_class_f64_e64 vcc_lo, v[5:6], 0x260
	v_ldexp_f64 v[9:10], v[9:10], v11
	s_delay_alu instid0(VALU_DEP_1) | instskip(NEXT) | instid1(VALU_DEP_1)
	v_dual_cndmask_b32 v6, v10, v6 :: v_dual_cndmask_b32 v5, v9, v5
	v_mul_f64 v[9:10], v[7:8], v[5:6]
.LBB53_93:                              ;   in Loop: Header=BB53_12 Depth=3
	s_or_b32 exec_lo, exec_lo, s73
                                        ; implicit-def: $vgpr5_vgpr6
                                        ; implicit-def: $vgpr7_vgpr8
	s_and_not1_saveexec_b32 s10, s10
	s_cbranch_execz .LBB53_85
.LBB53_94:                              ;   in Loop: Header=BB53_12 Depth=3
	v_div_scale_f64 v[9:10], null, v[5:6], v[5:6], v[7:8]
	v_div_scale_f64 v[15:16], vcc_lo, v[7:8], v[5:6], v[7:8]
	s_delay_alu instid0(VALU_DEP_2) | instskip(SKIP_2) | instid1(VALU_DEP_1)
	v_rcp_f64_e32 v[11:12], v[9:10]
	s_waitcnt_depctr 0xfff
	v_fma_f64 v[13:14], -v[9:10], v[11:12], 1.0
	v_fma_f64 v[11:12], v[11:12], v[13:14], v[11:12]
	s_delay_alu instid0(VALU_DEP_1) | instskip(NEXT) | instid1(VALU_DEP_1)
	v_fma_f64 v[13:14], -v[9:10], v[11:12], 1.0
	v_fma_f64 v[11:12], v[11:12], v[13:14], v[11:12]
	s_delay_alu instid0(VALU_DEP_1) | instskip(NEXT) | instid1(VALU_DEP_1)
	v_mul_f64 v[13:14], v[15:16], v[11:12]
	v_fma_f64 v[9:10], -v[9:10], v[13:14], v[15:16]
	s_delay_alu instid0(VALU_DEP_1) | instskip(NEXT) | instid1(VALU_DEP_1)
	v_div_fmas_f64 v[9:10], v[9:10], v[11:12], v[13:14]
	v_div_fixup_f64 v[7:8], v[9:10], v[5:6], v[7:8]
	s_delay_alu instid0(VALU_DEP_1) | instskip(NEXT) | instid1(VALU_DEP_1)
	v_fma_f64 v[7:8], v[7:8], v[7:8], 1.0
	v_cmp_gt_f64_e32 vcc_lo, 0x10000000, v[7:8]
	v_cndmask_b32_e64 v9, 0, 1, vcc_lo
	s_delay_alu instid0(VALU_DEP_1) | instskip(NEXT) | instid1(VALU_DEP_1)
	v_lshlrev_b32_e32 v9, 8, v9
	v_ldexp_f64 v[7:8], v[7:8], v9
	s_delay_alu instid0(VALU_DEP_1) | instskip(SKIP_3) | instid1(VALU_DEP_1)
	v_rsq_f64_e32 v[9:10], v[7:8]
	s_waitcnt_depctr 0xfff
	v_mul_f64 v[11:12], v[7:8], v[9:10]
	v_mul_f64 v[9:10], v[9:10], 0.5
	v_fma_f64 v[13:14], -v[9:10], v[11:12], 0.5
	s_delay_alu instid0(VALU_DEP_1) | instskip(SKIP_1) | instid1(VALU_DEP_2)
	v_fma_f64 v[11:12], v[11:12], v[13:14], v[11:12]
	v_fma_f64 v[9:10], v[9:10], v[13:14], v[9:10]
	v_fma_f64 v[13:14], -v[11:12], v[11:12], v[7:8]
	s_delay_alu instid0(VALU_DEP_1) | instskip(NEXT) | instid1(VALU_DEP_1)
	v_fma_f64 v[11:12], v[13:14], v[9:10], v[11:12]
	v_fma_f64 v[13:14], -v[11:12], v[11:12], v[7:8]
	s_delay_alu instid0(VALU_DEP_1) | instskip(SKIP_2) | instid1(VALU_DEP_2)
	v_fma_f64 v[9:10], v[13:14], v[9:10], v[11:12]
	v_cndmask_b32_e64 v11, 0, 0xffffff80, vcc_lo
	v_cmp_class_f64_e64 vcc_lo, v[7:8], 0x260
	v_ldexp_f64 v[9:10], v[9:10], v11
	s_delay_alu instid0(VALU_DEP_1) | instskip(NEXT) | instid1(VALU_DEP_1)
	v_dual_cndmask_b32 v8, v10, v8 :: v_dual_cndmask_b32 v7, v9, v7
	v_mul_f64 v[9:10], v[5:6], v[7:8]
	s_or_b32 exec_lo, exec_lo, s10
	s_delay_alu instid0(VALU_DEP_1) | instskip(NEXT) | instid1(VALU_DEP_1)
	v_cmp_class_f64_e64 s73, v[9:10], 0x1f8
	s_and_saveexec_b32 s10, s73
	s_cbranch_execz .LBB53_10
.LBB53_95:                              ;   in Loop: Header=BB53_12 Depth=3
	v_cmp_lt_f64_e32 vcc_lo, v[1:2], v[9:10]
	v_dual_cndmask_b32 v2, v2, v10 :: v_dual_cndmask_b32 v1, v1, v9
	s_branch .LBB53_10
.LBB53_96:                              ;   in Loop: Header=BB53_12 Depth=3
	s_set_inst_prefetch_distance 0x2
	s_or_b32 exec_lo, exec_lo, s75
	s_and_saveexec_b32 s75, s74
	s_delay_alu instid0(SALU_CYCLE_1)
	s_xor_b32 s74, exec_lo, s75
	s_cbranch_execz .LBB53_98
; %bb.97:                               ;   in Loop: Header=BB53_12 Depth=3
	v_lshlrev_b64 v[11:12], 4, v[23:24]
	v_lshlrev_b64 v[9:10], 4, v[9:10]
	s_delay_alu instid0(VALU_DEP_2) | instskip(NEXT) | instid1(VALU_DEP_3)
	v_add_co_u32 v11, vcc_lo, s48, v11
	v_add_co_ci_u32_e32 v12, vcc_lo, s49, v12, vcc_lo
	s_delay_alu instid0(VALU_DEP_3) | instskip(NEXT) | instid1(VALU_DEP_4)
	v_add_co_u32 v13, vcc_lo, s26, v9
	v_add_co_ci_u32_e32 v14, vcc_lo, s27, v10, vcc_lo
	global_load_b128 v[9:12], v[11:12], off
	global_load_b128 v[13:16], v[13:14], off
	s_waitcnt vmcnt(0)
	v_mul_f64 v[29:30], v[11:12], -v[15:16]
	v_mul_f64 v[11:12], v[11:12], v[13:14]
	s_delay_alu instid0(VALU_DEP_2) | instskip(NEXT) | instid1(VALU_DEP_2)
	v_fma_f64 v[13:14], v[13:14], v[9:10], v[29:30]
	v_fma_f64 v[9:10], v[15:16], v[9:10], v[11:12]
	s_delay_alu instid0(VALU_DEP_2) | instskip(NEXT) | instid1(VALU_DEP_2)
	v_add_f64 v[25:26], v[25:26], v[13:14]
	v_add_f64 v[27:28], v[27:28], v[9:10]
.LBB53_98:                              ;   in Loop: Header=BB53_12 Depth=3
	s_or_b32 exec_lo, exec_lo, s74
.LBB53_99:                              ;   in Loop: Header=BB53_12 Depth=3
	s_delay_alu instid0(SALU_CYCLE_1)
	s_or_b32 exec_lo, exec_lo, s73
                                        ; implicit-def: $vgpr31
                                        ; implicit-def: $vgpr29
                                        ; implicit-def: $vgpr53
	s_and_not1_saveexec_b32 s10, s10
	s_cbranch_execz .LBB53_81
.LBB53_100:                             ;   in Loop: Header=BB53_12 Depth=3
	s_mov_b32 s74, 0
                                        ; implicit-def: $sgpr73
                                        ; implicit-def: $sgpr76
                                        ; implicit-def: $sgpr75
	s_set_inst_prefetch_distance 0x1
	s_branch .LBB53_102
	.p2align	6
.LBB53_101:                             ;   in Loop: Header=BB53_102 Depth=4
	s_or_b32 exec_lo, exec_lo, s77
	s_delay_alu instid0(SALU_CYCLE_1) | instskip(NEXT) | instid1(SALU_CYCLE_1)
	s_and_b32 s77, exec_lo, s76
	s_or_b32 s74, s77, s74
	s_and_not1_b32 s73, s73, exec_lo
	s_and_b32 s77, s75, exec_lo
	s_delay_alu instid0(SALU_CYCLE_1)
	s_or_b32 s73, s73, s77
	s_and_not1_b32 exec_lo, exec_lo, s74
	s_cbranch_execz .LBB53_104
.LBB53_102:                             ;   Parent Loop BB53_3 Depth=1
                                        ;     Parent Loop BB53_7 Depth=2
                                        ;       Parent Loop BB53_12 Depth=3
                                        ; =>      This Inner Loop Header: Depth=4
	v_add_nc_u32_e32 v9, v29, v31
	s_or_b32 s75, s75, exec_lo
	s_or_b32 s76, s76, exec_lo
	s_mov_b32 s77, exec_lo
	s_delay_alu instid0(VALU_DEP_1) | instskip(NEXT) | instid1(VALU_DEP_1)
	v_ashrrev_i32_e32 v10, 31, v9
	v_lshlrev_b64 v[11:12], 2, v[9:10]
	s_delay_alu instid0(VALU_DEP_1) | instskip(NEXT) | instid1(VALU_DEP_2)
	v_add_co_u32 v11, vcc_lo, s16, v11
	v_add_co_ci_u32_e32 v12, vcc_lo, s17, v12, vcc_lo
	global_load_b32 v11, v[11:12], off
	s_waitcnt vmcnt(0)
	v_subrev_nc_u32_e32 v11, s64, v11
	s_delay_alu instid0(VALU_DEP_1)
	v_cmpx_ne_u32_e64 v11, v19
	s_cbranch_execz .LBB53_101
; %bb.103:                              ;   in Loop: Header=BB53_102 Depth=4
	v_add_nc_u32_e32 v31, 1, v31
	s_and_not1_b32 s76, s76, exec_lo
	s_and_not1_b32 s75, s75, exec_lo
	s_delay_alu instid0(VALU_DEP_1) | instskip(SKIP_1) | instid1(SALU_CYCLE_1)
	v_cmp_ge_i32_e32 vcc_lo, v31, v53
	s_and_b32 s78, vcc_lo, exec_lo
	s_or_b32 s76, s76, s78
	s_branch .LBB53_101
.LBB53_104:                             ;   in Loop: Header=BB53_12 Depth=3
	s_set_inst_prefetch_distance 0x2
	s_or_b32 exec_lo, exec_lo, s74
	s_and_saveexec_b32 s74, s73
	s_delay_alu instid0(SALU_CYCLE_1)
	s_xor_b32 s73, exec_lo, s74
	s_cbranch_execz .LBB53_106
; %bb.105:                              ;   in Loop: Header=BB53_12 Depth=3
	v_lshlrev_b64 v[9:10], 4, v[9:10]
	s_delay_alu instid0(VALU_DEP_1) | instskip(NEXT) | instid1(VALU_DEP_2)
	v_add_co_u32 v9, vcc_lo, s18, v9
	v_add_co_ci_u32_e32 v10, vcc_lo, s19, v10, vcc_lo
	global_load_b128 v[9:12], v[9:10], off
	s_waitcnt vmcnt(0)
	v_add_f64 v[25:26], v[25:26], v[9:10]
	v_add_f64 v[27:28], v[27:28], v[11:12]
.LBB53_106:                             ;   in Loop: Header=BB53_12 Depth=3
	s_or_b32 exec_lo, exec_lo, s73
	s_delay_alu instid0(SALU_CYCLE_1) | instskip(NEXT) | instid1(SALU_CYCLE_1)
	s_or_b32 exec_lo, exec_lo, s10
	s_mov_b32 s10, exec_lo
	v_cmpx_eq_u32_e64 v19, v23
	s_cbranch_execnz .LBB53_82
	s_branch .LBB53_83
.LBB53_107:                             ;   in Loop: Header=BB53_12 Depth=3
	v_mov_b32_e32 v13, 0
	v_mov_b32_e32 v14, 0
	s_mov_b32 s76, exec_lo
	v_cmpx_neq_f64_e32 0, v[15:16]
	s_cbranch_execz .LBB53_109
; %bb.108:                              ;   in Loop: Header=BB53_12 Depth=3
	v_div_scale_f64 v[13:14], null, v[11:12], v[11:12], v[9:10]
	v_div_scale_f64 v[34:35], vcc_lo, v[9:10], v[11:12], v[9:10]
	s_delay_alu instid0(VALU_DEP_2) | instskip(SKIP_2) | instid1(VALU_DEP_1)
	v_rcp_f64_e32 v[15:16], v[13:14]
	s_waitcnt_depctr 0xfff
	v_fma_f64 v[32:33], -v[13:14], v[15:16], 1.0
	v_fma_f64 v[15:16], v[15:16], v[32:33], v[15:16]
	s_delay_alu instid0(VALU_DEP_1) | instskip(NEXT) | instid1(VALU_DEP_1)
	v_fma_f64 v[32:33], -v[13:14], v[15:16], 1.0
	v_fma_f64 v[15:16], v[15:16], v[32:33], v[15:16]
	s_delay_alu instid0(VALU_DEP_1) | instskip(NEXT) | instid1(VALU_DEP_1)
	v_mul_f64 v[32:33], v[34:35], v[15:16]
	v_fma_f64 v[13:14], -v[13:14], v[32:33], v[34:35]
	s_delay_alu instid0(VALU_DEP_1) | instskip(NEXT) | instid1(VALU_DEP_1)
	v_div_fmas_f64 v[13:14], v[13:14], v[15:16], v[32:33]
	v_div_fixup_f64 v[9:10], v[13:14], v[11:12], v[9:10]
	s_delay_alu instid0(VALU_DEP_1) | instskip(NEXT) | instid1(VALU_DEP_1)
	v_fma_f64 v[9:10], v[9:10], v[9:10], 1.0
	v_cmp_gt_f64_e32 vcc_lo, 0x10000000, v[9:10]
	v_cndmask_b32_e64 v13, 0, 1, vcc_lo
	s_delay_alu instid0(VALU_DEP_1) | instskip(NEXT) | instid1(VALU_DEP_1)
	v_lshlrev_b32_e32 v13, 8, v13
	v_ldexp_f64 v[9:10], v[9:10], v13
	s_delay_alu instid0(VALU_DEP_1) | instskip(SKIP_3) | instid1(VALU_DEP_1)
	v_rsq_f64_e32 v[13:14], v[9:10]
	s_waitcnt_depctr 0xfff
	v_mul_f64 v[15:16], v[9:10], v[13:14]
	v_mul_f64 v[13:14], v[13:14], 0.5
	v_fma_f64 v[32:33], -v[13:14], v[15:16], 0.5
	s_delay_alu instid0(VALU_DEP_1) | instskip(SKIP_1) | instid1(VALU_DEP_2)
	v_fma_f64 v[15:16], v[15:16], v[32:33], v[15:16]
	v_fma_f64 v[13:14], v[13:14], v[32:33], v[13:14]
	v_fma_f64 v[32:33], -v[15:16], v[15:16], v[9:10]
	s_delay_alu instid0(VALU_DEP_1) | instskip(NEXT) | instid1(VALU_DEP_1)
	v_fma_f64 v[15:16], v[32:33], v[13:14], v[15:16]
	v_fma_f64 v[32:33], -v[15:16], v[15:16], v[9:10]
	s_delay_alu instid0(VALU_DEP_1) | instskip(SKIP_2) | instid1(VALU_DEP_2)
	v_fma_f64 v[13:14], v[32:33], v[13:14], v[15:16]
	v_cndmask_b32_e64 v15, 0, 0xffffff80, vcc_lo
	v_cmp_class_f64_e64 vcc_lo, v[9:10], 0x260
	v_ldexp_f64 v[13:14], v[13:14], v15
	s_delay_alu instid0(VALU_DEP_1) | instskip(NEXT) | instid1(VALU_DEP_1)
	v_dual_cndmask_b32 v10, v14, v10 :: v_dual_cndmask_b32 v9, v13, v9
	v_mul_f64 v[13:14], v[11:12], v[9:10]
.LBB53_109:                             ;   in Loop: Header=BB53_12 Depth=3
	s_or_b32 exec_lo, exec_lo, s76
                                        ; implicit-def: $vgpr9_vgpr10
                                        ; implicit-def: $vgpr11_vgpr12
	s_and_not1_saveexec_b32 s10, s10
	s_cbranch_execz .LBB53_43
.LBB53_110:                             ;   in Loop: Header=BB53_12 Depth=3
	v_div_scale_f64 v[13:14], null, v[9:10], v[9:10], v[11:12]
	v_div_scale_f64 v[34:35], vcc_lo, v[11:12], v[9:10], v[11:12]
	s_delay_alu instid0(VALU_DEP_2) | instskip(SKIP_2) | instid1(VALU_DEP_1)
	v_rcp_f64_e32 v[15:16], v[13:14]
	s_waitcnt_depctr 0xfff
	v_fma_f64 v[32:33], -v[13:14], v[15:16], 1.0
	v_fma_f64 v[15:16], v[15:16], v[32:33], v[15:16]
	s_delay_alu instid0(VALU_DEP_1) | instskip(NEXT) | instid1(VALU_DEP_1)
	v_fma_f64 v[32:33], -v[13:14], v[15:16], 1.0
	v_fma_f64 v[15:16], v[15:16], v[32:33], v[15:16]
	s_delay_alu instid0(VALU_DEP_1) | instskip(NEXT) | instid1(VALU_DEP_1)
	v_mul_f64 v[32:33], v[34:35], v[15:16]
	v_fma_f64 v[13:14], -v[13:14], v[32:33], v[34:35]
	s_delay_alu instid0(VALU_DEP_1) | instskip(NEXT) | instid1(VALU_DEP_1)
	v_div_fmas_f64 v[13:14], v[13:14], v[15:16], v[32:33]
	v_div_fixup_f64 v[11:12], v[13:14], v[9:10], v[11:12]
	s_delay_alu instid0(VALU_DEP_1) | instskip(NEXT) | instid1(VALU_DEP_1)
	v_fma_f64 v[11:12], v[11:12], v[11:12], 1.0
	v_cmp_gt_f64_e32 vcc_lo, 0x10000000, v[11:12]
	v_cndmask_b32_e64 v13, 0, 1, vcc_lo
	s_delay_alu instid0(VALU_DEP_1) | instskip(NEXT) | instid1(VALU_DEP_1)
	v_lshlrev_b32_e32 v13, 8, v13
	v_ldexp_f64 v[11:12], v[11:12], v13
	s_delay_alu instid0(VALU_DEP_1) | instskip(SKIP_3) | instid1(VALU_DEP_1)
	v_rsq_f64_e32 v[13:14], v[11:12]
	s_waitcnt_depctr 0xfff
	v_mul_f64 v[15:16], v[11:12], v[13:14]
	v_mul_f64 v[13:14], v[13:14], 0.5
	v_fma_f64 v[32:33], -v[13:14], v[15:16], 0.5
	s_delay_alu instid0(VALU_DEP_1) | instskip(SKIP_1) | instid1(VALU_DEP_2)
	v_fma_f64 v[15:16], v[15:16], v[32:33], v[15:16]
	v_fma_f64 v[13:14], v[13:14], v[32:33], v[13:14]
	v_fma_f64 v[32:33], -v[15:16], v[15:16], v[11:12]
	s_delay_alu instid0(VALU_DEP_1) | instskip(NEXT) | instid1(VALU_DEP_1)
	v_fma_f64 v[15:16], v[32:33], v[13:14], v[15:16]
	v_fma_f64 v[32:33], -v[15:16], v[15:16], v[11:12]
	s_delay_alu instid0(VALU_DEP_1) | instskip(SKIP_2) | instid1(VALU_DEP_2)
	v_fma_f64 v[13:14], v[32:33], v[13:14], v[15:16]
	v_cndmask_b32_e64 v15, 0, 0xffffff80, vcc_lo
	v_cmp_class_f64_e64 vcc_lo, v[11:12], 0x260
	v_ldexp_f64 v[13:14], v[13:14], v15
	s_delay_alu instid0(VALU_DEP_1) | instskip(NEXT) | instid1(VALU_DEP_1)
	v_dual_cndmask_b32 v12, v14, v12 :: v_dual_cndmask_b32 v11, v13, v11
	v_mul_f64 v[13:14], v[9:10], v[11:12]
	s_or_b32 exec_lo, exec_lo, s10
	s_delay_alu instid0(VALU_DEP_1) | instskip(NEXT) | instid1(VALU_DEP_1)
	v_cmp_class_f64_e64 s76, v[13:14], 0x1f8
	s_and_saveexec_b32 s10, s76
	s_cbranch_execnz .LBB53_44
	s_branch .LBB53_45
.LBB53_111:                             ;   in Loop: Header=BB53_12 Depth=3
	v_mov_b32_e32 v13, 0
	v_mov_b32_e32 v14, 0
	s_mov_b32 s77, exec_lo
	v_cmpx_neq_f64_e32 0, v[15:16]
	s_cbranch_execz .LBB53_113
; %bb.112:                              ;   in Loop: Header=BB53_12 Depth=3
	v_div_scale_f64 v[13:14], null, v[11:12], v[11:12], v[9:10]
	v_div_scale_f64 v[34:35], vcc_lo, v[9:10], v[11:12], v[9:10]
	s_delay_alu instid0(VALU_DEP_2) | instskip(SKIP_2) | instid1(VALU_DEP_1)
	v_rcp_f64_e32 v[15:16], v[13:14]
	s_waitcnt_depctr 0xfff
	v_fma_f64 v[32:33], -v[13:14], v[15:16], 1.0
	v_fma_f64 v[15:16], v[15:16], v[32:33], v[15:16]
	s_delay_alu instid0(VALU_DEP_1) | instskip(NEXT) | instid1(VALU_DEP_1)
	v_fma_f64 v[32:33], -v[13:14], v[15:16], 1.0
	v_fma_f64 v[15:16], v[15:16], v[32:33], v[15:16]
	s_delay_alu instid0(VALU_DEP_1) | instskip(NEXT) | instid1(VALU_DEP_1)
	v_mul_f64 v[32:33], v[34:35], v[15:16]
	v_fma_f64 v[13:14], -v[13:14], v[32:33], v[34:35]
	s_delay_alu instid0(VALU_DEP_1) | instskip(NEXT) | instid1(VALU_DEP_1)
	v_div_fmas_f64 v[13:14], v[13:14], v[15:16], v[32:33]
	v_div_fixup_f64 v[9:10], v[13:14], v[11:12], v[9:10]
	s_delay_alu instid0(VALU_DEP_1) | instskip(NEXT) | instid1(VALU_DEP_1)
	v_fma_f64 v[9:10], v[9:10], v[9:10], 1.0
	v_cmp_gt_f64_e32 vcc_lo, 0x10000000, v[9:10]
	v_cndmask_b32_e64 v13, 0, 1, vcc_lo
	s_delay_alu instid0(VALU_DEP_1) | instskip(NEXT) | instid1(VALU_DEP_1)
	v_lshlrev_b32_e32 v13, 8, v13
	v_ldexp_f64 v[9:10], v[9:10], v13
	s_delay_alu instid0(VALU_DEP_1) | instskip(SKIP_3) | instid1(VALU_DEP_1)
	v_rsq_f64_e32 v[13:14], v[9:10]
	s_waitcnt_depctr 0xfff
	v_mul_f64 v[15:16], v[9:10], v[13:14]
	v_mul_f64 v[13:14], v[13:14], 0.5
	v_fma_f64 v[32:33], -v[13:14], v[15:16], 0.5
	s_delay_alu instid0(VALU_DEP_1) | instskip(SKIP_1) | instid1(VALU_DEP_2)
	v_fma_f64 v[15:16], v[15:16], v[32:33], v[15:16]
	v_fma_f64 v[13:14], v[13:14], v[32:33], v[13:14]
	v_fma_f64 v[32:33], -v[15:16], v[15:16], v[9:10]
	s_delay_alu instid0(VALU_DEP_1) | instskip(NEXT) | instid1(VALU_DEP_1)
	v_fma_f64 v[15:16], v[32:33], v[13:14], v[15:16]
	v_fma_f64 v[32:33], -v[15:16], v[15:16], v[9:10]
	s_delay_alu instid0(VALU_DEP_1) | instskip(SKIP_2) | instid1(VALU_DEP_2)
	v_fma_f64 v[13:14], v[32:33], v[13:14], v[15:16]
	v_cndmask_b32_e64 v15, 0, 0xffffff80, vcc_lo
	v_cmp_class_f64_e64 vcc_lo, v[9:10], 0x260
	v_ldexp_f64 v[13:14], v[13:14], v15
	s_delay_alu instid0(VALU_DEP_1) | instskip(NEXT) | instid1(VALU_DEP_1)
	v_dual_cndmask_b32 v10, v14, v10 :: v_dual_cndmask_b32 v9, v13, v9
	v_mul_f64 v[13:14], v[11:12], v[9:10]
.LBB53_113:                             ;   in Loop: Header=BB53_12 Depth=3
	s_or_b32 exec_lo, exec_lo, s77
                                        ; implicit-def: $vgpr9_vgpr10
                                        ; implicit-def: $vgpr11_vgpr12
	s_and_not1_saveexec_b32 s10, s10
	s_cbranch_execz .LBB53_73
.LBB53_114:                             ;   in Loop: Header=BB53_12 Depth=3
	v_div_scale_f64 v[13:14], null, v[9:10], v[9:10], v[11:12]
	v_div_scale_f64 v[34:35], vcc_lo, v[11:12], v[9:10], v[11:12]
	s_delay_alu instid0(VALU_DEP_2) | instskip(SKIP_2) | instid1(VALU_DEP_1)
	v_rcp_f64_e32 v[15:16], v[13:14]
	s_waitcnt_depctr 0xfff
	v_fma_f64 v[32:33], -v[13:14], v[15:16], 1.0
	v_fma_f64 v[15:16], v[15:16], v[32:33], v[15:16]
	s_delay_alu instid0(VALU_DEP_1) | instskip(NEXT) | instid1(VALU_DEP_1)
	v_fma_f64 v[32:33], -v[13:14], v[15:16], 1.0
	v_fma_f64 v[15:16], v[15:16], v[32:33], v[15:16]
	s_delay_alu instid0(VALU_DEP_1) | instskip(NEXT) | instid1(VALU_DEP_1)
	v_mul_f64 v[32:33], v[34:35], v[15:16]
	v_fma_f64 v[13:14], -v[13:14], v[32:33], v[34:35]
	s_delay_alu instid0(VALU_DEP_1) | instskip(NEXT) | instid1(VALU_DEP_1)
	v_div_fmas_f64 v[13:14], v[13:14], v[15:16], v[32:33]
	v_div_fixup_f64 v[11:12], v[13:14], v[9:10], v[11:12]
	s_delay_alu instid0(VALU_DEP_1) | instskip(NEXT) | instid1(VALU_DEP_1)
	v_fma_f64 v[11:12], v[11:12], v[11:12], 1.0
	v_cmp_gt_f64_e32 vcc_lo, 0x10000000, v[11:12]
	v_cndmask_b32_e64 v13, 0, 1, vcc_lo
	s_delay_alu instid0(VALU_DEP_1) | instskip(NEXT) | instid1(VALU_DEP_1)
	v_lshlrev_b32_e32 v13, 8, v13
	v_ldexp_f64 v[11:12], v[11:12], v13
	s_delay_alu instid0(VALU_DEP_1) | instskip(SKIP_3) | instid1(VALU_DEP_1)
	v_rsq_f64_e32 v[13:14], v[11:12]
	s_waitcnt_depctr 0xfff
	v_mul_f64 v[15:16], v[11:12], v[13:14]
	v_mul_f64 v[13:14], v[13:14], 0.5
	v_fma_f64 v[32:33], -v[13:14], v[15:16], 0.5
	s_delay_alu instid0(VALU_DEP_1) | instskip(SKIP_1) | instid1(VALU_DEP_2)
	v_fma_f64 v[15:16], v[15:16], v[32:33], v[15:16]
	v_fma_f64 v[13:14], v[13:14], v[32:33], v[13:14]
	v_fma_f64 v[32:33], -v[15:16], v[15:16], v[11:12]
	s_delay_alu instid0(VALU_DEP_1) | instskip(NEXT) | instid1(VALU_DEP_1)
	v_fma_f64 v[15:16], v[32:33], v[13:14], v[15:16]
	v_fma_f64 v[32:33], -v[15:16], v[15:16], v[11:12]
	s_delay_alu instid0(VALU_DEP_1) | instskip(SKIP_2) | instid1(VALU_DEP_2)
	v_fma_f64 v[13:14], v[32:33], v[13:14], v[15:16]
	v_cndmask_b32_e64 v15, 0, 0xffffff80, vcc_lo
	v_cmp_class_f64_e64 vcc_lo, v[11:12], 0x260
	v_ldexp_f64 v[13:14], v[13:14], v15
	s_delay_alu instid0(VALU_DEP_1) | instskip(NEXT) | instid1(VALU_DEP_1)
	v_dual_cndmask_b32 v12, v14, v12 :: v_dual_cndmask_b32 v11, v13, v11
	v_mul_f64 v[13:14], v[9:10], v[11:12]
	s_or_b32 exec_lo, exec_lo, s10
	s_delay_alu instid0(VALU_DEP_1) | instskip(NEXT) | instid1(VALU_DEP_1)
	v_cmp_class_f64_e64 s77, v[13:14], 0x1f8
	s_and_saveexec_b32 s10, s77
	s_cbranch_execnz .LBB53_74
	s_branch .LBB53_75
.LBB53_115:                             ;   in Loop: Header=BB53_12 Depth=3
	v_mov_b32_e32 v13, 0
	v_mov_b32_e32 v14, 0
	s_mov_b32 s78, exec_lo
	v_cmpx_neq_f64_e32 0, v[15:16]
	s_cbranch_execz .LBB53_117
; %bb.116:                              ;   in Loop: Header=BB53_12 Depth=3
	v_div_scale_f64 v[13:14], null, v[11:12], v[11:12], v[9:10]
	v_div_scale_f64 v[34:35], vcc_lo, v[9:10], v[11:12], v[9:10]
	s_delay_alu instid0(VALU_DEP_2) | instskip(SKIP_2) | instid1(VALU_DEP_1)
	v_rcp_f64_e32 v[15:16], v[13:14]
	s_waitcnt_depctr 0xfff
	v_fma_f64 v[32:33], -v[13:14], v[15:16], 1.0
	v_fma_f64 v[15:16], v[15:16], v[32:33], v[15:16]
	s_delay_alu instid0(VALU_DEP_1) | instskip(NEXT) | instid1(VALU_DEP_1)
	v_fma_f64 v[32:33], -v[13:14], v[15:16], 1.0
	v_fma_f64 v[15:16], v[15:16], v[32:33], v[15:16]
	s_delay_alu instid0(VALU_DEP_1) | instskip(NEXT) | instid1(VALU_DEP_1)
	v_mul_f64 v[32:33], v[34:35], v[15:16]
	v_fma_f64 v[13:14], -v[13:14], v[32:33], v[34:35]
	s_delay_alu instid0(VALU_DEP_1) | instskip(NEXT) | instid1(VALU_DEP_1)
	v_div_fmas_f64 v[13:14], v[13:14], v[15:16], v[32:33]
	v_div_fixup_f64 v[9:10], v[13:14], v[11:12], v[9:10]
	s_delay_alu instid0(VALU_DEP_1) | instskip(NEXT) | instid1(VALU_DEP_1)
	v_fma_f64 v[9:10], v[9:10], v[9:10], 1.0
	v_cmp_gt_f64_e32 vcc_lo, 0x10000000, v[9:10]
	v_cndmask_b32_e64 v13, 0, 1, vcc_lo
	s_delay_alu instid0(VALU_DEP_1) | instskip(NEXT) | instid1(VALU_DEP_1)
	v_lshlrev_b32_e32 v13, 8, v13
	v_ldexp_f64 v[9:10], v[9:10], v13
	s_delay_alu instid0(VALU_DEP_1) | instskip(SKIP_3) | instid1(VALU_DEP_1)
	v_rsq_f64_e32 v[13:14], v[9:10]
	s_waitcnt_depctr 0xfff
	v_mul_f64 v[15:16], v[9:10], v[13:14]
	v_mul_f64 v[13:14], v[13:14], 0.5
	v_fma_f64 v[32:33], -v[13:14], v[15:16], 0.5
	s_delay_alu instid0(VALU_DEP_1) | instskip(SKIP_1) | instid1(VALU_DEP_2)
	v_fma_f64 v[15:16], v[15:16], v[32:33], v[15:16]
	v_fma_f64 v[13:14], v[13:14], v[32:33], v[13:14]
	v_fma_f64 v[32:33], -v[15:16], v[15:16], v[9:10]
	s_delay_alu instid0(VALU_DEP_1) | instskip(NEXT) | instid1(VALU_DEP_1)
	v_fma_f64 v[15:16], v[32:33], v[13:14], v[15:16]
	v_fma_f64 v[32:33], -v[15:16], v[15:16], v[9:10]
	s_delay_alu instid0(VALU_DEP_1) | instskip(SKIP_2) | instid1(VALU_DEP_2)
	v_fma_f64 v[13:14], v[32:33], v[13:14], v[15:16]
	v_cndmask_b32_e64 v15, 0, 0xffffff80, vcc_lo
	v_cmp_class_f64_e64 vcc_lo, v[9:10], 0x260
	v_ldexp_f64 v[13:14], v[13:14], v15
	s_delay_alu instid0(VALU_DEP_1) | instskip(NEXT) | instid1(VALU_DEP_1)
	v_dual_cndmask_b32 v10, v14, v10 :: v_dual_cndmask_b32 v9, v13, v9
	v_mul_f64 v[13:14], v[11:12], v[9:10]
.LBB53_117:                             ;   in Loop: Header=BB53_12 Depth=3
	s_or_b32 exec_lo, exec_lo, s78
                                        ; implicit-def: $vgpr9_vgpr10
                                        ; implicit-def: $vgpr11_vgpr12
	s_and_not1_saveexec_b32 s10, s10
	s_cbranch_execz .LBB53_57
.LBB53_118:                             ;   in Loop: Header=BB53_12 Depth=3
	v_div_scale_f64 v[13:14], null, v[9:10], v[9:10], v[11:12]
	v_div_scale_f64 v[34:35], vcc_lo, v[11:12], v[9:10], v[11:12]
	s_delay_alu instid0(VALU_DEP_2) | instskip(SKIP_2) | instid1(VALU_DEP_1)
	v_rcp_f64_e32 v[15:16], v[13:14]
	s_waitcnt_depctr 0xfff
	v_fma_f64 v[32:33], -v[13:14], v[15:16], 1.0
	v_fma_f64 v[15:16], v[15:16], v[32:33], v[15:16]
	s_delay_alu instid0(VALU_DEP_1) | instskip(NEXT) | instid1(VALU_DEP_1)
	v_fma_f64 v[32:33], -v[13:14], v[15:16], 1.0
	v_fma_f64 v[15:16], v[15:16], v[32:33], v[15:16]
	s_delay_alu instid0(VALU_DEP_1) | instskip(NEXT) | instid1(VALU_DEP_1)
	v_mul_f64 v[32:33], v[34:35], v[15:16]
	v_fma_f64 v[13:14], -v[13:14], v[32:33], v[34:35]
	s_delay_alu instid0(VALU_DEP_1) | instskip(NEXT) | instid1(VALU_DEP_1)
	v_div_fmas_f64 v[13:14], v[13:14], v[15:16], v[32:33]
	v_div_fixup_f64 v[11:12], v[13:14], v[9:10], v[11:12]
	s_delay_alu instid0(VALU_DEP_1) | instskip(NEXT) | instid1(VALU_DEP_1)
	v_fma_f64 v[11:12], v[11:12], v[11:12], 1.0
	v_cmp_gt_f64_e32 vcc_lo, 0x10000000, v[11:12]
	v_cndmask_b32_e64 v13, 0, 1, vcc_lo
	s_delay_alu instid0(VALU_DEP_1) | instskip(NEXT) | instid1(VALU_DEP_1)
	v_lshlrev_b32_e32 v13, 8, v13
	v_ldexp_f64 v[11:12], v[11:12], v13
	s_delay_alu instid0(VALU_DEP_1) | instskip(SKIP_3) | instid1(VALU_DEP_1)
	v_rsq_f64_e32 v[13:14], v[11:12]
	s_waitcnt_depctr 0xfff
	v_mul_f64 v[15:16], v[11:12], v[13:14]
	v_mul_f64 v[13:14], v[13:14], 0.5
	v_fma_f64 v[32:33], -v[13:14], v[15:16], 0.5
	s_delay_alu instid0(VALU_DEP_1) | instskip(SKIP_1) | instid1(VALU_DEP_2)
	v_fma_f64 v[15:16], v[15:16], v[32:33], v[15:16]
	v_fma_f64 v[13:14], v[13:14], v[32:33], v[13:14]
	v_fma_f64 v[32:33], -v[15:16], v[15:16], v[11:12]
	s_delay_alu instid0(VALU_DEP_1) | instskip(NEXT) | instid1(VALU_DEP_1)
	v_fma_f64 v[15:16], v[32:33], v[13:14], v[15:16]
	v_fma_f64 v[32:33], -v[15:16], v[15:16], v[11:12]
	s_delay_alu instid0(VALU_DEP_1) | instskip(SKIP_2) | instid1(VALU_DEP_2)
	v_fma_f64 v[13:14], v[32:33], v[13:14], v[15:16]
	v_cndmask_b32_e64 v15, 0, 0xffffff80, vcc_lo
	v_cmp_class_f64_e64 vcc_lo, v[11:12], 0x260
	v_ldexp_f64 v[13:14], v[13:14], v15
	s_delay_alu instid0(VALU_DEP_1) | instskip(NEXT) | instid1(VALU_DEP_1)
	v_dual_cndmask_b32 v12, v14, v12 :: v_dual_cndmask_b32 v11, v13, v11
	v_mul_f64 v[13:14], v[9:10], v[11:12]
	s_or_b32 exec_lo, exec_lo, s10
	s_delay_alu instid0(VALU_DEP_1) | instskip(NEXT) | instid1(VALU_DEP_1)
	v_cmp_class_f64_e64 s78, v[13:14], 0x1f8
	s_and_saveexec_b32 s10, s78
	s_cbranch_execnz .LBB53_58
	s_branch .LBB53_59
.LBB53_119:                             ;   in Loop: Header=BB53_3 Depth=1
	v_xor_b32_e32 v10, 8, v40
	v_xor_b32_e32 v9, 4, v40
	;; [unrolled: 1-line block ×4, first 2 shown]
	s_and_b32 vcc_lo, exec_lo, s58
	s_cbranch_vccnz .LBB53_122
; %bb.120:                              ;   in Loop: Header=BB53_3 Depth=1
	s_and_not1_b32 vcc_lo, exec_lo, s33
	s_cbranch_vccz .LBB53_137
.LBB53_121:                             ;   in Loop: Header=BB53_3 Depth=1
	s_and_saveexec_b32 s10, s7
	s_cbranch_execnz .LBB53_152
	s_branch .LBB53_163
.LBB53_122:                             ;   in Loop: Header=BB53_3 Depth=1
	v_cmp_gt_i32_e32 vcc_lo, 32, v10
	v_cmp_gt_i32_e64 s9, 32, v9
	v_cndmask_b32_e32 v5, v40, v10, vcc_lo
	s_delay_alu instid0(VALU_DEP_2) | instskip(SKIP_1) | instid1(VALU_DEP_3)
	v_cndmask_b32_e64 v11, v40, v9, s9
	v_cmp_gt_i32_e64 s9, 32, v8
	v_lshlrev_b32_e32 v6, 2, v5
	ds_bpermute_b32 v5, v6, v3
	ds_bpermute_b32 v6, v6, v4
	s_waitcnt lgkmcnt(0)
	v_cmp_lt_f64_e32 vcc_lo, v[3:4], v[5:6]
	v_dual_cndmask_b32 v4, v4, v6 :: v_dual_lshlrev_b32 v11, 2, v11
	ds_bpermute_b32 v6, v11, v4
	v_cndmask_b32_e32 v3, v3, v5, vcc_lo
	ds_bpermute_b32 v5, v11, v3
	v_cndmask_b32_e64 v11, v40, v8, s9
	v_cmp_gt_i32_e64 s9, 32, v7
	s_waitcnt lgkmcnt(0)
	v_cmp_lt_f64_e32 vcc_lo, v[3:4], v[5:6]
	s_delay_alu instid0(VALU_DEP_3) | instskip(SKIP_4) | instid1(VALU_DEP_1)
	v_dual_cndmask_b32 v4, v4, v6 :: v_dual_lshlrev_b32 v11, 2, v11
	v_cndmask_b32_e32 v3, v3, v5, vcc_lo
	ds_bpermute_b32 v6, v11, v4
	ds_bpermute_b32 v5, v11, v3
	v_cndmask_b32_e64 v11, v40, v7, s9
	v_lshlrev_b32_e32 v11, 2, v11
	s_waitcnt lgkmcnt(0)
	v_cmp_lt_f64_e32 vcc_lo, v[3:4], v[5:6]
	v_dual_cndmask_b32 v4, v4, v6 :: v_dual_cndmask_b32 v3, v3, v5
	ds_bpermute_b32 v6, v11, v4
	ds_bpermute_b32 v5, v11, v3
	s_and_saveexec_b32 s9, s0
	s_cbranch_execz .LBB53_124
; %bb.123:                              ;   in Loop: Header=BB53_3 Depth=1
	s_waitcnt lgkmcnt(0)
	v_cmp_lt_f64_e32 vcc_lo, v[3:4], v[5:6]
	v_dual_cndmask_b32 v4, v4, v6 :: v_dual_cndmask_b32 v3, v3, v5
	ds_store_b64 v43, v[3:4]
.LBB53_124:                             ;   in Loop: Header=BB53_3 Depth=1
	s_or_b32 exec_lo, exec_lo, s9
	s_waitcnt lgkmcnt(0)
	s_waitcnt_vscnt null, 0x0
	s_barrier
	buffer_gl0_inv
	s_and_saveexec_b32 s9, s1
	s_cbranch_execz .LBB53_126
; %bb.125:                              ;   in Loop: Header=BB53_3 Depth=1
	ds_load_2addr_b64 v[3:6], v41 offset1:32
	s_waitcnt lgkmcnt(0)
	v_cmp_lt_f64_e32 vcc_lo, v[3:4], v[5:6]
	v_dual_cndmask_b32 v4, v4, v6 :: v_dual_cndmask_b32 v3, v3, v5
	ds_store_b64 v41, v[3:4]
.LBB53_126:                             ;   in Loop: Header=BB53_3 Depth=1
	s_or_b32 exec_lo, exec_lo, s9
	s_waitcnt lgkmcnt(0)
	s_barrier
	buffer_gl0_inv
	s_and_saveexec_b32 s9, s2
	s_cbranch_execz .LBB53_128
; %bb.127:                              ;   in Loop: Header=BB53_3 Depth=1
	ds_load_2addr_b64 v[3:6], v41 offset1:16
	s_waitcnt lgkmcnt(0)
	v_cmp_lt_f64_e32 vcc_lo, v[3:4], v[5:6]
	v_dual_cndmask_b32 v4, v4, v6 :: v_dual_cndmask_b32 v3, v3, v5
	ds_store_b64 v41, v[3:4]
.LBB53_128:                             ;   in Loop: Header=BB53_3 Depth=1
	s_or_b32 exec_lo, exec_lo, s9
	s_waitcnt lgkmcnt(0)
	;; [unrolled: 13-line block ×5, first 2 shown]
	s_barrier
	buffer_gl0_inv
	s_and_saveexec_b32 s9, s6
	s_cbranch_execz .LBB53_136
; %bb.135:                              ;   in Loop: Header=BB53_3 Depth=1
	ds_load_b128 v[3:6], v18
	s_waitcnt lgkmcnt(0)
	v_cmp_lt_f64_e32 vcc_lo, v[3:4], v[5:6]
	v_dual_cndmask_b32 v4, v4, v6 :: v_dual_cndmask_b32 v3, v3, v5
	ds_store_b64 v18, v[3:4]
.LBB53_136:                             ;   in Loop: Header=BB53_3 Depth=1
	s_or_b32 exec_lo, exec_lo, s9
	s_waitcnt lgkmcnt(0)
	s_barrier
	buffer_gl0_inv
	ds_load_b64 v[3:4], v18
	s_load_b64 s[10:11], s[56:57], 0x0
	s_waitcnt lgkmcnt(0)
	v_div_scale_f64 v[5:6], null, s[10:11], s[10:11], v[3:4]
	s_delay_alu instid0(VALU_DEP_1) | instskip(SKIP_2) | instid1(VALU_DEP_1)
	v_rcp_f64_e32 v[11:12], v[5:6]
	s_waitcnt_depctr 0xfff
	v_fma_f64 v[13:14], -v[5:6], v[11:12], 1.0
	v_fma_f64 v[11:12], v[11:12], v[13:14], v[11:12]
	s_delay_alu instid0(VALU_DEP_1) | instskip(NEXT) | instid1(VALU_DEP_1)
	v_fma_f64 v[13:14], -v[5:6], v[11:12], 1.0
	v_fma_f64 v[11:12], v[11:12], v[13:14], v[11:12]
	v_div_scale_f64 v[13:14], vcc_lo, v[3:4], s[10:11], v[3:4]
	s_delay_alu instid0(VALU_DEP_1) | instskip(NEXT) | instid1(VALU_DEP_1)
	v_mul_f64 v[15:16], v[13:14], v[11:12]
	v_fma_f64 v[5:6], -v[5:6], v[15:16], v[13:14]
	s_delay_alu instid0(VALU_DEP_1) | instskip(NEXT) | instid1(VALU_DEP_1)
	v_div_fmas_f64 v[5:6], v[5:6], v[11:12], v[15:16]
	v_div_fixup_f64 v[3:4], v[5:6], s[10:11], v[3:4]
	s_and_not1_b32 vcc_lo, exec_lo, s33
	s_cbranch_vccnz .LBB53_121
.LBB53_137:                             ;   in Loop: Header=BB53_3 Depth=1
	v_cmp_gt_i32_e64 s9, 32, v9
	v_cmp_gt_i32_e32 vcc_lo, 32, v10
	s_delay_alu instid0(VALU_DEP_2) | instskip(SKIP_1) | instid1(VALU_DEP_1)
	v_cndmask_b32_e64 v9, v40, v9, s9
	v_cmp_gt_i32_e64 s9, 32, v8
	v_cndmask_b32_e64 v8, v40, v8, s9
	v_cndmask_b32_e32 v5, v40, v10, vcc_lo
	v_cmp_gt_i32_e64 s9, 32, v7
	s_delay_alu instid0(VALU_DEP_3) | instskip(NEXT) | instid1(VALU_DEP_3)
	v_lshlrev_b32_e32 v8, 2, v8
	v_lshlrev_b32_e32 v6, 2, v5
	s_delay_alu instid0(VALU_DEP_3)
	v_cndmask_b32_e64 v7, v40, v7, s9
	ds_bpermute_b32 v5, v6, v1
	ds_bpermute_b32 v6, v6, v2
	v_lshlrev_b32_e32 v7, 2, v7
	s_waitcnt lgkmcnt(0)
	v_cmp_lt_f64_e32 vcc_lo, v[1:2], v[5:6]
	v_dual_cndmask_b32 v2, v2, v6 :: v_dual_lshlrev_b32 v9, 2, v9
	ds_bpermute_b32 v6, v9, v2
	v_cndmask_b32_e32 v1, v1, v5, vcc_lo
	ds_bpermute_b32 v5, v9, v1
	s_waitcnt lgkmcnt(0)
	v_cmp_lt_f64_e32 vcc_lo, v[1:2], v[5:6]
	v_cndmask_b32_e32 v2, v2, v6, vcc_lo
	ds_bpermute_b32 v6, v8, v2
	v_cndmask_b32_e32 v1, v1, v5, vcc_lo
	ds_bpermute_b32 v5, v8, v1
	s_waitcnt lgkmcnt(0)
	v_cmp_lt_f64_e32 vcc_lo, v[1:2], v[5:6]
	v_dual_cndmask_b32 v2, v2, v6 :: v_dual_cndmask_b32 v1, v1, v5
	ds_bpermute_b32 v6, v7, v2
	ds_bpermute_b32 v5, v7, v1
	s_and_saveexec_b32 s9, s0
	s_cbranch_execz .LBB53_139
; %bb.138:                              ;   in Loop: Header=BB53_3 Depth=1
	s_waitcnt lgkmcnt(0)
	v_cmp_lt_f64_e32 vcc_lo, v[1:2], v[5:6]
	v_dual_cndmask_b32 v2, v2, v6 :: v_dual_cndmask_b32 v1, v1, v5
	ds_store_b64 v43, v[1:2]
.LBB53_139:                             ;   in Loop: Header=BB53_3 Depth=1
	s_or_b32 exec_lo, exec_lo, s9
	s_waitcnt lgkmcnt(0)
	s_waitcnt_vscnt null, 0x0
	s_barrier
	buffer_gl0_inv
	s_and_saveexec_b32 s9, s1
	s_cbranch_execz .LBB53_141
; %bb.140:                              ;   in Loop: Header=BB53_3 Depth=1
	ds_load_2addr_b64 v[5:8], v41 offset1:32
	s_waitcnt lgkmcnt(0)
	v_cmp_lt_f64_e32 vcc_lo, v[5:6], v[7:8]
	v_dual_cndmask_b32 v2, v6, v8 :: v_dual_cndmask_b32 v1, v5, v7
	ds_store_b64 v41, v[1:2]
.LBB53_141:                             ;   in Loop: Header=BB53_3 Depth=1
	s_or_b32 exec_lo, exec_lo, s9
	s_waitcnt lgkmcnt(0)
	s_barrier
	buffer_gl0_inv
	s_and_saveexec_b32 s9, s2
	s_cbranch_execz .LBB53_143
; %bb.142:                              ;   in Loop: Header=BB53_3 Depth=1
	ds_load_2addr_b64 v[5:8], v41 offset1:16
	s_waitcnt lgkmcnt(0)
	v_cmp_lt_f64_e32 vcc_lo, v[5:6], v[7:8]
	v_dual_cndmask_b32 v2, v6, v8 :: v_dual_cndmask_b32 v1, v5, v7
	ds_store_b64 v41, v[1:2]
.LBB53_143:                             ;   in Loop: Header=BB53_3 Depth=1
	s_or_b32 exec_lo, exec_lo, s9
	s_waitcnt lgkmcnt(0)
	;; [unrolled: 13-line block ×5, first 2 shown]
	s_barrier
	buffer_gl0_inv
	s_and_saveexec_b32 s9, s6
	s_cbranch_execz .LBB53_151
; %bb.150:                              ;   in Loop: Header=BB53_3 Depth=1
	ds_load_b128 v[5:8], v18
	s_waitcnt lgkmcnt(0)
	v_cmp_lt_f64_e32 vcc_lo, v[5:6], v[7:8]
	v_dual_cndmask_b32 v2, v6, v8 :: v_dual_cndmask_b32 v1, v5, v7
	ds_store_b64 v18, v[1:2]
.LBB53_151:                             ;   in Loop: Header=BB53_3 Depth=1
	s_or_b32 exec_lo, exec_lo, s9
	s_waitcnt lgkmcnt(0)
	s_barrier
	buffer_gl0_inv
	ds_load_b64 v[1:2], v18
	s_load_b64 s[10:11], s[56:57], 0x0
	s_waitcnt lgkmcnt(0)
	v_div_scale_f64 v[5:6], null, s[10:11], s[10:11], v[1:2]
	s_delay_alu instid0(VALU_DEP_1) | instskip(SKIP_2) | instid1(VALU_DEP_1)
	v_rcp_f64_e32 v[7:8], v[5:6]
	s_waitcnt_depctr 0xfff
	v_fma_f64 v[9:10], -v[5:6], v[7:8], 1.0
	v_fma_f64 v[7:8], v[7:8], v[9:10], v[7:8]
	s_delay_alu instid0(VALU_DEP_1) | instskip(NEXT) | instid1(VALU_DEP_1)
	v_fma_f64 v[9:10], -v[5:6], v[7:8], 1.0
	v_fma_f64 v[7:8], v[7:8], v[9:10], v[7:8]
	v_div_scale_f64 v[9:10], vcc_lo, v[1:2], s[10:11], v[1:2]
	s_delay_alu instid0(VALU_DEP_1) | instskip(NEXT) | instid1(VALU_DEP_1)
	v_mul_f64 v[11:12], v[9:10], v[7:8]
	v_fma_f64 v[5:6], -v[5:6], v[11:12], v[9:10]
	s_delay_alu instid0(VALU_DEP_1) | instskip(NEXT) | instid1(VALU_DEP_1)
	v_div_fmas_f64 v[5:6], v[5:6], v[7:8], v[11:12]
	v_div_fixup_f64 v[1:2], v[5:6], s[10:11], v[1:2]
	s_and_saveexec_b32 s10, s7
	s_cbranch_execz .LBB53_163
.LBB53_152:                             ;   in Loop: Header=BB53_3 Depth=1
	v_mov_b32_e32 v5, v42
	s_mov_b32 s11, 0
	s_branch .LBB53_154
.LBB53_153:                             ;   in Loop: Header=BB53_154 Depth=2
	s_or_b32 exec_lo, exec_lo, s69
	v_add_nc_u32_e32 v5, 64, v5
	s_delay_alu instid0(VALU_DEP_1) | instskip(SKIP_1) | instid1(SALU_CYCLE_1)
	v_cmp_le_u32_e32 vcc_lo, s65, v5
	s_or_b32 s11, vcc_lo, s11
	s_and_not1_b32 exec_lo, exec_lo, s11
	s_cbranch_execz .LBB53_163
.LBB53_154:                             ;   Parent Loop BB53_3 Depth=1
                                        ; =>  This Loop Header: Depth=2
                                        ;       Child Loop BB53_157 Depth 3
                                        ;       Child Loop BB53_160 Depth 3
	s_mov_b32 s69, exec_lo
	s_delay_alu instid0(VALU_DEP_1)
	v_cmpx_gt_i32_e64 s59, v5
	s_cbranch_execz .LBB53_153
; %bb.155:                              ;   in Loop: Header=BB53_154 Depth=2
	v_ashrrev_i32_e32 v6, 31, v5
	s_mov_b32 s70, exec_lo
	s_delay_alu instid0(VALU_DEP_1) | instskip(NEXT) | instid1(VALU_DEP_1)
	v_lshlrev_b64 v[7:8], 2, v[5:6]
	v_add_co_u32 v9, vcc_lo, s20, v7
	s_delay_alu instid0(VALU_DEP_2)
	v_add_co_ci_u32_e32 v10, vcc_lo, s21, v8, vcc_lo
	v_add_co_u32 v11, vcc_lo, s22, v7
	v_add_co_ci_u32_e32 v12, vcc_lo, s23, v8, vcc_lo
	global_load_b32 v9, v[9:10], off
	global_load_b32 v10, v[11:12], off
	s_waitcnt vmcnt(1)
	v_add_nc_u32_e32 v9, v45, v9
	s_waitcnt vmcnt(0)
	v_subrev_nc_u32_e32 v14, s63, v10
	s_delay_alu instid0(VALU_DEP_1)
	v_cmpx_lt_i32_e64 v9, v14
	s_cbranch_execz .LBB53_158
; %bb.156:                              ;   in Loop: Header=BB53_154 Depth=2
	v_ashrrev_i32_e32 v10, 31, v9
	s_mov_b32 s71, 0
	s_delay_alu instid0(VALU_DEP_1) | instskip(NEXT) | instid1(VALU_DEP_1)
	v_lshlrev_b64 v[12:13], 4, v[9:10]
	v_add_co_u32 v10, vcc_lo, s26, v12
	s_delay_alu instid0(VALU_DEP_2)
	v_add_co_ci_u32_e32 v11, vcc_lo, s27, v13, vcc_lo
	v_add_co_u32 v12, vcc_lo, s54, v12
	v_add_co_ci_u32_e32 v13, vcc_lo, s55, v13, vcc_lo
	.p2align	6
.LBB53_157:                             ;   Parent Loop BB53_3 Depth=1
                                        ;     Parent Loop BB53_154 Depth=2
                                        ; =>    This Inner Loop Header: Depth=3
	global_load_b128 v[19:22], v[12:13], off
	v_add_nc_u32_e32 v9, 16, v9
	v_add_co_u32 v12, vcc_lo, 0x100, v12
	v_add_co_ci_u32_e32 v13, vcc_lo, 0, v13, vcc_lo
	s_delay_alu instid0(VALU_DEP_3) | instskip(SKIP_4) | instid1(VALU_DEP_1)
	v_cmp_ge_i32_e32 vcc_lo, v9, v14
	s_or_b32 s71, vcc_lo, s71
	s_waitcnt vmcnt(0)
	global_store_b128 v[10:11], v[19:22], off
	v_add_co_u32 v10, s9, 0x100, v10
	v_add_co_ci_u32_e64 v11, s9, 0, v11, s9
	s_and_not1_b32 exec_lo, exec_lo, s71
	s_cbranch_execnz .LBB53_157
.LBB53_158:                             ;   in Loop: Header=BB53_154 Depth=2
	s_or_b32 exec_lo, exec_lo, s70
	v_add_co_u32 v9, vcc_lo, s12, v7
	v_add_co_ci_u32_e32 v10, vcc_lo, s13, v8, vcc_lo
	v_add_co_u32 v7, vcc_lo, s14, v7
	v_add_co_ci_u32_e32 v8, vcc_lo, s15, v8, vcc_lo
	s_mov_b32 s70, exec_lo
	global_load_b32 v9, v[9:10], off
	global_load_b32 v8, v[7:8], off
	s_waitcnt vmcnt(1)
	v_add_nc_u32_e32 v7, v46, v9
	s_waitcnt vmcnt(0)
	v_subrev_nc_u32_e32 v12, s64, v8
	s_delay_alu instid0(VALU_DEP_1)
	v_cmpx_lt_i32_e64 v7, v12
	s_cbranch_execz .LBB53_161
; %bb.159:                              ;   in Loop: Header=BB53_154 Depth=2
	v_ashrrev_i32_e32 v8, 31, v7
	s_mov_b32 s71, 0
	s_delay_alu instid0(VALU_DEP_1) | instskip(NEXT) | instid1(VALU_DEP_1)
	v_lshlrev_b64 v[10:11], 4, v[7:8]
	v_add_co_u32 v8, vcc_lo, s18, v10
	s_delay_alu instid0(VALU_DEP_2)
	v_add_co_ci_u32_e32 v9, vcc_lo, s19, v11, vcc_lo
	v_add_co_u32 v10, vcc_lo, s52, v10
	v_add_co_ci_u32_e32 v11, vcc_lo, s53, v11, vcc_lo
	.p2align	6
.LBB53_160:                             ;   Parent Loop BB53_3 Depth=1
                                        ;     Parent Loop BB53_154 Depth=2
                                        ; =>    This Inner Loop Header: Depth=3
	global_load_b128 v[13:16], v[10:11], off
	v_add_nc_u32_e32 v7, 16, v7
	v_add_co_u32 v10, vcc_lo, 0x100, v10
	v_add_co_ci_u32_e32 v11, vcc_lo, 0, v11, vcc_lo
	s_delay_alu instid0(VALU_DEP_3) | instskip(SKIP_4) | instid1(VALU_DEP_1)
	v_cmp_ge_i32_e32 vcc_lo, v7, v12
	s_or_b32 s71, vcc_lo, s71
	s_waitcnt vmcnt(0)
	global_store_b128 v[8:9], v[13:16], off
	v_add_co_u32 v8, s9, 0x100, v8
	v_add_co_ci_u32_e64 v9, s9, 0, v9, s9
	s_and_not1_b32 exec_lo, exec_lo, s71
	s_cbranch_execnz .LBB53_160
.LBB53_161:                             ;   in Loop: Header=BB53_154 Depth=2
	s_or_b32 exec_lo, exec_lo, s70
	s_delay_alu instid0(SALU_CYCLE_1)
	s_and_b32 exec_lo, exec_lo, s8
	s_cbranch_execz .LBB53_153
; %bb.162:                              ;   in Loop: Header=BB53_154 Depth=2
	v_lshlrev_b64 v[10:11], 4, v[5:6]
	s_delay_alu instid0(VALU_DEP_1) | instskip(NEXT) | instid1(VALU_DEP_2)
	v_add_co_u32 v6, vcc_lo, s50, v10
	v_add_co_ci_u32_e32 v7, vcc_lo, s51, v11, vcc_lo
	v_add_co_u32 v10, vcc_lo, s48, v10
	v_add_co_ci_u32_e32 v11, vcc_lo, s49, v11, vcc_lo
	global_load_b128 v[6:9], v[6:7], off
	s_waitcnt vmcnt(0)
	global_store_b128 v[10:11], v[6:9], off
	s_branch .LBB53_153
.LBB53_163:                             ;   in Loop: Header=BB53_3 Depth=1
	s_or_b32 exec_lo, exec_lo, s10
	s_mov_b32 s10, -1
	s_and_b32 vcc_lo, exec_lo, s60
	s_mov_b32 s9, -1
	s_cbranch_vccz .LBB53_173
; %bb.164:                              ;   in Loop: Header=BB53_3 Depth=1
	s_and_b32 vcc_lo, exec_lo, s67
                                        ; implicit-def: $sgpr11
	s_cbranch_vccz .LBB53_170
; %bb.165:                              ;   in Loop: Header=BB53_3 Depth=1
	s_and_b32 vcc_lo, exec_lo, s66
                                        ; implicit-def: $sgpr11
	s_cbranch_vccz .LBB53_167
; %bb.166:                              ;   in Loop: Header=BB53_3 Depth=1
	s_delay_alu instid0(VALU_DEP_1)
	v_cmp_ge_f64_e32 vcc_lo, s[46:47], v[1:2]
	s_mov_b32 s9, 0
	s_and_b32 s11, vcc_lo, exec_lo
.LBB53_167:                             ;   in Loop: Header=BB53_3 Depth=1
	s_and_not1_b32 vcc_lo, exec_lo, s9
	s_cbranch_vccnz .LBB53_169
; %bb.168:                              ;   in Loop: Header=BB53_3 Depth=1
	s_delay_alu instid0(VALU_DEP_1) | instskip(SKIP_2) | instid1(SALU_CYCLE_1)
	v_cmp_ge_f64_e32 vcc_lo, s[46:47], v[3:4]
	s_and_not1_b32 s9, s11, exec_lo
	s_and_b32 s11, vcc_lo, exec_lo
	s_or_b32 s11, s9, s11
.LBB53_169:                             ;   in Loop: Header=BB53_3 Depth=1
	s_mov_b32 s9, 0
.LBB53_170:                             ;   in Loop: Header=BB53_3 Depth=1
	s_delay_alu instid0(SALU_CYCLE_1)
	s_and_not1_b32 vcc_lo, exec_lo, s9
	s_cbranch_vccnz .LBB53_172
; %bb.171:                              ;   in Loop: Header=BB53_3 Depth=1
	s_delay_alu instid0(VALU_DEP_1) | instskip(NEXT) | instid1(VALU_DEP_2)
	v_cmp_ge_f64_e32 vcc_lo, s[46:47], v[3:4]
	v_cmp_ge_f64_e64 s9, s[46:47], v[1:2]
	s_and_not1_b32 s11, s11, exec_lo
	s_delay_alu instid0(VALU_DEP_1) | instskip(NEXT) | instid1(SALU_CYCLE_1)
	s_and_b32 s9, vcc_lo, s9
	s_and_b32 s9, s9, exec_lo
	s_delay_alu instid0(SALU_CYCLE_1)
	s_or_b32 s11, s11, s9
.LBB53_172:                             ;   in Loop: Header=BB53_3 Depth=1
	s_delay_alu instid0(SALU_CYCLE_1)
	s_xor_b32 s9, s11, -1
.LBB53_173:                             ;   in Loop: Header=BB53_3 Depth=1
	v_mov_b32_e32 v5, s68
	s_and_saveexec_b32 s11, s9
	s_cbranch_execz .LBB53_2
; %bb.174:                              ;   in Loop: Header=BB53_3 Depth=1
	s_add_i32 s68, s68, 1
	v_mov_b32_e32 v5, s35
	s_cmp_eq_u32 s68, s35
	s_cselect_b32 s9, -1, 0
	s_delay_alu instid0(SALU_CYCLE_1)
	s_or_not1_b32 s10, s9, exec_lo
	s_branch .LBB53_2
.LBB53_175:
	s_or_b32 exec_lo, exec_lo, s34
.LBB53_176:
	s_delay_alu instid0(SALU_CYCLE_1) | instskip(NEXT) | instid1(SALU_CYCLE_1)
	s_or_b32 exec_lo, exec_lo, s61
	s_and_not1_b32 vcc_lo, exec_lo, s60
	s_cbranch_vccnz .LBB53_195
; %bb.177:
	v_xor_b32_e32 v6, 8, v40
	v_xor_b32_e32 v7, 4, v40
	s_mov_b32 s0, exec_lo
	s_delay_alu instid0(VALU_DEP_2) | instskip(SKIP_1) | instid1(VALU_DEP_3)
	v_cmp_gt_i32_e32 vcc_lo, 32, v6
	v_cndmask_b32_e32 v6, v40, v6, vcc_lo
	v_cmp_gt_i32_e32 vcc_lo, 32, v7
	v_cndmask_b32_e32 v7, v40, v7, vcc_lo
	s_delay_alu instid0(VALU_DEP_1) | instskip(NEXT) | instid1(VALU_DEP_4)
	v_lshlrev_b32_e32 v7, 2, v7
	v_lshlrev_b32_e32 v6, 2, v6
	ds_bpermute_b32 v6, v6, v5
	s_waitcnt lgkmcnt(0)
	v_max_i32_e32 v5, v5, v6
	ds_bpermute_b32 v6, v7, v5
	v_xor_b32_e32 v7, 2, v40
	s_delay_alu instid0(VALU_DEP_1) | instskip(SKIP_1) | instid1(VALU_DEP_1)
	v_cmp_gt_i32_e32 vcc_lo, 32, v7
	v_cndmask_b32_e32 v7, v40, v7, vcc_lo
	v_lshlrev_b32_e32 v7, 2, v7
	s_waitcnt lgkmcnt(0)
	v_max_i32_e32 v5, v5, v6
	ds_bpermute_b32 v6, v7, v5
	v_xor_b32_e32 v7, 1, v40
	s_delay_alu instid0(VALU_DEP_1) | instskip(SKIP_3) | instid1(VALU_DEP_2)
	v_cmp_gt_i32_e32 vcc_lo, 32, v7
	v_cndmask_b32_e32 v7, v40, v7, vcc_lo
	s_waitcnt lgkmcnt(0)
	v_max_i32_e32 v5, v5, v6
	v_lshlrev_b32_e32 v6, 2, v7
	ds_bpermute_b32 v6, v6, v5
	v_cmpx_eq_u32_e32 15, v39
	s_cbranch_execz .LBB53_179
; %bb.178:
	v_lshlrev_b32_e32 v7, 2, v38
	s_waitcnt lgkmcnt(0)
	v_max_i32_e32 v5, v5, v6
	ds_store_b32 v7, v5 offset:512
.LBB53_179:
	s_or_b32 exec_lo, exec_lo, s0
	v_lshlrev_b32_e32 v5, 2, v0
	s_mov_b32 s0, exec_lo
	s_waitcnt lgkmcnt(0)
	s_waitcnt_vscnt null, 0x0
	s_barrier
	buffer_gl0_inv
	v_cmpx_gt_u32_e32 32, v0
	s_cbranch_execz .LBB53_181
; %bb.180:
	ds_load_2addr_b32 v[6:7], v5 offset0:128 offset1:160
	s_waitcnt lgkmcnt(0)
	v_max_i32_e32 v6, v6, v7
	ds_store_b32 v5, v6 offset:512
.LBB53_181:
	s_or_b32 exec_lo, exec_lo, s0
	s_delay_alu instid0(SALU_CYCLE_1)
	s_mov_b32 s0, exec_lo
	s_waitcnt lgkmcnt(0)
	s_barrier
	buffer_gl0_inv
	v_cmpx_gt_u32_e32 16, v0
	s_cbranch_execz .LBB53_183
; %bb.182:
	ds_load_2addr_b32 v[6:7], v5 offset0:128 offset1:144
	s_waitcnt lgkmcnt(0)
	v_max_i32_e32 v6, v6, v7
	ds_store_b32 v5, v6 offset:512
.LBB53_183:
	s_or_b32 exec_lo, exec_lo, s0
	s_delay_alu instid0(SALU_CYCLE_1)
	s_mov_b32 s0, exec_lo
	s_waitcnt lgkmcnt(0)
	;; [unrolled: 14-line block ×4, first 2 shown]
	s_barrier
	buffer_gl0_inv
	v_cmpx_gt_u32_e32 2, v0
	s_cbranch_execz .LBB53_189
; %bb.188:
	ds_load_2addr_b32 v[6:7], v5 offset0:128 offset1:130
	s_waitcnt lgkmcnt(0)
	v_max_i32_e32 v6, v6, v7
	ds_store_b32 v5, v6 offset:512
.LBB53_189:
	s_or_b32 exec_lo, exec_lo, s0
	v_cmp_eq_u32_e32 vcc_lo, 0, v0
	s_waitcnt lgkmcnt(0)
	s_barrier
	buffer_gl0_inv
	s_and_saveexec_b32 s0, vcc_lo
	s_cbranch_execz .LBB53_191
; %bb.190:
	v_mov_b32_e32 v7, 0
	ds_load_b64 v[5:6], v7 offset:512
	s_waitcnt lgkmcnt(0)
	v_max_i32_e32 v5, v5, v6
	ds_store_b32 v7, v5 offset:512
.LBB53_191:
	s_or_b32 exec_lo, exec_lo, s0
	s_waitcnt lgkmcnt(0)
	s_barrier
	buffer_gl0_inv
	s_and_saveexec_b32 s0, vcc_lo
	s_cbranch_execz .LBB53_194
; %bb.192:
	v_mbcnt_lo_u32_b32 v5, exec_lo, 0
	s_delay_alu instid0(VALU_DEP_1)
	v_cmp_eq_u32_e32 vcc_lo, 0, v5
	s_and_b32 exec_lo, exec_lo, vcc_lo
	s_cbranch_execz .LBB53_194
; %bb.193:
	v_mov_b32_e32 v5, 0
	ds_load_b32 v6, v5 offset:512
	s_waitcnt lgkmcnt(0)
	v_add_nc_u32_e32 v6, 1, v6
	global_atomic_max_i32 v5, v6, s[44:45]
.LBB53_194:
	s_or_b32 exec_lo, exec_lo, s0
.LBB53_195:
	v_cmp_eq_u32_e32 vcc_lo, 0, v0
	s_mov_b32 s2, 0
	s_and_b32 s0, vcc_lo, s58
	s_delay_alu instid0(SALU_CYCLE_1)
	s_and_saveexec_b32 s4, s0
	s_cbranch_execz .LBB53_200
; %bb.196:
	v_mov_b32_e32 v0, 0
	s_delay_alu instid0(VALU_DEP_4)
	v_cmp_eq_f64_e64 s0, 0, v[3:4]
	s_brev_b32 s3, 1
                                        ; implicit-def: $sgpr5
	global_load_b64 v[5:6], v0, s[28:29] glc
	s_waitcnt vmcnt(0)
	v_cmp_eq_u64_e64 s6, s[2:3], v[5:6]
                                        ; implicit-def: $sgpr3
	s_set_inst_prefetch_distance 0x1
	s_branch .LBB53_198
	.p2align	6
.LBB53_197:                             ;   in Loop: Header=BB53_198 Depth=1
	s_or_b32 exec_lo, exec_lo, s7
	s_delay_alu instid0(SALU_CYCLE_1) | instskip(NEXT) | instid1(SALU_CYCLE_1)
	s_and_b32 s1, exec_lo, s3
	s_or_b32 s2, s1, s2
	s_and_not1_b32 s1, s6, exec_lo
	s_and_b32 s6, s5, exec_lo
	s_delay_alu instid0(SALU_CYCLE_1)
	s_or_b32 s6, s1, s6
	s_and_not1_b32 exec_lo, exec_lo, s2
	s_cbranch_execz .LBB53_200
.LBB53_198:                             ; =>This Inner Loop Header: Depth=1
	v_cmp_lt_f64_e64 s1, v[5:6], v[3:4]
	s_delay_alu instid0(VALU_DEP_2) | instskip(SKIP_2) | instid1(VALU_DEP_1)
	s_and_b32 s7, s0, s6
	s_and_not1_b32 s5, s5, exec_lo
	s_or_b32 s3, s3, exec_lo
	s_or_b32 s1, s1, s7
	s_delay_alu instid0(SALU_CYCLE_1)
	s_and_saveexec_b32 s7, s1
	s_cbranch_execz .LBB53_197
; %bb.199:                              ;   in Loop: Header=BB53_198 Depth=1
	global_atomic_cmpswap_b64 v[7:8], v0, v[3:6], s[28:29] glc
	s_and_not1_b32 s5, s5, exec_lo
	s_and_not1_b32 s3, s3, exec_lo
	s_waitcnt vmcnt(0)
	v_cmp_eq_u64_e64 s1, v[7:8], v[5:6]
	s_delay_alu instid0(VALU_DEP_1) | instskip(SKIP_2) | instid1(SALU_CYCLE_1)
	v_cndmask_b32_e64 v6, v8, v6, s1
	v_cndmask_b32_e64 v5, v7, v5, s1
	s_and_b32 s1, s1, exec_lo
	s_or_b32 s3, s3, s1
	s_delay_alu instid0(VALU_DEP_1) | instskip(SKIP_1) | instid1(VALU_DEP_2)
	v_cmp_class_f64_e64 s6, v[5:6], 32
	v_dual_mov_b32 v5, v7 :: v_dual_mov_b32 v6, v8
	s_and_b32 s6, s6, exec_lo
	s_delay_alu instid0(SALU_CYCLE_1)
	s_or_b32 s5, s5, s6
                                        ; implicit-def: $sgpr6
	s_branch .LBB53_197
.LBB53_200:
	s_set_inst_prefetch_distance 0x2
	s_or_b32 exec_lo, exec_lo, s4
	s_and_b32 s0, vcc_lo, s33
	s_delay_alu instid0(SALU_CYCLE_1)
	s_and_saveexec_b32 s1, s0
	s_cbranch_execz .LBB53_205
; %bb.201:
	v_mov_b32_e32 v0, 0
	s_delay_alu instid0(VALU_DEP_4)
	v_cmp_eq_f64_e32 vcc_lo, 0, v[1:2]
	s_brev_b32 s3, 1
	s_mov_b32 s2, 0
                                        ; implicit-def: $sgpr1
	global_load_b64 v[3:4], v0, s[30:31] glc
	s_waitcnt vmcnt(0)
	v_cmp_eq_u64_e64 s4, s[2:3], v[3:4]
                                        ; implicit-def: $sgpr3
	s_set_inst_prefetch_distance 0x1
	s_branch .LBB53_203
	.p2align	6
.LBB53_202:                             ;   in Loop: Header=BB53_203 Depth=1
	s_or_b32 exec_lo, exec_lo, s5
	s_delay_alu instid0(SALU_CYCLE_1) | instskip(NEXT) | instid1(SALU_CYCLE_1)
	s_and_b32 s0, exec_lo, s1
	s_or_b32 s2, s0, s2
	s_and_not1_b32 s0, s4, exec_lo
	s_and_b32 s4, s3, exec_lo
	s_delay_alu instid0(SALU_CYCLE_1)
	s_or_b32 s4, s0, s4
	s_and_not1_b32 exec_lo, exec_lo, s2
	s_cbranch_execz .LBB53_205
.LBB53_203:                             ; =>This Inner Loop Header: Depth=1
	v_cmp_lt_f64_e64 s0, v[3:4], v[1:2]
	s_delay_alu instid0(VALU_DEP_2) | instskip(SKIP_2) | instid1(VALU_DEP_1)
	s_and_b32 s5, vcc_lo, s4
	s_and_not1_b32 s3, s3, exec_lo
	s_or_b32 s1, s1, exec_lo
	s_or_b32 s0, s0, s5
	s_delay_alu instid0(SALU_CYCLE_1)
	s_and_saveexec_b32 s5, s0
	s_cbranch_execz .LBB53_202
; %bb.204:                              ;   in Loop: Header=BB53_203 Depth=1
	global_atomic_cmpswap_b64 v[5:6], v0, v[1:4], s[30:31] glc
	s_and_not1_b32 s3, s3, exec_lo
	s_and_not1_b32 s1, s1, exec_lo
	s_waitcnt vmcnt(0)
	v_cmp_eq_u64_e64 s0, v[5:6], v[3:4]
	s_delay_alu instid0(VALU_DEP_1) | instskip(SKIP_2) | instid1(SALU_CYCLE_1)
	v_cndmask_b32_e64 v4, v6, v4, s0
	v_cndmask_b32_e64 v3, v5, v3, s0
	s_and_b32 s0, s0, exec_lo
	s_or_b32 s1, s1, s0
	s_delay_alu instid0(VALU_DEP_1) | instskip(SKIP_1) | instid1(VALU_DEP_2)
	v_cmp_class_f64_e64 s4, v[3:4], 32
	v_dual_mov_b32 v3, v5 :: v_dual_mov_b32 v4, v6
	s_and_b32 s4, s4, exec_lo
	s_delay_alu instid0(SALU_CYCLE_1)
	s_or_b32 s3, s3, s4
                                        ; implicit-def: $sgpr4
	s_branch .LBB53_202
.LBB53_205:
	s_set_inst_prefetch_distance 0x2
	s_nop 0
	s_sendmsg sendmsg(MSG_DEALLOC_VGPRS)
	s_endpgm
	.section	.rodata,"a",@progbits
	.p2align	6, 0x0
	.amdhsa_kernel _ZN9rocsparseL6kernelILi1024ELi16E21rocsparse_complex_numIdEiiEEvbbbT3_PS3_NS_15floating_traitsIT1_E6data_tES3_T2_PKS9_SB_PKS3_PKS6_21rocsparse_index_base_SB_SB_SD_PS6_SH_SG_SB_SB_SD_SH_SH_SG_SH_SH_PS8_SI_PKS8_
		.amdhsa_group_segment_fixed_size 768
		.amdhsa_private_segment_fixed_size 0
		.amdhsa_kernarg_size 208
		.amdhsa_user_sgpr_count 15
		.amdhsa_user_sgpr_dispatch_ptr 0
		.amdhsa_user_sgpr_queue_ptr 0
		.amdhsa_user_sgpr_kernarg_segment_ptr 1
		.amdhsa_user_sgpr_dispatch_id 0
		.amdhsa_user_sgpr_private_segment_size 0
		.amdhsa_wavefront_size32 1
		.amdhsa_uses_dynamic_stack 0
		.amdhsa_enable_private_segment 0
		.amdhsa_system_sgpr_workgroup_id_x 1
		.amdhsa_system_sgpr_workgroup_id_y 0
		.amdhsa_system_sgpr_workgroup_id_z 0
		.amdhsa_system_sgpr_workgroup_info 0
		.amdhsa_system_vgpr_workitem_id 0
		.amdhsa_next_free_vgpr 60
		.amdhsa_next_free_sgpr 82
		.amdhsa_reserve_vcc 1
		.amdhsa_float_round_mode_32 0
		.amdhsa_float_round_mode_16_64 0
		.amdhsa_float_denorm_mode_32 3
		.amdhsa_float_denorm_mode_16_64 3
		.amdhsa_dx10_clamp 1
		.amdhsa_ieee_mode 1
		.amdhsa_fp16_overflow 0
		.amdhsa_workgroup_processor_mode 1
		.amdhsa_memory_ordered 1
		.amdhsa_forward_progress 0
		.amdhsa_shared_vgpr_count 0
		.amdhsa_exception_fp_ieee_invalid_op 0
		.amdhsa_exception_fp_denorm_src 0
		.amdhsa_exception_fp_ieee_div_zero 0
		.amdhsa_exception_fp_ieee_overflow 0
		.amdhsa_exception_fp_ieee_underflow 0
		.amdhsa_exception_fp_ieee_inexact 0
		.amdhsa_exception_int_div_zero 0
	.end_amdhsa_kernel
	.section	.text._ZN9rocsparseL6kernelILi1024ELi16E21rocsparse_complex_numIdEiiEEvbbbT3_PS3_NS_15floating_traitsIT1_E6data_tES3_T2_PKS9_SB_PKS3_PKS6_21rocsparse_index_base_SB_SB_SD_PS6_SH_SG_SB_SB_SD_SH_SH_SG_SH_SH_PS8_SI_PKS8_,"axG",@progbits,_ZN9rocsparseL6kernelILi1024ELi16E21rocsparse_complex_numIdEiiEEvbbbT3_PS3_NS_15floating_traitsIT1_E6data_tES3_T2_PKS9_SB_PKS3_PKS6_21rocsparse_index_base_SB_SB_SD_PS6_SH_SG_SB_SB_SD_SH_SH_SG_SH_SH_PS8_SI_PKS8_,comdat
.Lfunc_end53:
	.size	_ZN9rocsparseL6kernelILi1024ELi16E21rocsparse_complex_numIdEiiEEvbbbT3_PS3_NS_15floating_traitsIT1_E6data_tES3_T2_PKS9_SB_PKS3_PKS6_21rocsparse_index_base_SB_SB_SD_PS6_SH_SG_SB_SB_SD_SH_SH_SG_SH_SH_PS8_SI_PKS8_, .Lfunc_end53-_ZN9rocsparseL6kernelILi1024ELi16E21rocsparse_complex_numIdEiiEEvbbbT3_PS3_NS_15floating_traitsIT1_E6data_tES3_T2_PKS9_SB_PKS3_PKS6_21rocsparse_index_base_SB_SB_SD_PS6_SH_SG_SB_SB_SD_SH_SH_SG_SH_SH_PS8_SI_PKS8_
                                        ; -- End function
	.section	.AMDGPU.csdata,"",@progbits
; Kernel info:
; codeLenInByte = 11292
; NumSgprs: 84
; NumVgprs: 60
; ScratchSize: 0
; MemoryBound: 1
; FloatMode: 240
; IeeeMode: 1
; LDSByteSize: 768 bytes/workgroup (compile time only)
; SGPRBlocks: 10
; VGPRBlocks: 7
; NumSGPRsForWavesPerEU: 84
; NumVGPRsForWavesPerEU: 60
; Occupancy: 16
; WaveLimiterHint : 1
; COMPUTE_PGM_RSRC2:SCRATCH_EN: 0
; COMPUTE_PGM_RSRC2:USER_SGPR: 15
; COMPUTE_PGM_RSRC2:TRAP_HANDLER: 0
; COMPUTE_PGM_RSRC2:TGID_X_EN: 1
; COMPUTE_PGM_RSRC2:TGID_Y_EN: 0
; COMPUTE_PGM_RSRC2:TGID_Z_EN: 0
; COMPUTE_PGM_RSRC2:TIDIG_COMP_CNT: 0
	.section	.text._ZN9rocsparseL6kernelILi1024ELi32E21rocsparse_complex_numIdEiiEEvbbbT3_PS3_NS_15floating_traitsIT1_E6data_tES3_T2_PKS9_SB_PKS3_PKS6_21rocsparse_index_base_SB_SB_SD_PS6_SH_SG_SB_SB_SD_SH_SH_SG_SH_SH_PS8_SI_PKS8_,"axG",@progbits,_ZN9rocsparseL6kernelILi1024ELi32E21rocsparse_complex_numIdEiiEEvbbbT3_PS3_NS_15floating_traitsIT1_E6data_tES3_T2_PKS9_SB_PKS3_PKS6_21rocsparse_index_base_SB_SB_SD_PS6_SH_SG_SB_SB_SD_SH_SH_SG_SH_SH_PS8_SI_PKS8_,comdat
	.globl	_ZN9rocsparseL6kernelILi1024ELi32E21rocsparse_complex_numIdEiiEEvbbbT3_PS3_NS_15floating_traitsIT1_E6data_tES3_T2_PKS9_SB_PKS3_PKS6_21rocsparse_index_base_SB_SB_SD_PS6_SH_SG_SB_SB_SD_SH_SH_SG_SH_SH_PS8_SI_PKS8_ ; -- Begin function _ZN9rocsparseL6kernelILi1024ELi32E21rocsparse_complex_numIdEiiEEvbbbT3_PS3_NS_15floating_traitsIT1_E6data_tES3_T2_PKS9_SB_PKS3_PKS6_21rocsparse_index_base_SB_SB_SD_PS6_SH_SG_SB_SB_SD_SH_SH_SG_SH_SH_PS8_SI_PKS8_
	.p2align	8
	.type	_ZN9rocsparseL6kernelILi1024ELi32E21rocsparse_complex_numIdEiiEEvbbbT3_PS3_NS_15floating_traitsIT1_E6data_tES3_T2_PKS9_SB_PKS3_PKS6_21rocsparse_index_base_SB_SB_SD_PS6_SH_SG_SB_SB_SD_SH_SH_SG_SH_SH_PS8_SI_PKS8_,@function
_ZN9rocsparseL6kernelILi1024ELi32E21rocsparse_complex_numIdEiiEEvbbbT3_PS3_NS_15floating_traitsIT1_E6data_tES3_T2_PKS9_SB_PKS3_PKS6_21rocsparse_index_base_SB_SB_SD_PS6_SH_SG_SB_SB_SD_SH_SH_SG_SH_SH_PS8_SI_PKS8_: ; @_ZN9rocsparseL6kernelILi1024ELi32E21rocsparse_complex_numIdEiiEEvbbbT3_PS3_NS_15floating_traitsIT1_E6data_tES3_T2_PKS9_SB_PKS3_PKS6_21rocsparse_index_base_SB_SB_SD_PS6_SH_SG_SB_SB_SD_SH_SH_SG_SH_SH_PS8_SI_PKS8_
; %bb.0:
	s_clause 0x4
	s_load_b32 s2, s[0:1], 0x0
	s_load_b64 s[10:11], s[0:1], 0x0
	s_load_b32 s57, s[0:1], 0x18
	s_load_b128 s[44:47], s[0:1], 0x8
	s_load_b128 s[28:31], s[0:1], 0xb8
	v_lshrrev_b32_e32 v38, 5, v0
	v_mov_b32_e32 v3, 0
	v_dual_mov_b32 v5, 0 :: v_dual_mov_b32 v4, 0
	s_delay_alu instid0(VALU_DEP_2) | instskip(SKIP_1) | instid1(VALU_DEP_3)
	v_mov_b32_e32 v1, v3
	v_lshlrev_b32_e32 v41, 3, v0
	v_dual_mov_b32 v6, v5 :: v_dual_and_b32 v39, 31, v0
	s_delay_alu instid0(VALU_DEP_4)
	v_mov_b32_e32 v2, v4
	v_mbcnt_lo_u32_b32 v40, -1, 0
	s_mov_b32 s59, 0
	ds_store_b64 v41, v[5:6]
	s_waitcnt lgkmcnt(0)
	s_barrier
	s_bitcmp1_b32 s2, 0
	buffer_gl0_inv
	s_cselect_b32 s58, -1, 0
	s_bitcmp1_b32 s2, 8
	s_cselect_b32 s56, -1, 0
	s_bitcmp1_b32 s10, 16
	s_cselect_b32 s33, -1, 0
	s_lshl_b32 s64, s15, 10
	s_cmp_gt_i32 s11, 0
	v_or_b32_e32 v42, s64, v38
	s_cselect_b32 s2, -1, 0
	s_delay_alu instid0(VALU_DEP_1) | instskip(SKIP_1) | instid1(SALU_CYCLE_1)
	v_cmp_gt_i32_e32 vcc_lo, s57, v42
	s_and_b32 s2, s2, vcc_lo
	s_and_saveexec_b32 s60, s2
	s_cbranch_execz .LBB54_172
; %bb.1:
	s_clause 0x9
	s_load_b32 s61, s[0:1], 0x40
	s_load_b32 s62, s[0:1], 0x70
	;; [unrolled: 1-line block ×3, first 2 shown]
	s_load_b64 s[34:35], s[0:1], 0x98
	s_load_b64 s[52:53], s[0:1], 0x68
	s_load_b64 s[54:55], s[0:1], 0xc8
	s_load_b128 s[48:51], s[0:1], 0xa8
	s_load_b256 s[12:19], s[0:1], 0x78
	s_load_b256 s[20:27], s[0:1], 0x48
	s_load_b256 s[36:43], s[0:1], 0x20
	v_dual_mov_b32 v1, 0 :: v_dual_mov_b32 v18, 0
	v_dual_mov_b32 v2, 0 :: v_dual_lshlrev_b32 v43, 3, v38
	s_addk_i32 s64, 0x400
	v_cmp_eq_u32_e64 s0, 31, v39
	v_cmp_gt_u32_e64 s1, 16, v0
	v_cmp_gt_u32_e64 s2, 8, v0
	;; [unrolled: 1-line block ×4, first 2 shown]
	v_cmp_eq_u32_e64 s5, 0, v0
	v_cmp_gt_u32_e64 s6, s64, v42
	s_waitcnt lgkmcnt(0)
	v_subrev_nc_u32_e32 v44, s61, v39
	v_subrev_nc_u32_e32 v45, s62, v39
	;; [unrolled: 1-line block ×3, first 2 shown]
	v_cmp_eq_u32_e64 s7, 0, v39
	v_dual_mov_b32 v4, v2 :: v_dual_mov_b32 v3, v1
	s_and_b32 s8, s56, s33
	s_xor_b32 s65, s56, -1
	s_xor_b32 s66, s8, -1
	s_mov_b32 s67, 0
	s_branch .LBB54_3
.LBB54_2:                               ;   in Loop: Header=BB54_3 Depth=1
	s_or_b32 exec_lo, exec_lo, s10
	s_delay_alu instid0(SALU_CYCLE_1) | instskip(NEXT) | instid1(SALU_CYCLE_1)
	s_and_b32 s8, exec_lo, s9
	s_or_b32 s59, s8, s59
	s_delay_alu instid0(SALU_CYCLE_1)
	s_and_not1_b32 exec_lo, exec_lo, s59
	s_cbranch_execz .LBB54_171
.LBB54_3:                               ; =>This Loop Header: Depth=1
                                        ;     Child Loop BB54_7 Depth 2
                                        ;       Child Loop BB54_12 Depth 3
                                        ;         Child Loop BB54_16 Depth 4
                                        ;         Child Loop BB54_51 Depth 4
	;; [unrolled: 1-line block ×5, first 2 shown]
                                        ;     Child Loop BB54_150 Depth 2
                                        ;       Child Loop BB54_153 Depth 3
                                        ;       Child Loop BB54_156 Depth 3
	s_delay_alu instid0(VALU_DEP_2) | instskip(NEXT) | instid1(VALU_DEP_3)
	v_cndmask_b32_e64 v4, v4, 0, s56
	v_cndmask_b32_e64 v3, v3, 0, s56
	s_delay_alu instid0(VALU_DEP_4)
	v_cndmask_b32_e64 v2, v2, 0, s33
	v_cndmask_b32_e64 v1, v1, 0, s33
	s_mov_b32 s68, 0
	s_branch .LBB54_7
.LBB54_4:                               ;   in Loop: Header=BB54_7 Depth=2
	s_or_b32 exec_lo, exec_lo, s71
.LBB54_5:                               ;   in Loop: Header=BB54_7 Depth=2
	s_delay_alu instid0(SALU_CYCLE_1)
	s_or_b32 exec_lo, exec_lo, s70
.LBB54_6:                               ;   in Loop: Header=BB54_7 Depth=2
	s_delay_alu instid0(SALU_CYCLE_1) | instskip(SKIP_1) | instid1(SALU_CYCLE_1)
	s_or_b32 exec_lo, exec_lo, s69
	s_add_i32 s68, s68, 1
	s_cmp_eq_u32 s68, 32
	s_cbranch_scc1 .LBB54_119
.LBB54_7:                               ;   Parent Loop BB54_3 Depth=1
                                        ; =>  This Loop Header: Depth=2
                                        ;       Child Loop BB54_12 Depth 3
                                        ;         Child Loop BB54_16 Depth 4
                                        ;         Child Loop BB54_51 Depth 4
	;; [unrolled: 1-line block ×5, first 2 shown]
	v_lshl_add_u32 v19, s68, 5, v42
	s_mov_b32 s69, exec_lo
	s_delay_alu instid0(VALU_DEP_1)
	v_cmpx_gt_i32_e64 s57, v19
	s_cbranch_execz .LBB54_6
; %bb.8:                                ;   in Loop: Header=BB54_7 Depth=2
	v_ashrrev_i32_e32 v20, 31, v19
	s_mov_b32 s70, exec_lo
	s_delay_alu instid0(VALU_DEP_1) | instskip(NEXT) | instid1(VALU_DEP_1)
	v_lshlrev_b64 v[5:6], 2, v[19:20]
	v_add_co_u32 v7, vcc_lo, s36, v5
	s_delay_alu instid0(VALU_DEP_2)
	v_add_co_ci_u32_e32 v8, vcc_lo, s37, v6, vcc_lo
	v_add_co_u32 v9, vcc_lo, s38, v5
	v_add_co_ci_u32_e32 v10, vcc_lo, s39, v6, vcc_lo
	global_load_b32 v7, v[7:8], off
	global_load_b32 v8, v[9:10], off
	s_waitcnt vmcnt(1)
	v_add_nc_u32_e32 v20, v44, v7
	s_waitcnt vmcnt(0)
	v_subrev_nc_u32_e32 v47, s61, v8
	s_delay_alu instid0(VALU_DEP_1)
	v_cmpx_lt_i32_e64 v20, v47
	s_cbranch_execz .LBB54_5
; %bb.9:                                ;   in Loop: Header=BB54_7 Depth=2
	v_add_co_u32 v7, vcc_lo, s20, v5
	v_add_co_ci_u32_e32 v8, vcc_lo, s21, v6, vcc_lo
	v_add_co_u32 v5, vcc_lo, s22, v5
	v_add_co_ci_u32_e32 v6, vcc_lo, s23, v6, vcc_lo
	global_load_b32 v7, v[7:8], off
	s_mov_b32 s71, 0
	global_load_b32 v8, v[5:6], off
	s_waitcnt vmcnt(1)
	v_subrev_nc_u32_e32 v22, s62, v7
	s_waitcnt vmcnt(0)
	v_sub_nc_u32_e32 v48, v8, v7
	s_delay_alu instid0(VALU_DEP_2) | instskip(NEXT) | instid1(VALU_DEP_2)
	v_ashrrev_i32_e32 v23, 31, v22
	v_cmp_lt_i32_e64 s8, 0, v48
	s_delay_alu instid0(VALU_DEP_2) | instskip(SKIP_1) | instid1(VALU_DEP_2)
	v_lshlrev_b64 v[5:6], 2, v[22:23]
	v_lshlrev_b64 v[7:8], 4, v[22:23]
	v_add_co_u32 v49, vcc_lo, s24, v5
	s_delay_alu instid0(VALU_DEP_3) | instskip(NEXT) | instid1(VALU_DEP_3)
	v_add_co_ci_u32_e32 v50, vcc_lo, s25, v6, vcc_lo
	v_add_co_u32 v51, vcc_lo, s26, v7
	s_delay_alu instid0(VALU_DEP_4)
	v_add_co_ci_u32_e32 v52, vcc_lo, s27, v8, vcc_lo
	s_branch .LBB54_12
.LBB54_10:                              ;   in Loop: Header=BB54_12 Depth=3
	s_or_b32 exec_lo, exec_lo, s9
.LBB54_11:                              ;   in Loop: Header=BB54_12 Depth=3
	s_delay_alu instid0(SALU_CYCLE_1) | instskip(SKIP_1) | instid1(VALU_DEP_1)
	s_or_b32 exec_lo, exec_lo, s10
	v_add_nc_u32_e32 v20, 32, v20
	v_cmp_ge_i32_e32 vcc_lo, v20, v47
	s_or_b32 s71, vcc_lo, s71
	s_delay_alu instid0(SALU_CYCLE_1)
	s_and_not1_b32 exec_lo, exec_lo, s71
	s_cbranch_execz .LBB54_4
.LBB54_12:                              ;   Parent Loop BB54_3 Depth=1
                                        ;     Parent Loop BB54_7 Depth=2
                                        ; =>    This Loop Header: Depth=3
                                        ;         Child Loop BB54_16 Depth 4
                                        ;         Child Loop BB54_51 Depth 4
	;; [unrolled: 1-line block ×5, first 2 shown]
	v_ashrrev_i32_e32 v21, 31, v20
	v_mov_b32_e32 v25, 0
	v_dual_mov_b32 v26, 0 :: v_dual_mov_b32 v17, 0
	v_mov_b32_e32 v31, 0
	s_delay_alu instid0(VALU_DEP_4) | instskip(NEXT) | instid1(VALU_DEP_3)
	v_lshlrev_b64 v[5:6], 2, v[20:21]
	v_dual_mov_b32 v28, v26 :: v_dual_mov_b32 v27, v25
	s_delay_alu instid0(VALU_DEP_2) | instskip(NEXT) | instid1(VALU_DEP_3)
	v_add_co_u32 v5, vcc_lo, s40, v5
	v_add_co_ci_u32_e32 v6, vcc_lo, s41, v6, vcc_lo
	global_load_b32 v5, v[5:6], off
	s_waitcnt vmcnt(0)
	v_subrev_nc_u32_e32 v23, s61, v5
	s_delay_alu instid0(VALU_DEP_1) | instskip(NEXT) | instid1(VALU_DEP_1)
	v_ashrrev_i32_e32 v24, 31, v23
	v_lshlrev_b64 v[5:6], 2, v[23:24]
	s_delay_alu instid0(VALU_DEP_1) | instskip(NEXT) | instid1(VALU_DEP_2)
	v_add_co_u32 v7, vcc_lo, s12, v5
	v_add_co_ci_u32_e32 v8, vcc_lo, s13, v6, vcc_lo
	v_add_co_u32 v5, vcc_lo, s14, v5
	v_add_co_ci_u32_e32 v6, vcc_lo, s15, v6, vcc_lo
	global_load_b32 v7, v[7:8], off
	global_load_b32 v5, v[5:6], off
	s_waitcnt vmcnt(1)
	v_subrev_nc_u32_e32 v29, s63, v7
	s_waitcnt vmcnt(0)
	v_sub_nc_u32_e32 v53, v5, v7
	s_and_saveexec_b32 s10, s8
	s_cbranch_execz .LBB54_20
; %bb.13:                               ;   in Loop: Header=BB54_12 Depth=3
	v_ashrrev_i32_e32 v30, 31, v29
	v_mov_b32_e32 v25, 0
	v_dual_mov_b32 v31, 0 :: v_dual_mov_b32 v26, 0
	s_mov_b32 s72, 0
	s_delay_alu instid0(VALU_DEP_3) | instskip(SKIP_1) | instid1(VALU_DEP_3)
	v_lshlrev_b64 v[5:6], 2, v[29:30]
	v_lshlrev_b64 v[7:8], 4, v[29:30]
	v_dual_mov_b32 v17, v31 :: v_dual_mov_b32 v28, v26
	v_mov_b32_e32 v27, v25
                                        ; implicit-def: $sgpr73
	s_delay_alu instid0(VALU_DEP_4)
	v_add_co_u32 v5, vcc_lo, s16, v5
	v_add_co_ci_u32_e32 v6, vcc_lo, s17, v6, vcc_lo
	v_add_co_u32 v7, vcc_lo, s18, v7
	v_add_co_ci_u32_e32 v8, vcc_lo, s19, v8, vcc_lo
	s_branch .LBB54_16
.LBB54_14:                              ;   in Loop: Header=BB54_16 Depth=4
	s_or_b32 exec_lo, exec_lo, s9
	v_cmp_le_i32_e32 vcc_lo, v9, v10
	v_cmp_ge_i32_e64 s9, v9, v10
	v_add_co_ci_u32_e32 v17, vcc_lo, 0, v17, vcc_lo
	s_delay_alu instid0(VALU_DEP_2) | instskip(SKIP_1) | instid1(VALU_DEP_2)
	v_add_co_ci_u32_e64 v31, s9, 0, v31, s9
	s_and_not1_b32 s9, s73, exec_lo
	v_cmp_ge_i32_e32 vcc_lo, v17, v48
	s_and_b32 s73, vcc_lo, exec_lo
	s_delay_alu instid0(SALU_CYCLE_1)
	s_or_b32 s73, s9, s73
.LBB54_15:                              ;   in Loop: Header=BB54_16 Depth=4
	s_or_b32 exec_lo, exec_lo, s74
	s_delay_alu instid0(SALU_CYCLE_1) | instskip(NEXT) | instid1(SALU_CYCLE_1)
	s_and_b32 s9, exec_lo, s73
	s_or_b32 s72, s9, s72
	s_delay_alu instid0(SALU_CYCLE_1)
	s_and_not1_b32 exec_lo, exec_lo, s72
	s_cbranch_execz .LBB54_19
.LBB54_16:                              ;   Parent Loop BB54_3 Depth=1
                                        ;     Parent Loop BB54_7 Depth=2
                                        ;       Parent Loop BB54_12 Depth=3
                                        ; =>      This Inner Loop Header: Depth=4
	s_or_b32 s73, s73, exec_lo
	s_mov_b32 s74, exec_lo
	v_cmpx_lt_i32_e64 v31, v53
	s_cbranch_execz .LBB54_15
; %bb.17:                               ;   in Loop: Header=BB54_16 Depth=4
	v_mov_b32_e32 v32, v18
	v_lshlrev_b64 v[9:10], 2, v[17:18]
	s_mov_b32 s9, exec_lo
	s_delay_alu instid0(VALU_DEP_2) | instskip(NEXT) | instid1(VALU_DEP_2)
	v_lshlrev_b64 v[11:12], 2, v[31:32]
	v_add_co_u32 v9, vcc_lo, v49, v9
	s_delay_alu instid0(VALU_DEP_3) | instskip(NEXT) | instid1(VALU_DEP_3)
	v_add_co_ci_u32_e32 v10, vcc_lo, v50, v10, vcc_lo
	v_add_co_u32 v11, vcc_lo, v5, v11
	s_delay_alu instid0(VALU_DEP_4)
	v_add_co_ci_u32_e32 v12, vcc_lo, v6, v12, vcc_lo
	global_load_b32 v9, v[9:10], off
	global_load_b32 v10, v[11:12], off
	s_waitcnt vmcnt(1)
	v_subrev_nc_u32_e32 v9, s62, v9
	s_waitcnt vmcnt(0)
	v_subrev_nc_u32_e32 v10, s63, v10
	s_delay_alu instid0(VALU_DEP_1)
	v_cmpx_eq_u32_e64 v9, v10
	s_cbranch_execz .LBB54_14
; %bb.18:                               ;   in Loop: Header=BB54_16 Depth=4
	v_lshlrev_b64 v[11:12], 4, v[17:18]
	v_lshlrev_b64 v[13:14], 4, v[31:32]
	s_delay_alu instid0(VALU_DEP_2) | instskip(NEXT) | instid1(VALU_DEP_3)
	v_add_co_u32 v11, vcc_lo, v51, v11
	v_add_co_ci_u32_e32 v12, vcc_lo, v52, v12, vcc_lo
	s_delay_alu instid0(VALU_DEP_3) | instskip(NEXT) | instid1(VALU_DEP_4)
	v_add_co_u32 v15, vcc_lo, v7, v13
	v_add_co_ci_u32_e32 v16, vcc_lo, v8, v14, vcc_lo
	global_load_b128 v[11:14], v[11:12], off
	global_load_b128 v[32:35], v[15:16], off
	s_waitcnt vmcnt(0)
	v_fma_f64 v[15:16], v[11:12], v[32:33], v[25:26]
	v_fma_f64 v[27:28], v[13:14], v[32:33], v[27:28]
	s_delay_alu instid0(VALU_DEP_2) | instskip(NEXT) | instid1(VALU_DEP_2)
	v_fma_f64 v[25:26], -v[13:14], v[34:35], v[15:16]
	v_fma_f64 v[27:28], v[11:12], v[34:35], v[27:28]
	s_branch .LBB54_14
.LBB54_19:                              ;   in Loop: Header=BB54_12 Depth=3
	s_or_b32 exec_lo, exec_lo, s72
.LBB54_20:                              ;   in Loop: Header=BB54_12 Depth=3
	s_delay_alu instid0(SALU_CYCLE_1) | instskip(SKIP_3) | instid1(VALU_DEP_2)
	s_or_b32 exec_lo, exec_lo, s10
	v_lshlrev_b64 v[5:6], 4, v[20:21]
	v_cmp_le_i32_e64 s9, v19, v23
	s_mov_b32 s10, exec_lo
	v_add_co_u32 v5, vcc_lo, s42, v5
	s_delay_alu instid0(VALU_DEP_3)
	v_add_co_ci_u32_e32 v6, vcc_lo, s43, v6, vcc_lo
	global_load_b128 v[5:8], v[5:6], off
	s_waitcnt vmcnt(0)
	v_add_f64 v[9:10], v[5:6], -v[25:26]
	v_add_f64 v[11:12], v[7:8], -v[27:28]
	v_cmpx_gt_i32_e64 v19, v23
	s_cbranch_execz .LBB54_30
; %bb.21:                               ;   in Loop: Header=BB54_12 Depth=3
	v_lshlrev_b64 v[13:14], 4, v[23:24]
	s_mov_b32 s72, exec_lo
                                        ; implicit-def: $vgpr36_vgpr37
	s_delay_alu instid0(VALU_DEP_1) | instskip(NEXT) | instid1(VALU_DEP_2)
	v_add_co_u32 v13, vcc_lo, s48, v13
	v_add_co_ci_u32_e32 v14, vcc_lo, s49, v14, vcc_lo
	global_load_b128 v[13:16], v[13:14], off
	s_waitcnt vmcnt(0)
	v_cmp_gt_f64_e32 vcc_lo, 0, v[13:14]
	v_xor_b32_e32 v21, 0x80000000, v14
	v_mov_b32_e32 v32, v13
	v_xor_b32_e32 v30, 0x80000000, v16
	s_delay_alu instid0(VALU_DEP_3) | instskip(SKIP_1) | instid1(VALU_DEP_3)
	v_dual_mov_b32 v34, v15 :: v_dual_cndmask_b32 v33, v14, v21
	v_cmp_gt_f64_e32 vcc_lo, 0, v[15:16]
	v_cndmask_b32_e32 v35, v16, v30, vcc_lo
	s_delay_alu instid0(VALU_DEP_1)
	v_cmpx_ngt_f64_e32 v[32:33], v[34:35]
	s_xor_b32 s72, exec_lo, s72
	s_cbranch_execz .LBB54_25
; %bb.22:                               ;   in Loop: Header=BB54_12 Depth=3
	v_mov_b32_e32 v36, 0
	v_mov_b32_e32 v37, 0
	s_mov_b32 s73, exec_lo
	v_cmpx_neq_f64_e32 0, v[15:16]
	s_cbranch_execz .LBB54_24
; %bb.23:                               ;   in Loop: Header=BB54_12 Depth=3
	v_div_scale_f64 v[36:37], null, v[34:35], v[34:35], v[32:33]
	v_div_scale_f64 v[58:59], vcc_lo, v[32:33], v[34:35], v[32:33]
	s_delay_alu instid0(VALU_DEP_2) | instskip(SKIP_2) | instid1(VALU_DEP_1)
	v_rcp_f64_e32 v[54:55], v[36:37]
	s_waitcnt_depctr 0xfff
	v_fma_f64 v[56:57], -v[36:37], v[54:55], 1.0
	v_fma_f64 v[54:55], v[54:55], v[56:57], v[54:55]
	s_delay_alu instid0(VALU_DEP_1) | instskip(NEXT) | instid1(VALU_DEP_1)
	v_fma_f64 v[56:57], -v[36:37], v[54:55], 1.0
	v_fma_f64 v[54:55], v[54:55], v[56:57], v[54:55]
	s_delay_alu instid0(VALU_DEP_1) | instskip(NEXT) | instid1(VALU_DEP_1)
	v_mul_f64 v[56:57], v[58:59], v[54:55]
	v_fma_f64 v[36:37], -v[36:37], v[56:57], v[58:59]
	s_delay_alu instid0(VALU_DEP_1) | instskip(NEXT) | instid1(VALU_DEP_1)
	v_div_fmas_f64 v[36:37], v[36:37], v[54:55], v[56:57]
	v_div_fixup_f64 v[32:33], v[36:37], v[34:35], v[32:33]
	s_delay_alu instid0(VALU_DEP_1) | instskip(NEXT) | instid1(VALU_DEP_1)
	v_fma_f64 v[32:33], v[32:33], v[32:33], 1.0
	v_cmp_gt_f64_e32 vcc_lo, 0x10000000, v[32:33]
	v_cndmask_b32_e64 v21, 0, 1, vcc_lo
	s_delay_alu instid0(VALU_DEP_1) | instskip(NEXT) | instid1(VALU_DEP_1)
	v_lshlrev_b32_e32 v21, 8, v21
	v_ldexp_f64 v[32:33], v[32:33], v21
	v_cndmask_b32_e64 v21, 0, 0xffffff80, vcc_lo
	s_delay_alu instid0(VALU_DEP_2) | instskip(SKIP_4) | instid1(VALU_DEP_1)
	v_rsq_f64_e32 v[36:37], v[32:33]
	v_cmp_class_f64_e64 vcc_lo, v[32:33], 0x260
	s_waitcnt_depctr 0xfff
	v_mul_f64 v[54:55], v[32:33], v[36:37]
	v_mul_f64 v[36:37], v[36:37], 0.5
	v_fma_f64 v[56:57], -v[36:37], v[54:55], 0.5
	s_delay_alu instid0(VALU_DEP_1) | instskip(SKIP_1) | instid1(VALU_DEP_2)
	v_fma_f64 v[54:55], v[54:55], v[56:57], v[54:55]
	v_fma_f64 v[36:37], v[36:37], v[56:57], v[36:37]
	v_fma_f64 v[56:57], -v[54:55], v[54:55], v[32:33]
	s_delay_alu instid0(VALU_DEP_1) | instskip(NEXT) | instid1(VALU_DEP_1)
	v_fma_f64 v[54:55], v[56:57], v[36:37], v[54:55]
	v_fma_f64 v[56:57], -v[54:55], v[54:55], v[32:33]
	s_delay_alu instid0(VALU_DEP_1) | instskip(NEXT) | instid1(VALU_DEP_1)
	v_fma_f64 v[36:37], v[56:57], v[36:37], v[54:55]
	v_ldexp_f64 v[36:37], v[36:37], v21
	s_delay_alu instid0(VALU_DEP_1) | instskip(NEXT) | instid1(VALU_DEP_1)
	v_dual_cndmask_b32 v32, v36, v32 :: v_dual_cndmask_b32 v33, v37, v33
	v_mul_f64 v[36:37], v[34:35], v[32:33]
.LBB54_24:                              ;   in Loop: Header=BB54_12 Depth=3
	s_or_b32 exec_lo, exec_lo, s73
                                        ; implicit-def: $vgpr32_vgpr33
                                        ; implicit-def: $vgpr34_vgpr35
.LBB54_25:                              ;   in Loop: Header=BB54_12 Depth=3
	s_and_not1_saveexec_b32 s72, s72
	s_cbranch_execz .LBB54_27
; %bb.26:                               ;   in Loop: Header=BB54_12 Depth=3
	v_div_scale_f64 v[36:37], null, v[32:33], v[32:33], v[34:35]
	v_div_scale_f64 v[58:59], vcc_lo, v[34:35], v[32:33], v[34:35]
	s_delay_alu instid0(VALU_DEP_2) | instskip(SKIP_2) | instid1(VALU_DEP_1)
	v_rcp_f64_e32 v[54:55], v[36:37]
	s_waitcnt_depctr 0xfff
	v_fma_f64 v[56:57], -v[36:37], v[54:55], 1.0
	v_fma_f64 v[54:55], v[54:55], v[56:57], v[54:55]
	s_delay_alu instid0(VALU_DEP_1) | instskip(NEXT) | instid1(VALU_DEP_1)
	v_fma_f64 v[56:57], -v[36:37], v[54:55], 1.0
	v_fma_f64 v[54:55], v[54:55], v[56:57], v[54:55]
	s_delay_alu instid0(VALU_DEP_1) | instskip(NEXT) | instid1(VALU_DEP_1)
	v_mul_f64 v[56:57], v[58:59], v[54:55]
	v_fma_f64 v[36:37], -v[36:37], v[56:57], v[58:59]
	s_delay_alu instid0(VALU_DEP_1) | instskip(NEXT) | instid1(VALU_DEP_1)
	v_div_fmas_f64 v[36:37], v[36:37], v[54:55], v[56:57]
	v_div_fixup_f64 v[34:35], v[36:37], v[32:33], v[34:35]
	s_delay_alu instid0(VALU_DEP_1) | instskip(NEXT) | instid1(VALU_DEP_1)
	v_fma_f64 v[34:35], v[34:35], v[34:35], 1.0
	v_cmp_gt_f64_e32 vcc_lo, 0x10000000, v[34:35]
	v_cndmask_b32_e64 v21, 0, 1, vcc_lo
	s_delay_alu instid0(VALU_DEP_1) | instskip(NEXT) | instid1(VALU_DEP_1)
	v_lshlrev_b32_e32 v21, 8, v21
	v_ldexp_f64 v[34:35], v[34:35], v21
	v_cndmask_b32_e64 v21, 0, 0xffffff80, vcc_lo
	s_delay_alu instid0(VALU_DEP_2) | instskip(SKIP_4) | instid1(VALU_DEP_1)
	v_rsq_f64_e32 v[36:37], v[34:35]
	v_cmp_class_f64_e64 vcc_lo, v[34:35], 0x260
	s_waitcnt_depctr 0xfff
	v_mul_f64 v[54:55], v[34:35], v[36:37]
	v_mul_f64 v[36:37], v[36:37], 0.5
	v_fma_f64 v[56:57], -v[36:37], v[54:55], 0.5
	s_delay_alu instid0(VALU_DEP_1) | instskip(SKIP_1) | instid1(VALU_DEP_2)
	v_fma_f64 v[54:55], v[54:55], v[56:57], v[54:55]
	v_fma_f64 v[36:37], v[36:37], v[56:57], v[36:37]
	v_fma_f64 v[56:57], -v[54:55], v[54:55], v[34:35]
	s_delay_alu instid0(VALU_DEP_1) | instskip(NEXT) | instid1(VALU_DEP_1)
	v_fma_f64 v[54:55], v[56:57], v[36:37], v[54:55]
	v_fma_f64 v[56:57], -v[54:55], v[54:55], v[34:35]
	s_delay_alu instid0(VALU_DEP_1) | instskip(NEXT) | instid1(VALU_DEP_1)
	v_fma_f64 v[36:37], v[56:57], v[36:37], v[54:55]
	v_ldexp_f64 v[36:37], v[36:37], v21
	s_delay_alu instid0(VALU_DEP_1) | instskip(NEXT) | instid1(VALU_DEP_1)
	v_dual_cndmask_b32 v34, v36, v34 :: v_dual_cndmask_b32 v35, v37, v35
	v_mul_f64 v[36:37], v[32:33], v[34:35]
.LBB54_27:                              ;   in Loop: Header=BB54_12 Depth=3
	s_or_b32 exec_lo, exec_lo, s72
	v_mov_b32_e32 v32, 0
	v_mov_b32_e32 v33, 0
	s_mov_b32 s72, exec_lo
	s_delay_alu instid0(VALU_DEP_1) | instskip(NEXT) | instid1(VALU_DEP_4)
	v_dual_mov_b32 v35, v33 :: v_dual_mov_b32 v34, v32
	v_cmpx_lt_f64_e32 0, v[36:37]
	s_cbranch_execz .LBB54_29
; %bb.28:                               ;   in Loop: Header=BB54_12 Depth=3
	v_mul_f64 v[32:33], v[15:16], v[15:16]
	s_delay_alu instid0(VALU_DEP_1) | instskip(NEXT) | instid1(VALU_DEP_1)
	v_fma_f64 v[32:33], v[13:14], v[13:14], v[32:33]
	v_div_scale_f64 v[34:35], null, v[32:33], v[32:33], 1.0
	v_div_scale_f64 v[56:57], vcc_lo, 1.0, v[32:33], 1.0
	s_delay_alu instid0(VALU_DEP_2) | instskip(SKIP_2) | instid1(VALU_DEP_1)
	v_rcp_f64_e32 v[36:37], v[34:35]
	s_waitcnt_depctr 0xfff
	v_fma_f64 v[54:55], -v[34:35], v[36:37], 1.0
	v_fma_f64 v[36:37], v[36:37], v[54:55], v[36:37]
	s_delay_alu instid0(VALU_DEP_1) | instskip(NEXT) | instid1(VALU_DEP_1)
	v_fma_f64 v[54:55], -v[34:35], v[36:37], 1.0
	v_fma_f64 v[36:37], v[36:37], v[54:55], v[36:37]
	s_delay_alu instid0(VALU_DEP_1) | instskip(NEXT) | instid1(VALU_DEP_1)
	v_mul_f64 v[54:55], v[56:57], v[36:37]
	v_fma_f64 v[34:35], -v[34:35], v[54:55], v[56:57]
	v_mul_f64 v[56:57], v[11:12], v[15:16]
	v_mul_f64 v[15:16], v[15:16], -v[9:10]
	s_delay_alu instid0(VALU_DEP_3) | instskip(NEXT) | instid1(VALU_DEP_3)
	v_div_fmas_f64 v[34:35], v[34:35], v[36:37], v[54:55]
	v_fma_f64 v[9:10], v[9:10], v[13:14], v[56:57]
	s_delay_alu instid0(VALU_DEP_3) | instskip(NEXT) | instid1(VALU_DEP_3)
	v_fma_f64 v[11:12], v[11:12], v[13:14], v[15:16]
	v_div_fixup_f64 v[32:33], v[34:35], v[32:33], 1.0
	s_delay_alu instid0(VALU_DEP_1) | instskip(NEXT) | instid1(VALU_DEP_3)
	v_mul_f64 v[34:35], v[9:10], v[32:33]
	v_mul_f64 v[32:33], v[11:12], v[32:33]
.LBB54_29:                              ;   in Loop: Header=BB54_12 Depth=3
	s_or_b32 exec_lo, exec_lo, s72
	s_delay_alu instid0(VALU_DEP_1) | instskip(NEXT) | instid1(VALU_DEP_3)
	v_dual_mov_b32 v11, v32 :: v_dual_mov_b32 v12, v33
	v_dual_mov_b32 v9, v34 :: v_dual_mov_b32 v10, v35
.LBB54_30:                              ;   in Loop: Header=BB54_12 Depth=3
	s_or_b32 exec_lo, exec_lo, s10
	s_delay_alu instid0(VALU_DEP_1) | instskip(NEXT) | instid1(VALU_DEP_3)
	v_cmp_gt_f64_e32 vcc_lo, 0, v[9:10]
	v_cmp_gt_f64_e64 s10, 0, v[11:12]
	v_xor_b32_e32 v13, 0x80000000, v10
	v_xor_b32_e32 v15, 0x80000000, v12
                                        ; implicit-def: $vgpr32_vgpr33
	s_delay_alu instid0(VALU_DEP_2) | instskip(NEXT) | instid1(VALU_DEP_2)
	v_cndmask_b32_e32 v14, v10, v13, vcc_lo
	v_cndmask_b32_e64 v16, v12, v15, s10
	v_cndmask_b32_e32 v13, v9, v9, vcc_lo
	v_cndmask_b32_e64 v15, v11, v11, s10
	s_mov_b32 s10, exec_lo
	s_delay_alu instid0(VALU_DEP_1)
	v_cmpx_ngt_f64_e32 v[13:14], v[15:16]
	s_xor_b32 s10, exec_lo, s10
	s_cbranch_execnz .LBB54_34
; %bb.31:                               ;   in Loop: Header=BB54_12 Depth=3
	s_and_not1_saveexec_b32 s10, s10
	s_cbranch_execnz .LBB54_37
.LBB54_32:                              ;   in Loop: Header=BB54_12 Depth=3
	s_or_b32 exec_lo, exec_lo, s10
	s_delay_alu instid0(VALU_DEP_1) | instskip(NEXT) | instid1(VALU_DEP_1)
	v_cmp_class_f64_e64 s10, v[32:33], 0x1f8
	s_and_saveexec_b32 s72, s10
	s_cbranch_execnz .LBB54_38
.LBB54_33:                              ;   in Loop: Header=BB54_12 Depth=3
	s_or_b32 exec_lo, exec_lo, s72
	s_and_b32 s9, s10, s33
	s_delay_alu instid0(SALU_CYCLE_1)
	s_and_saveexec_b32 s10, s9
	s_cbranch_execz .LBB54_11
	s_branch .LBB54_79
.LBB54_34:                              ;   in Loop: Header=BB54_12 Depth=3
	v_mov_b32_e32 v32, 0
	v_mov_b32_e32 v33, 0
	s_mov_b32 s72, exec_lo
	v_cmpx_neq_f64_e32 0, v[11:12]
	s_cbranch_execz .LBB54_36
; %bb.35:                               ;   in Loop: Header=BB54_12 Depth=3
	v_div_scale_f64 v[32:33], null, v[15:16], v[15:16], v[13:14]
	v_div_scale_f64 v[54:55], vcc_lo, v[13:14], v[15:16], v[13:14]
	s_delay_alu instid0(VALU_DEP_2) | instskip(SKIP_2) | instid1(VALU_DEP_1)
	v_rcp_f64_e32 v[34:35], v[32:33]
	s_waitcnt_depctr 0xfff
	v_fma_f64 v[36:37], -v[32:33], v[34:35], 1.0
	v_fma_f64 v[34:35], v[34:35], v[36:37], v[34:35]
	s_delay_alu instid0(VALU_DEP_1) | instskip(NEXT) | instid1(VALU_DEP_1)
	v_fma_f64 v[36:37], -v[32:33], v[34:35], 1.0
	v_fma_f64 v[34:35], v[34:35], v[36:37], v[34:35]
	s_delay_alu instid0(VALU_DEP_1) | instskip(NEXT) | instid1(VALU_DEP_1)
	v_mul_f64 v[36:37], v[54:55], v[34:35]
	v_fma_f64 v[32:33], -v[32:33], v[36:37], v[54:55]
	s_delay_alu instid0(VALU_DEP_1) | instskip(NEXT) | instid1(VALU_DEP_1)
	v_div_fmas_f64 v[32:33], v[32:33], v[34:35], v[36:37]
	v_div_fixup_f64 v[13:14], v[32:33], v[15:16], v[13:14]
	s_delay_alu instid0(VALU_DEP_1) | instskip(NEXT) | instid1(VALU_DEP_1)
	v_fma_f64 v[13:14], v[13:14], v[13:14], 1.0
	v_cmp_gt_f64_e32 vcc_lo, 0x10000000, v[13:14]
	v_cndmask_b32_e64 v21, 0, 1, vcc_lo
	s_delay_alu instid0(VALU_DEP_1) | instskip(NEXT) | instid1(VALU_DEP_1)
	v_lshlrev_b32_e32 v21, 8, v21
	v_ldexp_f64 v[13:14], v[13:14], v21
	v_cndmask_b32_e64 v21, 0, 0xffffff80, vcc_lo
	s_delay_alu instid0(VALU_DEP_2) | instskip(SKIP_4) | instid1(VALU_DEP_1)
	v_rsq_f64_e32 v[32:33], v[13:14]
	v_cmp_class_f64_e64 vcc_lo, v[13:14], 0x260
	s_waitcnt_depctr 0xfff
	v_mul_f64 v[34:35], v[13:14], v[32:33]
	v_mul_f64 v[32:33], v[32:33], 0.5
	v_fma_f64 v[36:37], -v[32:33], v[34:35], 0.5
	s_delay_alu instid0(VALU_DEP_1) | instskip(SKIP_1) | instid1(VALU_DEP_2)
	v_fma_f64 v[34:35], v[34:35], v[36:37], v[34:35]
	v_fma_f64 v[32:33], v[32:33], v[36:37], v[32:33]
	v_fma_f64 v[36:37], -v[34:35], v[34:35], v[13:14]
	s_delay_alu instid0(VALU_DEP_1) | instskip(NEXT) | instid1(VALU_DEP_1)
	v_fma_f64 v[34:35], v[36:37], v[32:33], v[34:35]
	v_fma_f64 v[36:37], -v[34:35], v[34:35], v[13:14]
	s_delay_alu instid0(VALU_DEP_1) | instskip(NEXT) | instid1(VALU_DEP_1)
	v_fma_f64 v[32:33], v[36:37], v[32:33], v[34:35]
	v_ldexp_f64 v[32:33], v[32:33], v21
	s_delay_alu instid0(VALU_DEP_1) | instskip(NEXT) | instid1(VALU_DEP_1)
	v_dual_cndmask_b32 v14, v33, v14 :: v_dual_cndmask_b32 v13, v32, v13
	v_mul_f64 v[32:33], v[15:16], v[13:14]
.LBB54_36:                              ;   in Loop: Header=BB54_12 Depth=3
	s_or_b32 exec_lo, exec_lo, s72
                                        ; implicit-def: $vgpr13_vgpr14
                                        ; implicit-def: $vgpr15_vgpr16
	s_and_not1_saveexec_b32 s10, s10
	s_cbranch_execz .LBB54_32
.LBB54_37:                              ;   in Loop: Header=BB54_12 Depth=3
	v_div_scale_f64 v[32:33], null, v[13:14], v[13:14], v[15:16]
	v_div_scale_f64 v[54:55], vcc_lo, v[15:16], v[13:14], v[15:16]
	s_delay_alu instid0(VALU_DEP_2) | instskip(SKIP_2) | instid1(VALU_DEP_1)
	v_rcp_f64_e32 v[34:35], v[32:33]
	s_waitcnt_depctr 0xfff
	v_fma_f64 v[36:37], -v[32:33], v[34:35], 1.0
	v_fma_f64 v[34:35], v[34:35], v[36:37], v[34:35]
	s_delay_alu instid0(VALU_DEP_1) | instskip(NEXT) | instid1(VALU_DEP_1)
	v_fma_f64 v[36:37], -v[32:33], v[34:35], 1.0
	v_fma_f64 v[34:35], v[34:35], v[36:37], v[34:35]
	s_delay_alu instid0(VALU_DEP_1) | instskip(NEXT) | instid1(VALU_DEP_1)
	v_mul_f64 v[36:37], v[54:55], v[34:35]
	v_fma_f64 v[32:33], -v[32:33], v[36:37], v[54:55]
	s_delay_alu instid0(VALU_DEP_1) | instskip(NEXT) | instid1(VALU_DEP_1)
	v_div_fmas_f64 v[32:33], v[32:33], v[34:35], v[36:37]
	v_div_fixup_f64 v[15:16], v[32:33], v[13:14], v[15:16]
	s_delay_alu instid0(VALU_DEP_1) | instskip(NEXT) | instid1(VALU_DEP_1)
	v_fma_f64 v[15:16], v[15:16], v[15:16], 1.0
	v_cmp_gt_f64_e32 vcc_lo, 0x10000000, v[15:16]
	v_cndmask_b32_e64 v21, 0, 1, vcc_lo
	s_delay_alu instid0(VALU_DEP_1) | instskip(NEXT) | instid1(VALU_DEP_1)
	v_lshlrev_b32_e32 v21, 8, v21
	v_ldexp_f64 v[15:16], v[15:16], v21
	v_cndmask_b32_e64 v21, 0, 0xffffff80, vcc_lo
	s_delay_alu instid0(VALU_DEP_2) | instskip(SKIP_4) | instid1(VALU_DEP_1)
	v_rsq_f64_e32 v[32:33], v[15:16]
	v_cmp_class_f64_e64 vcc_lo, v[15:16], 0x260
	s_waitcnt_depctr 0xfff
	v_mul_f64 v[34:35], v[15:16], v[32:33]
	v_mul_f64 v[32:33], v[32:33], 0.5
	v_fma_f64 v[36:37], -v[32:33], v[34:35], 0.5
	s_delay_alu instid0(VALU_DEP_1) | instskip(SKIP_1) | instid1(VALU_DEP_2)
	v_fma_f64 v[34:35], v[34:35], v[36:37], v[34:35]
	v_fma_f64 v[32:33], v[32:33], v[36:37], v[32:33]
	v_fma_f64 v[36:37], -v[34:35], v[34:35], v[15:16]
	s_delay_alu instid0(VALU_DEP_1) | instskip(NEXT) | instid1(VALU_DEP_1)
	v_fma_f64 v[34:35], v[36:37], v[32:33], v[34:35]
	v_fma_f64 v[36:37], -v[34:35], v[34:35], v[15:16]
	s_delay_alu instid0(VALU_DEP_1) | instskip(NEXT) | instid1(VALU_DEP_1)
	v_fma_f64 v[32:33], v[36:37], v[32:33], v[34:35]
	v_ldexp_f64 v[32:33], v[32:33], v21
	s_delay_alu instid0(VALU_DEP_1) | instskip(NEXT) | instid1(VALU_DEP_1)
	v_dual_cndmask_b32 v16, v33, v16 :: v_dual_cndmask_b32 v15, v32, v15
	v_mul_f64 v[32:33], v[13:14], v[15:16]
	s_or_b32 exec_lo, exec_lo, s10
	s_delay_alu instid0(VALU_DEP_1) | instskip(NEXT) | instid1(VALU_DEP_1)
	v_cmp_class_f64_e64 s10, v[32:33], 0x1f8
	s_and_saveexec_b32 s72, s10
	s_cbranch_execz .LBB54_33
.LBB54_38:                              ;   in Loop: Header=BB54_12 Depth=3
	s_and_saveexec_b32 s73, s9
	s_delay_alu instid0(SALU_CYCLE_1)
	s_xor_b32 s73, exec_lo, s73
	s_cbranch_execz .LBB54_63
; %bb.39:                               ;   in Loop: Header=BB54_12 Depth=3
	s_mov_b32 s9, exec_lo
	v_cmpx_ge_i32_e64 v19, v23
	s_xor_b32 s74, exec_lo, s9
	s_cbranch_execz .LBB54_47
; %bb.40:                               ;   in Loop: Header=BB54_12 Depth=3
	v_lshlrev_b64 v[13:14], 4, v[23:24]
	s_delay_alu instid0(VALU_DEP_1) | instskip(NEXT) | instid1(VALU_DEP_2)
	v_add_co_u32 v15, vcc_lo, s50, v13
	v_add_co_ci_u32_e32 v16, vcc_lo, s51, v14, vcc_lo
	s_and_not1_b32 vcc_lo, exec_lo, s56
	global_store_b128 v[15:16], v[9:12], off
	s_cbranch_vccnz .LBB54_46
; %bb.41:                               ;   in Loop: Header=BB54_12 Depth=3
	v_add_co_u32 v13, vcc_lo, s48, v13
	v_add_co_ci_u32_e32 v14, vcc_lo, s49, v14, vcc_lo
	global_load_b128 v[13:16], v[13:14], off
	s_waitcnt vmcnt(0)
	v_add_f64 v[9:10], v[13:14], -v[9:10]
	v_add_f64 v[15:16], v[15:16], -v[11:12]
                                        ; implicit-def: $vgpr13_vgpr14
	s_delay_alu instid0(VALU_DEP_2) | instskip(NEXT) | instid1(VALU_DEP_2)
	v_cmp_gt_f64_e32 vcc_lo, 0, v[9:10]
	v_cmp_gt_f64_e64 s9, 0, v[15:16]
	v_xor_b32_e32 v11, 0x80000000, v10
	v_xor_b32_e32 v12, 0x80000000, v16
	s_delay_alu instid0(VALU_DEP_2) | instskip(NEXT) | instid1(VALU_DEP_2)
	v_dual_cndmask_b32 v10, v10, v11 :: v_dual_cndmask_b32 v9, v9, v9
	v_cndmask_b32_e64 v12, v16, v12, s9
	v_cndmask_b32_e64 v11, v15, v15, s9
	s_mov_b32 s9, exec_lo
	s_delay_alu instid0(VALU_DEP_1)
	v_cmpx_ngt_f64_e32 v[9:10], v[11:12]
	s_xor_b32 s9, exec_lo, s9
	s_cbranch_execnz .LBB54_107
; %bb.42:                               ;   in Loop: Header=BB54_12 Depth=3
	s_and_not1_saveexec_b32 s9, s9
	s_cbranch_execnz .LBB54_110
.LBB54_43:                              ;   in Loop: Header=BB54_12 Depth=3
	s_or_b32 exec_lo, exec_lo, s9
	s_delay_alu instid0(VALU_DEP_1) | instskip(NEXT) | instid1(VALU_DEP_1)
	v_cmp_class_f64_e64 s75, v[13:14], 0x1f8
	s_and_saveexec_b32 s9, s75
.LBB54_44:                              ;   in Loop: Header=BB54_12 Depth=3
	v_cmp_lt_f64_e32 vcc_lo, v[3:4], v[13:14]
	v_dual_cndmask_b32 v4, v4, v14 :: v_dual_cndmask_b32 v3, v3, v13
.LBB54_45:                              ;   in Loop: Header=BB54_12 Depth=3
	s_or_b32 exec_lo, exec_lo, s9
.LBB54_46:                              ;   in Loop: Header=BB54_12 Depth=3
                                        ; implicit-def: $vgpr9_vgpr10
.LBB54_47:                              ;   in Loop: Header=BB54_12 Depth=3
	s_and_not1_saveexec_b32 s74, s74
	s_cbranch_execz .LBB54_62
; %bb.48:                               ;   in Loop: Header=BB54_12 Depth=3
	s_mov_b32 s75, exec_lo
	v_cmpx_lt_i32_e64 v31, v53
	s_cbranch_execz .LBB54_61
; %bb.49:                               ;   in Loop: Header=BB54_12 Depth=3
	v_mov_b32_e32 v15, v31
	s_mov_b32 s9, 0
                                        ; implicit-def: $sgpr76
                                        ; implicit-def: $sgpr78
                                        ; implicit-def: $sgpr77
	s_set_inst_prefetch_distance 0x1
	s_branch .LBB54_51
	.p2align	6
.LBB54_50:                              ;   in Loop: Header=BB54_51 Depth=4
	s_or_b32 exec_lo, exec_lo, s79
	s_delay_alu instid0(SALU_CYCLE_1) | instskip(NEXT) | instid1(SALU_CYCLE_1)
	s_and_b32 s79, exec_lo, s78
	s_or_b32 s9, s79, s9
	s_and_not1_b32 s76, s76, exec_lo
	s_and_b32 s79, s77, exec_lo
	s_delay_alu instid0(SALU_CYCLE_1)
	s_or_b32 s76, s76, s79
	s_and_not1_b32 exec_lo, exec_lo, s9
	s_cbranch_execz .LBB54_53
.LBB54_51:                              ;   Parent Loop BB54_3 Depth=1
                                        ;     Parent Loop BB54_7 Depth=2
                                        ;       Parent Loop BB54_12 Depth=3
                                        ; =>      This Inner Loop Header: Depth=4
	s_delay_alu instid0(VALU_DEP_1) | instskip(SKIP_3) | instid1(VALU_DEP_1)
	v_add_nc_u32_e32 v13, v29, v15
	s_or_b32 s77, s77, exec_lo
	s_or_b32 s78, s78, exec_lo
	s_mov_b32 s79, exec_lo
	v_ashrrev_i32_e32 v14, 31, v13
	s_delay_alu instid0(VALU_DEP_1) | instskip(NEXT) | instid1(VALU_DEP_1)
	v_lshlrev_b64 v[32:33], 2, v[13:14]
	v_add_co_u32 v32, vcc_lo, s16, v32
	s_delay_alu instid0(VALU_DEP_2) | instskip(SKIP_3) | instid1(VALU_DEP_1)
	v_add_co_ci_u32_e32 v33, vcc_lo, s17, v33, vcc_lo
	global_load_b32 v16, v[32:33], off
	s_waitcnt vmcnt(0)
	v_subrev_nc_u32_e32 v16, s63, v16
	v_cmpx_ne_u32_e64 v16, v19
	s_cbranch_execz .LBB54_50
; %bb.52:                               ;   in Loop: Header=BB54_51 Depth=4
	v_add_nc_u32_e32 v15, 1, v15
	s_and_not1_b32 s78, s78, exec_lo
	s_and_not1_b32 s77, s77, exec_lo
	s_delay_alu instid0(VALU_DEP_1) | instskip(SKIP_1) | instid1(SALU_CYCLE_1)
	v_cmp_ge_i32_e32 vcc_lo, v15, v53
	s_and_b32 s80, vcc_lo, exec_lo
	s_or_b32 s78, s78, s80
	s_branch .LBB54_50
.LBB54_53:                              ;   in Loop: Header=BB54_12 Depth=3
	s_set_inst_prefetch_distance 0x2
	s_or_b32 exec_lo, exec_lo, s9
	s_and_saveexec_b32 s9, s76
	s_delay_alu instid0(SALU_CYCLE_1)
	s_xor_b32 s76, exec_lo, s9
	s_cbranch_execz .LBB54_60
; %bb.54:                               ;   in Loop: Header=BB54_12 Depth=3
	v_lshlrev_b64 v[13:14], 4, v[13:14]
	s_delay_alu instid0(VALU_DEP_1) | instskip(NEXT) | instid1(VALU_DEP_2)
	v_add_co_u32 v15, vcc_lo, s34, v13
	v_add_co_ci_u32_e32 v16, vcc_lo, s35, v14, vcc_lo
	s_and_not1_b32 vcc_lo, exec_lo, s56
	global_store_b128 v[15:16], v[9:12], off
	s_cbranch_vccnz .LBB54_60
; %bb.55:                               ;   in Loop: Header=BB54_12 Depth=3
	v_add_co_u32 v13, vcc_lo, s18, v13
	v_add_co_ci_u32_e32 v14, vcc_lo, s19, v14, vcc_lo
	global_load_b128 v[13:16], v[13:14], off
	s_waitcnt vmcnt(0)
	v_add_f64 v[9:10], v[13:14], -v[9:10]
	v_add_f64 v[15:16], v[15:16], -v[11:12]
                                        ; implicit-def: $vgpr13_vgpr14
	s_delay_alu instid0(VALU_DEP_2) | instskip(NEXT) | instid1(VALU_DEP_2)
	v_cmp_gt_f64_e32 vcc_lo, 0, v[9:10]
	v_cmp_gt_f64_e64 s9, 0, v[15:16]
	v_xor_b32_e32 v11, 0x80000000, v10
	v_xor_b32_e32 v12, 0x80000000, v16
	s_delay_alu instid0(VALU_DEP_2) | instskip(NEXT) | instid1(VALU_DEP_2)
	v_dual_cndmask_b32 v10, v10, v11 :: v_dual_cndmask_b32 v9, v9, v9
	v_cndmask_b32_e64 v12, v16, v12, s9
	v_cndmask_b32_e64 v11, v15, v15, s9
	s_mov_b32 s9, exec_lo
	s_delay_alu instid0(VALU_DEP_1)
	v_cmpx_ngt_f64_e32 v[9:10], v[11:12]
	s_xor_b32 s9, exec_lo, s9
	s_cbranch_execnz .LBB54_115
; %bb.56:                               ;   in Loop: Header=BB54_12 Depth=3
	s_and_not1_saveexec_b32 s9, s9
	s_cbranch_execnz .LBB54_118
.LBB54_57:                              ;   in Loop: Header=BB54_12 Depth=3
	s_or_b32 exec_lo, exec_lo, s9
	s_delay_alu instid0(VALU_DEP_1) | instskip(NEXT) | instid1(VALU_DEP_1)
	v_cmp_class_f64_e64 s77, v[13:14], 0x1f8
	s_and_saveexec_b32 s9, s77
.LBB54_58:                              ;   in Loop: Header=BB54_12 Depth=3
	v_cmp_lt_f64_e32 vcc_lo, v[3:4], v[13:14]
	v_dual_cndmask_b32 v4, v4, v14 :: v_dual_cndmask_b32 v3, v3, v13
.LBB54_59:                              ;   in Loop: Header=BB54_12 Depth=3
	s_or_b32 exec_lo, exec_lo, s9
.LBB54_60:                              ;   in Loop: Header=BB54_12 Depth=3
	s_delay_alu instid0(SALU_CYCLE_1)
	s_or_b32 exec_lo, exec_lo, s76
.LBB54_61:                              ;   in Loop: Header=BB54_12 Depth=3
	s_delay_alu instid0(SALU_CYCLE_1)
	s_or_b32 exec_lo, exec_lo, s75
.LBB54_62:                              ;   in Loop: Header=BB54_12 Depth=3
	s_delay_alu instid0(SALU_CYCLE_1)
	s_or_b32 exec_lo, exec_lo, s74
                                        ; implicit-def: $vgpr9_vgpr10
.LBB54_63:                              ;   in Loop: Header=BB54_12 Depth=3
	s_and_not1_saveexec_b32 s73, s73
	s_cbranch_execz .LBB54_78
; %bb.64:                               ;   in Loop: Header=BB54_12 Depth=3
	s_mov_b32 s74, exec_lo
	v_cmpx_lt_i32_e64 v17, v48
	s_cbranch_execz .LBB54_77
; %bb.65:                               ;   in Loop: Header=BB54_12 Depth=3
	v_mov_b32_e32 v15, v17
	s_mov_b32 s9, 0
                                        ; implicit-def: $sgpr75
                                        ; implicit-def: $sgpr77
                                        ; implicit-def: $sgpr76
	s_set_inst_prefetch_distance 0x1
	s_branch .LBB54_67
	.p2align	6
.LBB54_66:                              ;   in Loop: Header=BB54_67 Depth=4
	s_or_b32 exec_lo, exec_lo, s78
	s_delay_alu instid0(SALU_CYCLE_1) | instskip(NEXT) | instid1(SALU_CYCLE_1)
	s_and_b32 s78, exec_lo, s77
	s_or_b32 s9, s78, s9
	s_and_not1_b32 s75, s75, exec_lo
	s_and_b32 s78, s76, exec_lo
	s_delay_alu instid0(SALU_CYCLE_1)
	s_or_b32 s75, s75, s78
	s_and_not1_b32 exec_lo, exec_lo, s9
	s_cbranch_execz .LBB54_69
.LBB54_67:                              ;   Parent Loop BB54_3 Depth=1
                                        ;     Parent Loop BB54_7 Depth=2
                                        ;       Parent Loop BB54_12 Depth=3
                                        ; =>      This Inner Loop Header: Depth=4
	s_delay_alu instid0(VALU_DEP_1) | instskip(SKIP_3) | instid1(VALU_DEP_1)
	v_add_nc_u32_e32 v13, v22, v15
	s_or_b32 s76, s76, exec_lo
	s_or_b32 s77, s77, exec_lo
	s_mov_b32 s78, exec_lo
	v_ashrrev_i32_e32 v14, 31, v13
	s_delay_alu instid0(VALU_DEP_1) | instskip(NEXT) | instid1(VALU_DEP_1)
	v_lshlrev_b64 v[32:33], 2, v[13:14]
	v_add_co_u32 v32, vcc_lo, s24, v32
	s_delay_alu instid0(VALU_DEP_2) | instskip(SKIP_3) | instid1(VALU_DEP_1)
	v_add_co_ci_u32_e32 v33, vcc_lo, s25, v33, vcc_lo
	global_load_b32 v16, v[32:33], off
	s_waitcnt vmcnt(0)
	v_subrev_nc_u32_e32 v16, s62, v16
	v_cmpx_ne_u32_e64 v16, v23
	s_cbranch_execz .LBB54_66
; %bb.68:                               ;   in Loop: Header=BB54_67 Depth=4
	v_add_nc_u32_e32 v15, 1, v15
	s_and_not1_b32 s77, s77, exec_lo
	s_and_not1_b32 s76, s76, exec_lo
	s_delay_alu instid0(VALU_DEP_1) | instskip(SKIP_1) | instid1(SALU_CYCLE_1)
	v_cmp_ge_i32_e32 vcc_lo, v15, v48
	s_and_b32 s79, vcc_lo, exec_lo
	s_or_b32 s77, s77, s79
	s_branch .LBB54_66
.LBB54_69:                              ;   in Loop: Header=BB54_12 Depth=3
	s_set_inst_prefetch_distance 0x2
	s_or_b32 exec_lo, exec_lo, s9
	s_and_saveexec_b32 s9, s75
	s_delay_alu instid0(SALU_CYCLE_1)
	s_xor_b32 s75, exec_lo, s9
	s_cbranch_execz .LBB54_76
; %bb.70:                               ;   in Loop: Header=BB54_12 Depth=3
	v_lshlrev_b64 v[13:14], 4, v[13:14]
	s_delay_alu instid0(VALU_DEP_1) | instskip(NEXT) | instid1(VALU_DEP_2)
	v_add_co_u32 v15, vcc_lo, s52, v13
	v_add_co_ci_u32_e32 v16, vcc_lo, s53, v14, vcc_lo
	s_and_not1_b32 vcc_lo, exec_lo, s56
	global_store_b128 v[15:16], v[9:12], off
	s_cbranch_vccnz .LBB54_76
; %bb.71:                               ;   in Loop: Header=BB54_12 Depth=3
	v_add_co_u32 v13, vcc_lo, s26, v13
	v_add_co_ci_u32_e32 v14, vcc_lo, s27, v14, vcc_lo
	global_load_b128 v[13:16], v[13:14], off
	s_waitcnt vmcnt(0)
	v_add_f64 v[9:10], v[13:14], -v[9:10]
	v_add_f64 v[15:16], v[15:16], -v[11:12]
                                        ; implicit-def: $vgpr13_vgpr14
	s_delay_alu instid0(VALU_DEP_2) | instskip(NEXT) | instid1(VALU_DEP_2)
	v_cmp_gt_f64_e32 vcc_lo, 0, v[9:10]
	v_cmp_gt_f64_e64 s9, 0, v[15:16]
	v_xor_b32_e32 v11, 0x80000000, v10
	v_xor_b32_e32 v12, 0x80000000, v16
	s_delay_alu instid0(VALU_DEP_2) | instskip(NEXT) | instid1(VALU_DEP_2)
	v_dual_cndmask_b32 v10, v10, v11 :: v_dual_cndmask_b32 v9, v9, v9
	v_cndmask_b32_e64 v12, v16, v12, s9
	v_cndmask_b32_e64 v11, v15, v15, s9
	s_mov_b32 s9, exec_lo
	s_delay_alu instid0(VALU_DEP_1)
	v_cmpx_ngt_f64_e32 v[9:10], v[11:12]
	s_xor_b32 s9, exec_lo, s9
	s_cbranch_execnz .LBB54_111
; %bb.72:                               ;   in Loop: Header=BB54_12 Depth=3
	s_and_not1_saveexec_b32 s9, s9
	s_cbranch_execnz .LBB54_114
.LBB54_73:                              ;   in Loop: Header=BB54_12 Depth=3
	s_or_b32 exec_lo, exec_lo, s9
	s_delay_alu instid0(VALU_DEP_1) | instskip(NEXT) | instid1(VALU_DEP_1)
	v_cmp_class_f64_e64 s76, v[13:14], 0x1f8
	s_and_saveexec_b32 s9, s76
.LBB54_74:                              ;   in Loop: Header=BB54_12 Depth=3
	v_cmp_lt_f64_e32 vcc_lo, v[3:4], v[13:14]
	v_dual_cndmask_b32 v4, v4, v14 :: v_dual_cndmask_b32 v3, v3, v13
.LBB54_75:                              ;   in Loop: Header=BB54_12 Depth=3
	s_or_b32 exec_lo, exec_lo, s9
.LBB54_76:                              ;   in Loop: Header=BB54_12 Depth=3
	s_delay_alu instid0(SALU_CYCLE_1)
	s_or_b32 exec_lo, exec_lo, s75
.LBB54_77:                              ;   in Loop: Header=BB54_12 Depth=3
	s_delay_alu instid0(SALU_CYCLE_1)
	s_or_b32 exec_lo, exec_lo, s74
.LBB54_78:                              ;   in Loop: Header=BB54_12 Depth=3
	s_delay_alu instid0(SALU_CYCLE_1) | instskip(NEXT) | instid1(SALU_CYCLE_1)
	s_or_b32 exec_lo, exec_lo, s73
	s_or_b32 exec_lo, exec_lo, s72
	s_and_b32 s9, s10, s33
	s_delay_alu instid0(SALU_CYCLE_1)
	s_and_saveexec_b32 s10, s9
	s_cbranch_execz .LBB54_11
.LBB54_79:                              ;   in Loop: Header=BB54_12 Depth=3
	s_mov_b32 s9, exec_lo
	v_cmpx_ge_i32_e64 v31, v53
	s_xor_b32 s9, exec_lo, s9
	s_cbranch_execnz .LBB54_86
; %bb.80:                               ;   in Loop: Header=BB54_12 Depth=3
	s_and_not1_saveexec_b32 s9, s9
	s_cbranch_execnz .LBB54_100
.LBB54_81:                              ;   in Loop: Header=BB54_12 Depth=3
	s_or_b32 exec_lo, exec_lo, s9
	s_delay_alu instid0(SALU_CYCLE_1)
	s_mov_b32 s9, exec_lo
	v_cmpx_eq_u32_e64 v19, v23
	s_cbranch_execz .LBB54_83
.LBB54_82:                              ;   in Loop: Header=BB54_12 Depth=3
	v_lshlrev_b64 v[9:10], 4, v[23:24]
	s_delay_alu instid0(VALU_DEP_1) | instskip(NEXT) | instid1(VALU_DEP_2)
	v_add_co_u32 v9, vcc_lo, s48, v9
	v_add_co_ci_u32_e32 v10, vcc_lo, s49, v10, vcc_lo
	global_load_b128 v[9:12], v[9:10], off
	s_waitcnt vmcnt(0)
	v_add_f64 v[25:26], v[25:26], v[9:10]
	v_add_f64 v[27:28], v[27:28], v[11:12]
.LBB54_83:                              ;   in Loop: Header=BB54_12 Depth=3
	s_or_b32 exec_lo, exec_lo, s9
	s_delay_alu instid0(VALU_DEP_2) | instskip(NEXT) | instid1(VALU_DEP_2)
	v_add_f64 v[5:6], v[5:6], -v[25:26]
	v_add_f64 v[11:12], v[7:8], -v[27:28]
                                        ; implicit-def: $vgpr9_vgpr10
	s_delay_alu instid0(VALU_DEP_2) | instskip(NEXT) | instid1(VALU_DEP_2)
	v_cmp_gt_f64_e32 vcc_lo, 0, v[5:6]
	v_cmp_gt_f64_e64 s9, 0, v[11:12]
	v_xor_b32_e32 v7, 0x80000000, v6
	v_xor_b32_e32 v8, 0x80000000, v12
	s_delay_alu instid0(VALU_DEP_2) | instskip(NEXT) | instid1(VALU_DEP_2)
	v_dual_cndmask_b32 v6, v6, v7 :: v_dual_cndmask_b32 v5, v5, v5
	v_cndmask_b32_e64 v8, v12, v8, s9
	v_cndmask_b32_e64 v7, v11, v11, s9
	s_mov_b32 s9, exec_lo
	s_delay_alu instid0(VALU_DEP_1)
	v_cmpx_ngt_f64_e32 v[5:6], v[7:8]
	s_xor_b32 s9, exec_lo, s9
	s_cbranch_execnz .LBB54_91
; %bb.84:                               ;   in Loop: Header=BB54_12 Depth=3
	s_and_not1_saveexec_b32 s9, s9
	s_cbranch_execnz .LBB54_94
.LBB54_85:                              ;   in Loop: Header=BB54_12 Depth=3
	s_or_b32 exec_lo, exec_lo, s9
	s_delay_alu instid0(VALU_DEP_1) | instskip(NEXT) | instid1(VALU_DEP_1)
	v_cmp_class_f64_e64 s72, v[9:10], 0x1f8
	s_and_saveexec_b32 s9, s72
	s_cbranch_execz .LBB54_10
	s_branch .LBB54_95
.LBB54_86:                              ;   in Loop: Header=BB54_12 Depth=3
	s_mov_b32 s72, exec_lo
	v_cmpx_lt_i32_e64 v17, v48
	s_cbranch_execz .LBB54_99
; %bb.87:                               ;   in Loop: Header=BB54_12 Depth=3
	s_mov_b32 s74, 0
                                        ; implicit-def: $sgpr73
                                        ; implicit-def: $sgpr76
                                        ; implicit-def: $sgpr75
	s_set_inst_prefetch_distance 0x1
	s_branch .LBB54_89
	.p2align	6
.LBB54_88:                              ;   in Loop: Header=BB54_89 Depth=4
	s_or_b32 exec_lo, exec_lo, s77
	s_delay_alu instid0(SALU_CYCLE_1) | instskip(NEXT) | instid1(SALU_CYCLE_1)
	s_and_b32 s77, exec_lo, s76
	s_or_b32 s74, s77, s74
	s_and_not1_b32 s73, s73, exec_lo
	s_and_b32 s77, s75, exec_lo
	s_delay_alu instid0(SALU_CYCLE_1)
	s_or_b32 s73, s73, s77
	s_and_not1_b32 exec_lo, exec_lo, s74
	s_cbranch_execz .LBB54_96
.LBB54_89:                              ;   Parent Loop BB54_3 Depth=1
                                        ;     Parent Loop BB54_7 Depth=2
                                        ;       Parent Loop BB54_12 Depth=3
                                        ; =>      This Inner Loop Header: Depth=4
	v_add_nc_u32_e32 v9, v22, v17
	s_or_b32 s75, s75, exec_lo
	s_or_b32 s76, s76, exec_lo
	s_mov_b32 s77, exec_lo
	s_delay_alu instid0(VALU_DEP_1) | instskip(NEXT) | instid1(VALU_DEP_1)
	v_ashrrev_i32_e32 v10, 31, v9
	v_lshlrev_b64 v[11:12], 2, v[9:10]
	s_delay_alu instid0(VALU_DEP_1) | instskip(NEXT) | instid1(VALU_DEP_2)
	v_add_co_u32 v11, vcc_lo, s24, v11
	v_add_co_ci_u32_e32 v12, vcc_lo, s25, v12, vcc_lo
	global_load_b32 v11, v[11:12], off
	s_waitcnt vmcnt(0)
	v_subrev_nc_u32_e32 v11, s62, v11
	s_delay_alu instid0(VALU_DEP_1)
	v_cmpx_ne_u32_e64 v11, v23
	s_cbranch_execz .LBB54_88
; %bb.90:                               ;   in Loop: Header=BB54_89 Depth=4
	v_add_nc_u32_e32 v17, 1, v17
	s_and_not1_b32 s76, s76, exec_lo
	s_and_not1_b32 s75, s75, exec_lo
	s_delay_alu instid0(VALU_DEP_1) | instskip(SKIP_1) | instid1(SALU_CYCLE_1)
	v_cmp_ge_i32_e32 vcc_lo, v17, v48
	s_and_b32 s78, vcc_lo, exec_lo
	s_or_b32 s76, s76, s78
	s_branch .LBB54_88
.LBB54_91:                              ;   in Loop: Header=BB54_12 Depth=3
	v_mov_b32_e32 v9, 0
	v_mov_b32_e32 v10, 0
	s_mov_b32 s72, exec_lo
	v_cmpx_neq_f64_e32 0, v[11:12]
	s_cbranch_execz .LBB54_93
; %bb.92:                               ;   in Loop: Header=BB54_12 Depth=3
	v_div_scale_f64 v[9:10], null, v[7:8], v[7:8], v[5:6]
	v_div_scale_f64 v[15:16], vcc_lo, v[5:6], v[7:8], v[5:6]
	s_delay_alu instid0(VALU_DEP_2) | instskip(SKIP_2) | instid1(VALU_DEP_1)
	v_rcp_f64_e32 v[11:12], v[9:10]
	s_waitcnt_depctr 0xfff
	v_fma_f64 v[13:14], -v[9:10], v[11:12], 1.0
	v_fma_f64 v[11:12], v[11:12], v[13:14], v[11:12]
	s_delay_alu instid0(VALU_DEP_1) | instskip(NEXT) | instid1(VALU_DEP_1)
	v_fma_f64 v[13:14], -v[9:10], v[11:12], 1.0
	v_fma_f64 v[11:12], v[11:12], v[13:14], v[11:12]
	s_delay_alu instid0(VALU_DEP_1) | instskip(NEXT) | instid1(VALU_DEP_1)
	v_mul_f64 v[13:14], v[15:16], v[11:12]
	v_fma_f64 v[9:10], -v[9:10], v[13:14], v[15:16]
	s_delay_alu instid0(VALU_DEP_1) | instskip(NEXT) | instid1(VALU_DEP_1)
	v_div_fmas_f64 v[9:10], v[9:10], v[11:12], v[13:14]
	v_div_fixup_f64 v[5:6], v[9:10], v[7:8], v[5:6]
	s_delay_alu instid0(VALU_DEP_1) | instskip(NEXT) | instid1(VALU_DEP_1)
	v_fma_f64 v[5:6], v[5:6], v[5:6], 1.0
	v_cmp_gt_f64_e32 vcc_lo, 0x10000000, v[5:6]
	v_cndmask_b32_e64 v9, 0, 1, vcc_lo
	s_delay_alu instid0(VALU_DEP_1) | instskip(NEXT) | instid1(VALU_DEP_1)
	v_lshlrev_b32_e32 v9, 8, v9
	v_ldexp_f64 v[5:6], v[5:6], v9
	s_delay_alu instid0(VALU_DEP_1) | instskip(SKIP_3) | instid1(VALU_DEP_1)
	v_rsq_f64_e32 v[9:10], v[5:6]
	s_waitcnt_depctr 0xfff
	v_mul_f64 v[11:12], v[5:6], v[9:10]
	v_mul_f64 v[9:10], v[9:10], 0.5
	v_fma_f64 v[13:14], -v[9:10], v[11:12], 0.5
	s_delay_alu instid0(VALU_DEP_1) | instskip(SKIP_1) | instid1(VALU_DEP_2)
	v_fma_f64 v[11:12], v[11:12], v[13:14], v[11:12]
	v_fma_f64 v[9:10], v[9:10], v[13:14], v[9:10]
	v_fma_f64 v[13:14], -v[11:12], v[11:12], v[5:6]
	s_delay_alu instid0(VALU_DEP_1) | instskip(NEXT) | instid1(VALU_DEP_1)
	v_fma_f64 v[11:12], v[13:14], v[9:10], v[11:12]
	v_fma_f64 v[13:14], -v[11:12], v[11:12], v[5:6]
	s_delay_alu instid0(VALU_DEP_1) | instskip(SKIP_2) | instid1(VALU_DEP_2)
	v_fma_f64 v[9:10], v[13:14], v[9:10], v[11:12]
	v_cndmask_b32_e64 v11, 0, 0xffffff80, vcc_lo
	v_cmp_class_f64_e64 vcc_lo, v[5:6], 0x260
	v_ldexp_f64 v[9:10], v[9:10], v11
	s_delay_alu instid0(VALU_DEP_1) | instskip(NEXT) | instid1(VALU_DEP_1)
	v_dual_cndmask_b32 v6, v10, v6 :: v_dual_cndmask_b32 v5, v9, v5
	v_mul_f64 v[9:10], v[7:8], v[5:6]
.LBB54_93:                              ;   in Loop: Header=BB54_12 Depth=3
	s_or_b32 exec_lo, exec_lo, s72
                                        ; implicit-def: $vgpr5_vgpr6
                                        ; implicit-def: $vgpr7_vgpr8
	s_and_not1_saveexec_b32 s9, s9
	s_cbranch_execz .LBB54_85
.LBB54_94:                              ;   in Loop: Header=BB54_12 Depth=3
	v_div_scale_f64 v[9:10], null, v[5:6], v[5:6], v[7:8]
	v_div_scale_f64 v[15:16], vcc_lo, v[7:8], v[5:6], v[7:8]
	s_delay_alu instid0(VALU_DEP_2) | instskip(SKIP_2) | instid1(VALU_DEP_1)
	v_rcp_f64_e32 v[11:12], v[9:10]
	s_waitcnt_depctr 0xfff
	v_fma_f64 v[13:14], -v[9:10], v[11:12], 1.0
	v_fma_f64 v[11:12], v[11:12], v[13:14], v[11:12]
	s_delay_alu instid0(VALU_DEP_1) | instskip(NEXT) | instid1(VALU_DEP_1)
	v_fma_f64 v[13:14], -v[9:10], v[11:12], 1.0
	v_fma_f64 v[11:12], v[11:12], v[13:14], v[11:12]
	s_delay_alu instid0(VALU_DEP_1) | instskip(NEXT) | instid1(VALU_DEP_1)
	v_mul_f64 v[13:14], v[15:16], v[11:12]
	v_fma_f64 v[9:10], -v[9:10], v[13:14], v[15:16]
	s_delay_alu instid0(VALU_DEP_1) | instskip(NEXT) | instid1(VALU_DEP_1)
	v_div_fmas_f64 v[9:10], v[9:10], v[11:12], v[13:14]
	v_div_fixup_f64 v[7:8], v[9:10], v[5:6], v[7:8]
	s_delay_alu instid0(VALU_DEP_1) | instskip(NEXT) | instid1(VALU_DEP_1)
	v_fma_f64 v[7:8], v[7:8], v[7:8], 1.0
	v_cmp_gt_f64_e32 vcc_lo, 0x10000000, v[7:8]
	v_cndmask_b32_e64 v9, 0, 1, vcc_lo
	s_delay_alu instid0(VALU_DEP_1) | instskip(NEXT) | instid1(VALU_DEP_1)
	v_lshlrev_b32_e32 v9, 8, v9
	v_ldexp_f64 v[7:8], v[7:8], v9
	s_delay_alu instid0(VALU_DEP_1) | instskip(SKIP_3) | instid1(VALU_DEP_1)
	v_rsq_f64_e32 v[9:10], v[7:8]
	s_waitcnt_depctr 0xfff
	v_mul_f64 v[11:12], v[7:8], v[9:10]
	v_mul_f64 v[9:10], v[9:10], 0.5
	v_fma_f64 v[13:14], -v[9:10], v[11:12], 0.5
	s_delay_alu instid0(VALU_DEP_1) | instskip(SKIP_1) | instid1(VALU_DEP_2)
	v_fma_f64 v[11:12], v[11:12], v[13:14], v[11:12]
	v_fma_f64 v[9:10], v[9:10], v[13:14], v[9:10]
	v_fma_f64 v[13:14], -v[11:12], v[11:12], v[7:8]
	s_delay_alu instid0(VALU_DEP_1) | instskip(NEXT) | instid1(VALU_DEP_1)
	v_fma_f64 v[11:12], v[13:14], v[9:10], v[11:12]
	v_fma_f64 v[13:14], -v[11:12], v[11:12], v[7:8]
	s_delay_alu instid0(VALU_DEP_1) | instskip(SKIP_2) | instid1(VALU_DEP_2)
	v_fma_f64 v[9:10], v[13:14], v[9:10], v[11:12]
	v_cndmask_b32_e64 v11, 0, 0xffffff80, vcc_lo
	v_cmp_class_f64_e64 vcc_lo, v[7:8], 0x260
	v_ldexp_f64 v[9:10], v[9:10], v11
	s_delay_alu instid0(VALU_DEP_1) | instskip(NEXT) | instid1(VALU_DEP_1)
	v_dual_cndmask_b32 v8, v10, v8 :: v_dual_cndmask_b32 v7, v9, v7
	v_mul_f64 v[9:10], v[5:6], v[7:8]
	s_or_b32 exec_lo, exec_lo, s9
	s_delay_alu instid0(VALU_DEP_1) | instskip(NEXT) | instid1(VALU_DEP_1)
	v_cmp_class_f64_e64 s72, v[9:10], 0x1f8
	s_and_saveexec_b32 s9, s72
	s_cbranch_execz .LBB54_10
.LBB54_95:                              ;   in Loop: Header=BB54_12 Depth=3
	v_cmp_lt_f64_e32 vcc_lo, v[1:2], v[9:10]
	v_dual_cndmask_b32 v2, v2, v10 :: v_dual_cndmask_b32 v1, v1, v9
	s_branch .LBB54_10
.LBB54_96:                              ;   in Loop: Header=BB54_12 Depth=3
	s_set_inst_prefetch_distance 0x2
	s_or_b32 exec_lo, exec_lo, s74
	s_and_saveexec_b32 s74, s73
	s_delay_alu instid0(SALU_CYCLE_1)
	s_xor_b32 s73, exec_lo, s74
	s_cbranch_execz .LBB54_98
; %bb.97:                               ;   in Loop: Header=BB54_12 Depth=3
	v_lshlrev_b64 v[11:12], 4, v[23:24]
	v_lshlrev_b64 v[9:10], 4, v[9:10]
	s_delay_alu instid0(VALU_DEP_2) | instskip(NEXT) | instid1(VALU_DEP_3)
	v_add_co_u32 v11, vcc_lo, s48, v11
	v_add_co_ci_u32_e32 v12, vcc_lo, s49, v12, vcc_lo
	s_delay_alu instid0(VALU_DEP_3) | instskip(NEXT) | instid1(VALU_DEP_4)
	v_add_co_u32 v13, vcc_lo, s26, v9
	v_add_co_ci_u32_e32 v14, vcc_lo, s27, v10, vcc_lo
	global_load_b128 v[9:12], v[11:12], off
	global_load_b128 v[13:16], v[13:14], off
	s_waitcnt vmcnt(0)
	v_mul_f64 v[29:30], v[11:12], -v[15:16]
	v_mul_f64 v[11:12], v[11:12], v[13:14]
	s_delay_alu instid0(VALU_DEP_2) | instskip(NEXT) | instid1(VALU_DEP_2)
	v_fma_f64 v[13:14], v[13:14], v[9:10], v[29:30]
	v_fma_f64 v[9:10], v[15:16], v[9:10], v[11:12]
	s_delay_alu instid0(VALU_DEP_2) | instskip(NEXT) | instid1(VALU_DEP_2)
	v_add_f64 v[25:26], v[25:26], v[13:14]
	v_add_f64 v[27:28], v[27:28], v[9:10]
.LBB54_98:                              ;   in Loop: Header=BB54_12 Depth=3
	s_or_b32 exec_lo, exec_lo, s73
.LBB54_99:                              ;   in Loop: Header=BB54_12 Depth=3
	s_delay_alu instid0(SALU_CYCLE_1)
	s_or_b32 exec_lo, exec_lo, s72
                                        ; implicit-def: $vgpr31
                                        ; implicit-def: $vgpr29
                                        ; implicit-def: $vgpr53
	s_and_not1_saveexec_b32 s9, s9
	s_cbranch_execz .LBB54_81
.LBB54_100:                             ;   in Loop: Header=BB54_12 Depth=3
	s_mov_b32 s73, 0
                                        ; implicit-def: $sgpr72
                                        ; implicit-def: $sgpr75
                                        ; implicit-def: $sgpr74
	s_set_inst_prefetch_distance 0x1
	s_branch .LBB54_102
	.p2align	6
.LBB54_101:                             ;   in Loop: Header=BB54_102 Depth=4
	s_or_b32 exec_lo, exec_lo, s76
	s_delay_alu instid0(SALU_CYCLE_1) | instskip(NEXT) | instid1(SALU_CYCLE_1)
	s_and_b32 s76, exec_lo, s75
	s_or_b32 s73, s76, s73
	s_and_not1_b32 s72, s72, exec_lo
	s_and_b32 s76, s74, exec_lo
	s_delay_alu instid0(SALU_CYCLE_1)
	s_or_b32 s72, s72, s76
	s_and_not1_b32 exec_lo, exec_lo, s73
	s_cbranch_execz .LBB54_104
.LBB54_102:                             ;   Parent Loop BB54_3 Depth=1
                                        ;     Parent Loop BB54_7 Depth=2
                                        ;       Parent Loop BB54_12 Depth=3
                                        ; =>      This Inner Loop Header: Depth=4
	v_add_nc_u32_e32 v9, v29, v31
	s_or_b32 s74, s74, exec_lo
	s_or_b32 s75, s75, exec_lo
	s_mov_b32 s76, exec_lo
	s_delay_alu instid0(VALU_DEP_1) | instskip(NEXT) | instid1(VALU_DEP_1)
	v_ashrrev_i32_e32 v10, 31, v9
	v_lshlrev_b64 v[11:12], 2, v[9:10]
	s_delay_alu instid0(VALU_DEP_1) | instskip(NEXT) | instid1(VALU_DEP_2)
	v_add_co_u32 v11, vcc_lo, s16, v11
	v_add_co_ci_u32_e32 v12, vcc_lo, s17, v12, vcc_lo
	global_load_b32 v11, v[11:12], off
	s_waitcnt vmcnt(0)
	v_subrev_nc_u32_e32 v11, s63, v11
	s_delay_alu instid0(VALU_DEP_1)
	v_cmpx_ne_u32_e64 v11, v19
	s_cbranch_execz .LBB54_101
; %bb.103:                              ;   in Loop: Header=BB54_102 Depth=4
	v_add_nc_u32_e32 v31, 1, v31
	s_and_not1_b32 s75, s75, exec_lo
	s_and_not1_b32 s74, s74, exec_lo
	s_delay_alu instid0(VALU_DEP_1) | instskip(SKIP_1) | instid1(SALU_CYCLE_1)
	v_cmp_ge_i32_e32 vcc_lo, v31, v53
	s_and_b32 s77, vcc_lo, exec_lo
	s_or_b32 s75, s75, s77
	s_branch .LBB54_101
.LBB54_104:                             ;   in Loop: Header=BB54_12 Depth=3
	s_set_inst_prefetch_distance 0x2
	s_or_b32 exec_lo, exec_lo, s73
	s_and_saveexec_b32 s73, s72
	s_delay_alu instid0(SALU_CYCLE_1)
	s_xor_b32 s72, exec_lo, s73
	s_cbranch_execz .LBB54_106
; %bb.105:                              ;   in Loop: Header=BB54_12 Depth=3
	v_lshlrev_b64 v[9:10], 4, v[9:10]
	s_delay_alu instid0(VALU_DEP_1) | instskip(NEXT) | instid1(VALU_DEP_2)
	v_add_co_u32 v9, vcc_lo, s18, v9
	v_add_co_ci_u32_e32 v10, vcc_lo, s19, v10, vcc_lo
	global_load_b128 v[9:12], v[9:10], off
	s_waitcnt vmcnt(0)
	v_add_f64 v[25:26], v[25:26], v[9:10]
	v_add_f64 v[27:28], v[27:28], v[11:12]
.LBB54_106:                             ;   in Loop: Header=BB54_12 Depth=3
	s_or_b32 exec_lo, exec_lo, s72
	s_delay_alu instid0(SALU_CYCLE_1) | instskip(NEXT) | instid1(SALU_CYCLE_1)
	s_or_b32 exec_lo, exec_lo, s9
	s_mov_b32 s9, exec_lo
	v_cmpx_eq_u32_e64 v19, v23
	s_cbranch_execnz .LBB54_82
	s_branch .LBB54_83
.LBB54_107:                             ;   in Loop: Header=BB54_12 Depth=3
	v_mov_b32_e32 v13, 0
	v_mov_b32_e32 v14, 0
	s_mov_b32 s75, exec_lo
	v_cmpx_neq_f64_e32 0, v[15:16]
	s_cbranch_execz .LBB54_109
; %bb.108:                              ;   in Loop: Header=BB54_12 Depth=3
	v_div_scale_f64 v[13:14], null, v[11:12], v[11:12], v[9:10]
	v_div_scale_f64 v[34:35], vcc_lo, v[9:10], v[11:12], v[9:10]
	s_delay_alu instid0(VALU_DEP_2) | instskip(SKIP_2) | instid1(VALU_DEP_1)
	v_rcp_f64_e32 v[15:16], v[13:14]
	s_waitcnt_depctr 0xfff
	v_fma_f64 v[32:33], -v[13:14], v[15:16], 1.0
	v_fma_f64 v[15:16], v[15:16], v[32:33], v[15:16]
	s_delay_alu instid0(VALU_DEP_1) | instskip(NEXT) | instid1(VALU_DEP_1)
	v_fma_f64 v[32:33], -v[13:14], v[15:16], 1.0
	v_fma_f64 v[15:16], v[15:16], v[32:33], v[15:16]
	s_delay_alu instid0(VALU_DEP_1) | instskip(NEXT) | instid1(VALU_DEP_1)
	v_mul_f64 v[32:33], v[34:35], v[15:16]
	v_fma_f64 v[13:14], -v[13:14], v[32:33], v[34:35]
	s_delay_alu instid0(VALU_DEP_1) | instskip(NEXT) | instid1(VALU_DEP_1)
	v_div_fmas_f64 v[13:14], v[13:14], v[15:16], v[32:33]
	v_div_fixup_f64 v[9:10], v[13:14], v[11:12], v[9:10]
	s_delay_alu instid0(VALU_DEP_1) | instskip(NEXT) | instid1(VALU_DEP_1)
	v_fma_f64 v[9:10], v[9:10], v[9:10], 1.0
	v_cmp_gt_f64_e32 vcc_lo, 0x10000000, v[9:10]
	v_cndmask_b32_e64 v13, 0, 1, vcc_lo
	s_delay_alu instid0(VALU_DEP_1) | instskip(NEXT) | instid1(VALU_DEP_1)
	v_lshlrev_b32_e32 v13, 8, v13
	v_ldexp_f64 v[9:10], v[9:10], v13
	s_delay_alu instid0(VALU_DEP_1) | instskip(SKIP_3) | instid1(VALU_DEP_1)
	v_rsq_f64_e32 v[13:14], v[9:10]
	s_waitcnt_depctr 0xfff
	v_mul_f64 v[15:16], v[9:10], v[13:14]
	v_mul_f64 v[13:14], v[13:14], 0.5
	v_fma_f64 v[32:33], -v[13:14], v[15:16], 0.5
	s_delay_alu instid0(VALU_DEP_1) | instskip(SKIP_1) | instid1(VALU_DEP_2)
	v_fma_f64 v[15:16], v[15:16], v[32:33], v[15:16]
	v_fma_f64 v[13:14], v[13:14], v[32:33], v[13:14]
	v_fma_f64 v[32:33], -v[15:16], v[15:16], v[9:10]
	s_delay_alu instid0(VALU_DEP_1) | instskip(NEXT) | instid1(VALU_DEP_1)
	v_fma_f64 v[15:16], v[32:33], v[13:14], v[15:16]
	v_fma_f64 v[32:33], -v[15:16], v[15:16], v[9:10]
	s_delay_alu instid0(VALU_DEP_1) | instskip(SKIP_2) | instid1(VALU_DEP_2)
	v_fma_f64 v[13:14], v[32:33], v[13:14], v[15:16]
	v_cndmask_b32_e64 v15, 0, 0xffffff80, vcc_lo
	v_cmp_class_f64_e64 vcc_lo, v[9:10], 0x260
	v_ldexp_f64 v[13:14], v[13:14], v15
	s_delay_alu instid0(VALU_DEP_1) | instskip(NEXT) | instid1(VALU_DEP_1)
	v_dual_cndmask_b32 v10, v14, v10 :: v_dual_cndmask_b32 v9, v13, v9
	v_mul_f64 v[13:14], v[11:12], v[9:10]
.LBB54_109:                             ;   in Loop: Header=BB54_12 Depth=3
	s_or_b32 exec_lo, exec_lo, s75
                                        ; implicit-def: $vgpr9_vgpr10
                                        ; implicit-def: $vgpr11_vgpr12
	s_and_not1_saveexec_b32 s9, s9
	s_cbranch_execz .LBB54_43
.LBB54_110:                             ;   in Loop: Header=BB54_12 Depth=3
	v_div_scale_f64 v[13:14], null, v[9:10], v[9:10], v[11:12]
	v_div_scale_f64 v[34:35], vcc_lo, v[11:12], v[9:10], v[11:12]
	s_delay_alu instid0(VALU_DEP_2) | instskip(SKIP_2) | instid1(VALU_DEP_1)
	v_rcp_f64_e32 v[15:16], v[13:14]
	s_waitcnt_depctr 0xfff
	v_fma_f64 v[32:33], -v[13:14], v[15:16], 1.0
	v_fma_f64 v[15:16], v[15:16], v[32:33], v[15:16]
	s_delay_alu instid0(VALU_DEP_1) | instskip(NEXT) | instid1(VALU_DEP_1)
	v_fma_f64 v[32:33], -v[13:14], v[15:16], 1.0
	v_fma_f64 v[15:16], v[15:16], v[32:33], v[15:16]
	s_delay_alu instid0(VALU_DEP_1) | instskip(NEXT) | instid1(VALU_DEP_1)
	v_mul_f64 v[32:33], v[34:35], v[15:16]
	v_fma_f64 v[13:14], -v[13:14], v[32:33], v[34:35]
	s_delay_alu instid0(VALU_DEP_1) | instskip(NEXT) | instid1(VALU_DEP_1)
	v_div_fmas_f64 v[13:14], v[13:14], v[15:16], v[32:33]
	v_div_fixup_f64 v[11:12], v[13:14], v[9:10], v[11:12]
	s_delay_alu instid0(VALU_DEP_1) | instskip(NEXT) | instid1(VALU_DEP_1)
	v_fma_f64 v[11:12], v[11:12], v[11:12], 1.0
	v_cmp_gt_f64_e32 vcc_lo, 0x10000000, v[11:12]
	v_cndmask_b32_e64 v13, 0, 1, vcc_lo
	s_delay_alu instid0(VALU_DEP_1) | instskip(NEXT) | instid1(VALU_DEP_1)
	v_lshlrev_b32_e32 v13, 8, v13
	v_ldexp_f64 v[11:12], v[11:12], v13
	s_delay_alu instid0(VALU_DEP_1) | instskip(SKIP_3) | instid1(VALU_DEP_1)
	v_rsq_f64_e32 v[13:14], v[11:12]
	s_waitcnt_depctr 0xfff
	v_mul_f64 v[15:16], v[11:12], v[13:14]
	v_mul_f64 v[13:14], v[13:14], 0.5
	v_fma_f64 v[32:33], -v[13:14], v[15:16], 0.5
	s_delay_alu instid0(VALU_DEP_1) | instskip(SKIP_1) | instid1(VALU_DEP_2)
	v_fma_f64 v[15:16], v[15:16], v[32:33], v[15:16]
	v_fma_f64 v[13:14], v[13:14], v[32:33], v[13:14]
	v_fma_f64 v[32:33], -v[15:16], v[15:16], v[11:12]
	s_delay_alu instid0(VALU_DEP_1) | instskip(NEXT) | instid1(VALU_DEP_1)
	v_fma_f64 v[15:16], v[32:33], v[13:14], v[15:16]
	v_fma_f64 v[32:33], -v[15:16], v[15:16], v[11:12]
	s_delay_alu instid0(VALU_DEP_1) | instskip(SKIP_2) | instid1(VALU_DEP_2)
	v_fma_f64 v[13:14], v[32:33], v[13:14], v[15:16]
	v_cndmask_b32_e64 v15, 0, 0xffffff80, vcc_lo
	v_cmp_class_f64_e64 vcc_lo, v[11:12], 0x260
	v_ldexp_f64 v[13:14], v[13:14], v15
	s_delay_alu instid0(VALU_DEP_1) | instskip(NEXT) | instid1(VALU_DEP_1)
	v_dual_cndmask_b32 v12, v14, v12 :: v_dual_cndmask_b32 v11, v13, v11
	v_mul_f64 v[13:14], v[9:10], v[11:12]
	s_or_b32 exec_lo, exec_lo, s9
	s_delay_alu instid0(VALU_DEP_1) | instskip(NEXT) | instid1(VALU_DEP_1)
	v_cmp_class_f64_e64 s75, v[13:14], 0x1f8
	s_and_saveexec_b32 s9, s75
	s_cbranch_execnz .LBB54_44
	s_branch .LBB54_45
.LBB54_111:                             ;   in Loop: Header=BB54_12 Depth=3
	v_mov_b32_e32 v13, 0
	v_mov_b32_e32 v14, 0
	s_mov_b32 s76, exec_lo
	v_cmpx_neq_f64_e32 0, v[15:16]
	s_cbranch_execz .LBB54_113
; %bb.112:                              ;   in Loop: Header=BB54_12 Depth=3
	v_div_scale_f64 v[13:14], null, v[11:12], v[11:12], v[9:10]
	v_div_scale_f64 v[34:35], vcc_lo, v[9:10], v[11:12], v[9:10]
	s_delay_alu instid0(VALU_DEP_2) | instskip(SKIP_2) | instid1(VALU_DEP_1)
	v_rcp_f64_e32 v[15:16], v[13:14]
	s_waitcnt_depctr 0xfff
	v_fma_f64 v[32:33], -v[13:14], v[15:16], 1.0
	v_fma_f64 v[15:16], v[15:16], v[32:33], v[15:16]
	s_delay_alu instid0(VALU_DEP_1) | instskip(NEXT) | instid1(VALU_DEP_1)
	v_fma_f64 v[32:33], -v[13:14], v[15:16], 1.0
	v_fma_f64 v[15:16], v[15:16], v[32:33], v[15:16]
	s_delay_alu instid0(VALU_DEP_1) | instskip(NEXT) | instid1(VALU_DEP_1)
	v_mul_f64 v[32:33], v[34:35], v[15:16]
	v_fma_f64 v[13:14], -v[13:14], v[32:33], v[34:35]
	s_delay_alu instid0(VALU_DEP_1) | instskip(NEXT) | instid1(VALU_DEP_1)
	v_div_fmas_f64 v[13:14], v[13:14], v[15:16], v[32:33]
	v_div_fixup_f64 v[9:10], v[13:14], v[11:12], v[9:10]
	s_delay_alu instid0(VALU_DEP_1) | instskip(NEXT) | instid1(VALU_DEP_1)
	v_fma_f64 v[9:10], v[9:10], v[9:10], 1.0
	v_cmp_gt_f64_e32 vcc_lo, 0x10000000, v[9:10]
	v_cndmask_b32_e64 v13, 0, 1, vcc_lo
	s_delay_alu instid0(VALU_DEP_1) | instskip(NEXT) | instid1(VALU_DEP_1)
	v_lshlrev_b32_e32 v13, 8, v13
	v_ldexp_f64 v[9:10], v[9:10], v13
	s_delay_alu instid0(VALU_DEP_1) | instskip(SKIP_3) | instid1(VALU_DEP_1)
	v_rsq_f64_e32 v[13:14], v[9:10]
	s_waitcnt_depctr 0xfff
	v_mul_f64 v[15:16], v[9:10], v[13:14]
	v_mul_f64 v[13:14], v[13:14], 0.5
	v_fma_f64 v[32:33], -v[13:14], v[15:16], 0.5
	s_delay_alu instid0(VALU_DEP_1) | instskip(SKIP_1) | instid1(VALU_DEP_2)
	v_fma_f64 v[15:16], v[15:16], v[32:33], v[15:16]
	v_fma_f64 v[13:14], v[13:14], v[32:33], v[13:14]
	v_fma_f64 v[32:33], -v[15:16], v[15:16], v[9:10]
	s_delay_alu instid0(VALU_DEP_1) | instskip(NEXT) | instid1(VALU_DEP_1)
	v_fma_f64 v[15:16], v[32:33], v[13:14], v[15:16]
	v_fma_f64 v[32:33], -v[15:16], v[15:16], v[9:10]
	s_delay_alu instid0(VALU_DEP_1) | instskip(SKIP_2) | instid1(VALU_DEP_2)
	v_fma_f64 v[13:14], v[32:33], v[13:14], v[15:16]
	v_cndmask_b32_e64 v15, 0, 0xffffff80, vcc_lo
	v_cmp_class_f64_e64 vcc_lo, v[9:10], 0x260
	v_ldexp_f64 v[13:14], v[13:14], v15
	s_delay_alu instid0(VALU_DEP_1) | instskip(NEXT) | instid1(VALU_DEP_1)
	v_dual_cndmask_b32 v10, v14, v10 :: v_dual_cndmask_b32 v9, v13, v9
	v_mul_f64 v[13:14], v[11:12], v[9:10]
.LBB54_113:                             ;   in Loop: Header=BB54_12 Depth=3
	s_or_b32 exec_lo, exec_lo, s76
                                        ; implicit-def: $vgpr9_vgpr10
                                        ; implicit-def: $vgpr11_vgpr12
	s_and_not1_saveexec_b32 s9, s9
	s_cbranch_execz .LBB54_73
.LBB54_114:                             ;   in Loop: Header=BB54_12 Depth=3
	v_div_scale_f64 v[13:14], null, v[9:10], v[9:10], v[11:12]
	v_div_scale_f64 v[34:35], vcc_lo, v[11:12], v[9:10], v[11:12]
	s_delay_alu instid0(VALU_DEP_2) | instskip(SKIP_2) | instid1(VALU_DEP_1)
	v_rcp_f64_e32 v[15:16], v[13:14]
	s_waitcnt_depctr 0xfff
	v_fma_f64 v[32:33], -v[13:14], v[15:16], 1.0
	v_fma_f64 v[15:16], v[15:16], v[32:33], v[15:16]
	s_delay_alu instid0(VALU_DEP_1) | instskip(NEXT) | instid1(VALU_DEP_1)
	v_fma_f64 v[32:33], -v[13:14], v[15:16], 1.0
	v_fma_f64 v[15:16], v[15:16], v[32:33], v[15:16]
	s_delay_alu instid0(VALU_DEP_1) | instskip(NEXT) | instid1(VALU_DEP_1)
	v_mul_f64 v[32:33], v[34:35], v[15:16]
	v_fma_f64 v[13:14], -v[13:14], v[32:33], v[34:35]
	s_delay_alu instid0(VALU_DEP_1) | instskip(NEXT) | instid1(VALU_DEP_1)
	v_div_fmas_f64 v[13:14], v[13:14], v[15:16], v[32:33]
	v_div_fixup_f64 v[11:12], v[13:14], v[9:10], v[11:12]
	s_delay_alu instid0(VALU_DEP_1) | instskip(NEXT) | instid1(VALU_DEP_1)
	v_fma_f64 v[11:12], v[11:12], v[11:12], 1.0
	v_cmp_gt_f64_e32 vcc_lo, 0x10000000, v[11:12]
	v_cndmask_b32_e64 v13, 0, 1, vcc_lo
	s_delay_alu instid0(VALU_DEP_1) | instskip(NEXT) | instid1(VALU_DEP_1)
	v_lshlrev_b32_e32 v13, 8, v13
	v_ldexp_f64 v[11:12], v[11:12], v13
	s_delay_alu instid0(VALU_DEP_1) | instskip(SKIP_3) | instid1(VALU_DEP_1)
	v_rsq_f64_e32 v[13:14], v[11:12]
	s_waitcnt_depctr 0xfff
	v_mul_f64 v[15:16], v[11:12], v[13:14]
	v_mul_f64 v[13:14], v[13:14], 0.5
	v_fma_f64 v[32:33], -v[13:14], v[15:16], 0.5
	s_delay_alu instid0(VALU_DEP_1) | instskip(SKIP_1) | instid1(VALU_DEP_2)
	v_fma_f64 v[15:16], v[15:16], v[32:33], v[15:16]
	v_fma_f64 v[13:14], v[13:14], v[32:33], v[13:14]
	v_fma_f64 v[32:33], -v[15:16], v[15:16], v[11:12]
	s_delay_alu instid0(VALU_DEP_1) | instskip(NEXT) | instid1(VALU_DEP_1)
	v_fma_f64 v[15:16], v[32:33], v[13:14], v[15:16]
	v_fma_f64 v[32:33], -v[15:16], v[15:16], v[11:12]
	s_delay_alu instid0(VALU_DEP_1) | instskip(SKIP_2) | instid1(VALU_DEP_2)
	v_fma_f64 v[13:14], v[32:33], v[13:14], v[15:16]
	v_cndmask_b32_e64 v15, 0, 0xffffff80, vcc_lo
	v_cmp_class_f64_e64 vcc_lo, v[11:12], 0x260
	v_ldexp_f64 v[13:14], v[13:14], v15
	s_delay_alu instid0(VALU_DEP_1) | instskip(NEXT) | instid1(VALU_DEP_1)
	v_dual_cndmask_b32 v12, v14, v12 :: v_dual_cndmask_b32 v11, v13, v11
	v_mul_f64 v[13:14], v[9:10], v[11:12]
	s_or_b32 exec_lo, exec_lo, s9
	s_delay_alu instid0(VALU_DEP_1) | instskip(NEXT) | instid1(VALU_DEP_1)
	v_cmp_class_f64_e64 s76, v[13:14], 0x1f8
	s_and_saveexec_b32 s9, s76
	s_cbranch_execnz .LBB54_74
	s_branch .LBB54_75
.LBB54_115:                             ;   in Loop: Header=BB54_12 Depth=3
	v_mov_b32_e32 v13, 0
	v_mov_b32_e32 v14, 0
	s_mov_b32 s77, exec_lo
	v_cmpx_neq_f64_e32 0, v[15:16]
	s_cbranch_execz .LBB54_117
; %bb.116:                              ;   in Loop: Header=BB54_12 Depth=3
	v_div_scale_f64 v[13:14], null, v[11:12], v[11:12], v[9:10]
	v_div_scale_f64 v[34:35], vcc_lo, v[9:10], v[11:12], v[9:10]
	s_delay_alu instid0(VALU_DEP_2) | instskip(SKIP_2) | instid1(VALU_DEP_1)
	v_rcp_f64_e32 v[15:16], v[13:14]
	s_waitcnt_depctr 0xfff
	v_fma_f64 v[32:33], -v[13:14], v[15:16], 1.0
	v_fma_f64 v[15:16], v[15:16], v[32:33], v[15:16]
	s_delay_alu instid0(VALU_DEP_1) | instskip(NEXT) | instid1(VALU_DEP_1)
	v_fma_f64 v[32:33], -v[13:14], v[15:16], 1.0
	v_fma_f64 v[15:16], v[15:16], v[32:33], v[15:16]
	s_delay_alu instid0(VALU_DEP_1) | instskip(NEXT) | instid1(VALU_DEP_1)
	v_mul_f64 v[32:33], v[34:35], v[15:16]
	v_fma_f64 v[13:14], -v[13:14], v[32:33], v[34:35]
	s_delay_alu instid0(VALU_DEP_1) | instskip(NEXT) | instid1(VALU_DEP_1)
	v_div_fmas_f64 v[13:14], v[13:14], v[15:16], v[32:33]
	v_div_fixup_f64 v[9:10], v[13:14], v[11:12], v[9:10]
	s_delay_alu instid0(VALU_DEP_1) | instskip(NEXT) | instid1(VALU_DEP_1)
	v_fma_f64 v[9:10], v[9:10], v[9:10], 1.0
	v_cmp_gt_f64_e32 vcc_lo, 0x10000000, v[9:10]
	v_cndmask_b32_e64 v13, 0, 1, vcc_lo
	s_delay_alu instid0(VALU_DEP_1) | instskip(NEXT) | instid1(VALU_DEP_1)
	v_lshlrev_b32_e32 v13, 8, v13
	v_ldexp_f64 v[9:10], v[9:10], v13
	s_delay_alu instid0(VALU_DEP_1) | instskip(SKIP_3) | instid1(VALU_DEP_1)
	v_rsq_f64_e32 v[13:14], v[9:10]
	s_waitcnt_depctr 0xfff
	v_mul_f64 v[15:16], v[9:10], v[13:14]
	v_mul_f64 v[13:14], v[13:14], 0.5
	v_fma_f64 v[32:33], -v[13:14], v[15:16], 0.5
	s_delay_alu instid0(VALU_DEP_1) | instskip(SKIP_1) | instid1(VALU_DEP_2)
	v_fma_f64 v[15:16], v[15:16], v[32:33], v[15:16]
	v_fma_f64 v[13:14], v[13:14], v[32:33], v[13:14]
	v_fma_f64 v[32:33], -v[15:16], v[15:16], v[9:10]
	s_delay_alu instid0(VALU_DEP_1) | instskip(NEXT) | instid1(VALU_DEP_1)
	v_fma_f64 v[15:16], v[32:33], v[13:14], v[15:16]
	v_fma_f64 v[32:33], -v[15:16], v[15:16], v[9:10]
	s_delay_alu instid0(VALU_DEP_1) | instskip(SKIP_2) | instid1(VALU_DEP_2)
	v_fma_f64 v[13:14], v[32:33], v[13:14], v[15:16]
	v_cndmask_b32_e64 v15, 0, 0xffffff80, vcc_lo
	v_cmp_class_f64_e64 vcc_lo, v[9:10], 0x260
	v_ldexp_f64 v[13:14], v[13:14], v15
	s_delay_alu instid0(VALU_DEP_1) | instskip(NEXT) | instid1(VALU_DEP_1)
	v_dual_cndmask_b32 v10, v14, v10 :: v_dual_cndmask_b32 v9, v13, v9
	v_mul_f64 v[13:14], v[11:12], v[9:10]
.LBB54_117:                             ;   in Loop: Header=BB54_12 Depth=3
	s_or_b32 exec_lo, exec_lo, s77
                                        ; implicit-def: $vgpr9_vgpr10
                                        ; implicit-def: $vgpr11_vgpr12
	s_and_not1_saveexec_b32 s9, s9
	s_cbranch_execz .LBB54_57
.LBB54_118:                             ;   in Loop: Header=BB54_12 Depth=3
	v_div_scale_f64 v[13:14], null, v[9:10], v[9:10], v[11:12]
	v_div_scale_f64 v[34:35], vcc_lo, v[11:12], v[9:10], v[11:12]
	s_delay_alu instid0(VALU_DEP_2) | instskip(SKIP_2) | instid1(VALU_DEP_1)
	v_rcp_f64_e32 v[15:16], v[13:14]
	s_waitcnt_depctr 0xfff
	v_fma_f64 v[32:33], -v[13:14], v[15:16], 1.0
	v_fma_f64 v[15:16], v[15:16], v[32:33], v[15:16]
	s_delay_alu instid0(VALU_DEP_1) | instskip(NEXT) | instid1(VALU_DEP_1)
	v_fma_f64 v[32:33], -v[13:14], v[15:16], 1.0
	v_fma_f64 v[15:16], v[15:16], v[32:33], v[15:16]
	s_delay_alu instid0(VALU_DEP_1) | instskip(NEXT) | instid1(VALU_DEP_1)
	v_mul_f64 v[32:33], v[34:35], v[15:16]
	v_fma_f64 v[13:14], -v[13:14], v[32:33], v[34:35]
	s_delay_alu instid0(VALU_DEP_1) | instskip(NEXT) | instid1(VALU_DEP_1)
	v_div_fmas_f64 v[13:14], v[13:14], v[15:16], v[32:33]
	v_div_fixup_f64 v[11:12], v[13:14], v[9:10], v[11:12]
	s_delay_alu instid0(VALU_DEP_1) | instskip(NEXT) | instid1(VALU_DEP_1)
	v_fma_f64 v[11:12], v[11:12], v[11:12], 1.0
	v_cmp_gt_f64_e32 vcc_lo, 0x10000000, v[11:12]
	v_cndmask_b32_e64 v13, 0, 1, vcc_lo
	s_delay_alu instid0(VALU_DEP_1) | instskip(NEXT) | instid1(VALU_DEP_1)
	v_lshlrev_b32_e32 v13, 8, v13
	v_ldexp_f64 v[11:12], v[11:12], v13
	s_delay_alu instid0(VALU_DEP_1) | instskip(SKIP_3) | instid1(VALU_DEP_1)
	v_rsq_f64_e32 v[13:14], v[11:12]
	s_waitcnt_depctr 0xfff
	v_mul_f64 v[15:16], v[11:12], v[13:14]
	v_mul_f64 v[13:14], v[13:14], 0.5
	v_fma_f64 v[32:33], -v[13:14], v[15:16], 0.5
	s_delay_alu instid0(VALU_DEP_1) | instskip(SKIP_1) | instid1(VALU_DEP_2)
	v_fma_f64 v[15:16], v[15:16], v[32:33], v[15:16]
	v_fma_f64 v[13:14], v[13:14], v[32:33], v[13:14]
	v_fma_f64 v[32:33], -v[15:16], v[15:16], v[11:12]
	s_delay_alu instid0(VALU_DEP_1) | instskip(NEXT) | instid1(VALU_DEP_1)
	v_fma_f64 v[15:16], v[32:33], v[13:14], v[15:16]
	v_fma_f64 v[32:33], -v[15:16], v[15:16], v[11:12]
	s_delay_alu instid0(VALU_DEP_1) | instskip(SKIP_2) | instid1(VALU_DEP_2)
	v_fma_f64 v[13:14], v[32:33], v[13:14], v[15:16]
	v_cndmask_b32_e64 v15, 0, 0xffffff80, vcc_lo
	v_cmp_class_f64_e64 vcc_lo, v[11:12], 0x260
	v_ldexp_f64 v[13:14], v[13:14], v15
	s_delay_alu instid0(VALU_DEP_1) | instskip(NEXT) | instid1(VALU_DEP_1)
	v_dual_cndmask_b32 v12, v14, v12 :: v_dual_cndmask_b32 v11, v13, v11
	v_mul_f64 v[13:14], v[9:10], v[11:12]
	s_or_b32 exec_lo, exec_lo, s9
	s_delay_alu instid0(VALU_DEP_1) | instskip(NEXT) | instid1(VALU_DEP_1)
	v_cmp_class_f64_e64 s77, v[13:14], 0x1f8
	s_and_saveexec_b32 s9, s77
	s_cbranch_execnz .LBB54_58
	s_branch .LBB54_59
.LBB54_119:                             ;   in Loop: Header=BB54_3 Depth=1
	v_xor_b32_e32 v11, 16, v40
	v_xor_b32_e32 v10, 8, v40
	;; [unrolled: 1-line block ×5, first 2 shown]
	s_and_b32 vcc_lo, exec_lo, s56
	s_cbranch_vccnz .LBB54_122
; %bb.120:                              ;   in Loop: Header=BB54_3 Depth=1
	s_and_not1_b32 vcc_lo, exec_lo, s33
	s_cbranch_vccz .LBB54_135
.LBB54_121:                             ;   in Loop: Header=BB54_3 Depth=1
	s_and_saveexec_b32 s9, s6
	s_cbranch_execnz .LBB54_148
	s_branch .LBB54_159
.LBB54_122:                             ;   in Loop: Header=BB54_3 Depth=1
	v_cmp_gt_i32_e32 vcc_lo, 32, v11
	v_cmp_gt_i32_e64 s8, 32, v10
	s_delay_alu instid0(VALU_DEP_1) | instskip(SKIP_2) | instid1(VALU_DEP_3)
	v_cndmask_b32_e64 v12, v40, v10, s8
	v_cndmask_b32_e32 v5, v40, v11, vcc_lo
	v_cmp_gt_i32_e64 s8, 32, v9
	v_lshlrev_b32_e32 v12, 2, v12
	s_delay_alu instid0(VALU_DEP_3)
	v_lshlrev_b32_e32 v6, 2, v5
	ds_bpermute_b32 v5, v6, v3
	ds_bpermute_b32 v6, v6, v4
	s_waitcnt lgkmcnt(0)
	v_cmp_lt_f64_e32 vcc_lo, v[3:4], v[5:6]
	v_dual_cndmask_b32 v4, v4, v6 :: v_dual_cndmask_b32 v3, v3, v5
	ds_bpermute_b32 v6, v12, v4
	ds_bpermute_b32 v5, v12, v3
	v_cndmask_b32_e64 v12, v40, v9, s8
	v_cmp_gt_i32_e64 s8, 32, v8
	s_waitcnt lgkmcnt(0)
	v_cmp_lt_f64_e32 vcc_lo, v[3:4], v[5:6]
	s_delay_alu instid0(VALU_DEP_3)
	v_dual_cndmask_b32 v3, v3, v5 :: v_dual_lshlrev_b32 v12, 2, v12
	ds_bpermute_b32 v5, v12, v3
	v_cndmask_b32_e32 v4, v4, v6, vcc_lo
	ds_bpermute_b32 v6, v12, v4
	v_cndmask_b32_e64 v12, v40, v8, s8
	v_cmp_gt_i32_e64 s8, 32, v7
	s_waitcnt lgkmcnt(0)
	v_cmp_lt_f64_e32 vcc_lo, v[3:4], v[5:6]
	s_delay_alu instid0(VALU_DEP_3) | instskip(SKIP_4) | instid1(VALU_DEP_1)
	v_dual_cndmask_b32 v3, v3, v5 :: v_dual_lshlrev_b32 v12, 2, v12
	v_cndmask_b32_e32 v4, v4, v6, vcc_lo
	ds_bpermute_b32 v5, v12, v3
	ds_bpermute_b32 v6, v12, v4
	v_cndmask_b32_e64 v12, v40, v7, s8
	v_lshlrev_b32_e32 v12, 2, v12
	s_waitcnt lgkmcnt(0)
	v_cmp_lt_f64_e32 vcc_lo, v[3:4], v[5:6]
	v_dual_cndmask_b32 v3, v3, v5 :: v_dual_cndmask_b32 v4, v4, v6
	ds_bpermute_b32 v5, v12, v3
	ds_bpermute_b32 v6, v12, v4
	s_and_saveexec_b32 s8, s0
	s_cbranch_execz .LBB54_124
; %bb.123:                              ;   in Loop: Header=BB54_3 Depth=1
	s_waitcnt lgkmcnt(0)
	v_cmp_lt_f64_e32 vcc_lo, v[3:4], v[5:6]
	v_dual_cndmask_b32 v4, v4, v6 :: v_dual_cndmask_b32 v3, v3, v5
	ds_store_b64 v43, v[3:4]
.LBB54_124:                             ;   in Loop: Header=BB54_3 Depth=1
	s_or_b32 exec_lo, exec_lo, s8
	s_waitcnt lgkmcnt(0)
	s_waitcnt_vscnt null, 0x0
	s_barrier
	buffer_gl0_inv
	s_and_saveexec_b32 s8, s1
	s_cbranch_execz .LBB54_126
; %bb.125:                              ;   in Loop: Header=BB54_3 Depth=1
	ds_load_2addr_b64 v[3:6], v41 offset1:16
	s_waitcnt lgkmcnt(0)
	v_cmp_lt_f64_e32 vcc_lo, v[3:4], v[5:6]
	v_dual_cndmask_b32 v4, v4, v6 :: v_dual_cndmask_b32 v3, v3, v5
	ds_store_b64 v41, v[3:4]
.LBB54_126:                             ;   in Loop: Header=BB54_3 Depth=1
	s_or_b32 exec_lo, exec_lo, s8
	s_waitcnt lgkmcnt(0)
	s_barrier
	buffer_gl0_inv
	s_and_saveexec_b32 s8, s2
	s_cbranch_execz .LBB54_128
; %bb.127:                              ;   in Loop: Header=BB54_3 Depth=1
	ds_load_2addr_b64 v[3:6], v41 offset1:8
	s_waitcnt lgkmcnt(0)
	v_cmp_lt_f64_e32 vcc_lo, v[3:4], v[5:6]
	v_dual_cndmask_b32 v4, v4, v6 :: v_dual_cndmask_b32 v3, v3, v5
	ds_store_b64 v41, v[3:4]
.LBB54_128:                             ;   in Loop: Header=BB54_3 Depth=1
	s_or_b32 exec_lo, exec_lo, s8
	s_waitcnt lgkmcnt(0)
	s_barrier
	buffer_gl0_inv
	s_and_saveexec_b32 s8, s3
	s_cbranch_execz .LBB54_130
; %bb.129:                              ;   in Loop: Header=BB54_3 Depth=1
	ds_load_2addr_b64 v[3:6], v41 offset1:4
	s_waitcnt lgkmcnt(0)
	v_cmp_lt_f64_e32 vcc_lo, v[3:4], v[5:6]
	v_dual_cndmask_b32 v4, v4, v6 :: v_dual_cndmask_b32 v3, v3, v5
	ds_store_b64 v41, v[3:4]
.LBB54_130:                             ;   in Loop: Header=BB54_3 Depth=1
	s_or_b32 exec_lo, exec_lo, s8
	s_waitcnt lgkmcnt(0)
	s_barrier
	buffer_gl0_inv
	s_and_saveexec_b32 s8, s4
	s_cbranch_execz .LBB54_132
; %bb.131:                              ;   in Loop: Header=BB54_3 Depth=1
	ds_load_2addr_b64 v[3:6], v41 offset1:2
	s_waitcnt lgkmcnt(0)
	v_cmp_lt_f64_e32 vcc_lo, v[3:4], v[5:6]
	v_dual_cndmask_b32 v4, v4, v6 :: v_dual_cndmask_b32 v3, v3, v5
	ds_store_b64 v41, v[3:4]
.LBB54_132:                             ;   in Loop: Header=BB54_3 Depth=1
	s_or_b32 exec_lo, exec_lo, s8
	s_waitcnt lgkmcnt(0)
	s_barrier
	buffer_gl0_inv
	s_and_saveexec_b32 s8, s5
	s_cbranch_execz .LBB54_134
; %bb.133:                              ;   in Loop: Header=BB54_3 Depth=1
	ds_load_b128 v[3:6], v18
	s_waitcnt lgkmcnt(0)
	v_cmp_lt_f64_e32 vcc_lo, v[3:4], v[5:6]
	v_dual_cndmask_b32 v4, v4, v6 :: v_dual_cndmask_b32 v3, v3, v5
	ds_store_b64 v18, v[3:4]
.LBB54_134:                             ;   in Loop: Header=BB54_3 Depth=1
	s_or_b32 exec_lo, exec_lo, s8
	s_waitcnt lgkmcnt(0)
	s_barrier
	buffer_gl0_inv
	ds_load_b64 v[3:4], v18
	s_load_b64 s[8:9], s[54:55], 0x0
	s_waitcnt lgkmcnt(0)
	v_div_scale_f64 v[5:6], null, s[8:9], s[8:9], v[3:4]
	s_delay_alu instid0(VALU_DEP_1) | instskip(SKIP_2) | instid1(VALU_DEP_1)
	v_rcp_f64_e32 v[12:13], v[5:6]
	s_waitcnt_depctr 0xfff
	v_fma_f64 v[14:15], -v[5:6], v[12:13], 1.0
	v_fma_f64 v[12:13], v[12:13], v[14:15], v[12:13]
	s_delay_alu instid0(VALU_DEP_1) | instskip(NEXT) | instid1(VALU_DEP_1)
	v_fma_f64 v[14:15], -v[5:6], v[12:13], 1.0
	v_fma_f64 v[12:13], v[12:13], v[14:15], v[12:13]
	v_div_scale_f64 v[14:15], vcc_lo, v[3:4], s[8:9], v[3:4]
	s_delay_alu instid0(VALU_DEP_1) | instskip(NEXT) | instid1(VALU_DEP_1)
	v_mul_f64 v[16:17], v[14:15], v[12:13]
	v_fma_f64 v[5:6], -v[5:6], v[16:17], v[14:15]
	s_delay_alu instid0(VALU_DEP_1) | instskip(NEXT) | instid1(VALU_DEP_1)
	v_div_fmas_f64 v[5:6], v[5:6], v[12:13], v[16:17]
	v_div_fixup_f64 v[3:4], v[5:6], s[8:9], v[3:4]
	s_and_not1_b32 vcc_lo, exec_lo, s33
	s_cbranch_vccnz .LBB54_121
.LBB54_135:                             ;   in Loop: Header=BB54_3 Depth=1
	v_cmp_gt_i32_e32 vcc_lo, 32, v11
	v_cmp_gt_i32_e64 s8, 32, v10
	s_delay_alu instid0(VALU_DEP_1) | instskip(SKIP_2) | instid1(VALU_DEP_3)
	v_cndmask_b32_e64 v10, v40, v10, s8
	v_cndmask_b32_e32 v5, v40, v11, vcc_lo
	v_cmp_gt_i32_e64 s8, 32, v9
	v_lshlrev_b32_e32 v10, 2, v10
	s_delay_alu instid0(VALU_DEP_3) | instskip(NEXT) | instid1(VALU_DEP_3)
	v_lshlrev_b32_e32 v6, 2, v5
	v_cndmask_b32_e64 v9, v40, v9, s8
	v_cmp_gt_i32_e64 s8, 32, v8
	ds_bpermute_b32 v5, v6, v1
	ds_bpermute_b32 v6, v6, v2
	v_cndmask_b32_e64 v8, v40, v8, s8
	v_cmp_gt_i32_e64 s8, 32, v7
	s_delay_alu instid0(VALU_DEP_2) | instskip(NEXT) | instid1(VALU_DEP_2)
	v_lshlrev_b32_e32 v8, 2, v8
	v_cndmask_b32_e64 v7, v40, v7, s8
	s_waitcnt lgkmcnt(0)
	v_cmp_lt_f64_e32 vcc_lo, v[1:2], v[5:6]
	v_dual_cndmask_b32 v2, v2, v6 :: v_dual_cndmask_b32 v1, v1, v5
	ds_bpermute_b32 v6, v10, v2
	ds_bpermute_b32 v5, v10, v1
	s_waitcnt lgkmcnt(0)
	v_cmp_lt_f64_e32 vcc_lo, v[1:2], v[5:6]
	v_dual_cndmask_b32 v2, v2, v6 :: v_dual_lshlrev_b32 v9, 2, v9
	v_cndmask_b32_e32 v1, v1, v5, vcc_lo
	ds_bpermute_b32 v6, v9, v2
	ds_bpermute_b32 v5, v9, v1
	s_waitcnt lgkmcnt(0)
	v_cmp_lt_f64_e32 vcc_lo, v[1:2], v[5:6]
	v_dual_cndmask_b32 v2, v2, v6 :: v_dual_cndmask_b32 v1, v1, v5
	ds_bpermute_b32 v6, v8, v2
	ds_bpermute_b32 v5, v8, v1
	s_waitcnt lgkmcnt(0)
	v_cmp_lt_f64_e32 vcc_lo, v[1:2], v[5:6]
	v_dual_cndmask_b32 v2, v2, v6 :: v_dual_lshlrev_b32 v7, 2, v7
	v_cndmask_b32_e32 v1, v1, v5, vcc_lo
	ds_bpermute_b32 v6, v7, v2
	ds_bpermute_b32 v5, v7, v1
	s_and_saveexec_b32 s8, s0
	s_cbranch_execz .LBB54_137
; %bb.136:                              ;   in Loop: Header=BB54_3 Depth=1
	s_waitcnt lgkmcnt(0)
	v_cmp_lt_f64_e32 vcc_lo, v[1:2], v[5:6]
	v_dual_cndmask_b32 v2, v2, v6 :: v_dual_cndmask_b32 v1, v1, v5
	ds_store_b64 v43, v[1:2]
.LBB54_137:                             ;   in Loop: Header=BB54_3 Depth=1
	s_or_b32 exec_lo, exec_lo, s8
	s_waitcnt lgkmcnt(0)
	s_waitcnt_vscnt null, 0x0
	s_barrier
	buffer_gl0_inv
	s_and_saveexec_b32 s8, s1
	s_cbranch_execz .LBB54_139
; %bb.138:                              ;   in Loop: Header=BB54_3 Depth=1
	ds_load_2addr_b64 v[5:8], v41 offset1:16
	s_waitcnt lgkmcnt(0)
	v_cmp_lt_f64_e32 vcc_lo, v[5:6], v[7:8]
	v_dual_cndmask_b32 v2, v6, v8 :: v_dual_cndmask_b32 v1, v5, v7
	ds_store_b64 v41, v[1:2]
.LBB54_139:                             ;   in Loop: Header=BB54_3 Depth=1
	s_or_b32 exec_lo, exec_lo, s8
	s_waitcnt lgkmcnt(0)
	s_barrier
	buffer_gl0_inv
	s_and_saveexec_b32 s8, s2
	s_cbranch_execz .LBB54_141
; %bb.140:                              ;   in Loop: Header=BB54_3 Depth=1
	ds_load_2addr_b64 v[5:8], v41 offset1:8
	s_waitcnt lgkmcnt(0)
	v_cmp_lt_f64_e32 vcc_lo, v[5:6], v[7:8]
	v_dual_cndmask_b32 v2, v6, v8 :: v_dual_cndmask_b32 v1, v5, v7
	ds_store_b64 v41, v[1:2]
.LBB54_141:                             ;   in Loop: Header=BB54_3 Depth=1
	s_or_b32 exec_lo, exec_lo, s8
	s_waitcnt lgkmcnt(0)
	;; [unrolled: 13-line block ×4, first 2 shown]
	s_barrier
	buffer_gl0_inv
	s_and_saveexec_b32 s8, s5
	s_cbranch_execz .LBB54_147
; %bb.146:                              ;   in Loop: Header=BB54_3 Depth=1
	ds_load_b128 v[5:8], v18
	s_waitcnt lgkmcnt(0)
	v_cmp_lt_f64_e32 vcc_lo, v[5:6], v[7:8]
	v_dual_cndmask_b32 v2, v6, v8 :: v_dual_cndmask_b32 v1, v5, v7
	ds_store_b64 v18, v[1:2]
.LBB54_147:                             ;   in Loop: Header=BB54_3 Depth=1
	s_or_b32 exec_lo, exec_lo, s8
	s_waitcnt lgkmcnt(0)
	s_barrier
	buffer_gl0_inv
	ds_load_b64 v[1:2], v18
	s_load_b64 s[8:9], s[54:55], 0x0
	s_waitcnt lgkmcnt(0)
	v_div_scale_f64 v[5:6], null, s[8:9], s[8:9], v[1:2]
	s_delay_alu instid0(VALU_DEP_1) | instskip(SKIP_2) | instid1(VALU_DEP_1)
	v_rcp_f64_e32 v[7:8], v[5:6]
	s_waitcnt_depctr 0xfff
	v_fma_f64 v[9:10], -v[5:6], v[7:8], 1.0
	v_fma_f64 v[7:8], v[7:8], v[9:10], v[7:8]
	s_delay_alu instid0(VALU_DEP_1) | instskip(NEXT) | instid1(VALU_DEP_1)
	v_fma_f64 v[9:10], -v[5:6], v[7:8], 1.0
	v_fma_f64 v[7:8], v[7:8], v[9:10], v[7:8]
	v_div_scale_f64 v[9:10], vcc_lo, v[1:2], s[8:9], v[1:2]
	s_delay_alu instid0(VALU_DEP_1) | instskip(NEXT) | instid1(VALU_DEP_1)
	v_mul_f64 v[11:12], v[9:10], v[7:8]
	v_fma_f64 v[5:6], -v[5:6], v[11:12], v[9:10]
	s_delay_alu instid0(VALU_DEP_1) | instskip(NEXT) | instid1(VALU_DEP_1)
	v_div_fmas_f64 v[5:6], v[5:6], v[7:8], v[11:12]
	v_div_fixup_f64 v[1:2], v[5:6], s[8:9], v[1:2]
	s_and_saveexec_b32 s9, s6
	s_cbranch_execz .LBB54_159
.LBB54_148:                             ;   in Loop: Header=BB54_3 Depth=1
	v_mov_b32_e32 v5, v42
	s_mov_b32 s10, 0
	s_branch .LBB54_150
.LBB54_149:                             ;   in Loop: Header=BB54_150 Depth=2
	s_or_b32 exec_lo, exec_lo, s68
	v_add_nc_u32_e32 v5, 32, v5
	s_delay_alu instid0(VALU_DEP_1) | instskip(SKIP_1) | instid1(SALU_CYCLE_1)
	v_cmp_le_u32_e32 vcc_lo, s64, v5
	s_or_b32 s10, vcc_lo, s10
	s_and_not1_b32 exec_lo, exec_lo, s10
	s_cbranch_execz .LBB54_159
.LBB54_150:                             ;   Parent Loop BB54_3 Depth=1
                                        ; =>  This Loop Header: Depth=2
                                        ;       Child Loop BB54_153 Depth 3
                                        ;       Child Loop BB54_156 Depth 3
	s_mov_b32 s68, exec_lo
	s_delay_alu instid0(VALU_DEP_1)
	v_cmpx_gt_i32_e64 s57, v5
	s_cbranch_execz .LBB54_149
; %bb.151:                              ;   in Loop: Header=BB54_150 Depth=2
	v_ashrrev_i32_e32 v6, 31, v5
	s_mov_b32 s69, exec_lo
	s_delay_alu instid0(VALU_DEP_1) | instskip(NEXT) | instid1(VALU_DEP_1)
	v_lshlrev_b64 v[7:8], 2, v[5:6]
	v_add_co_u32 v9, vcc_lo, s20, v7
	s_delay_alu instid0(VALU_DEP_2)
	v_add_co_ci_u32_e32 v10, vcc_lo, s21, v8, vcc_lo
	v_add_co_u32 v11, vcc_lo, s22, v7
	v_add_co_ci_u32_e32 v12, vcc_lo, s23, v8, vcc_lo
	global_load_b32 v9, v[9:10], off
	global_load_b32 v10, v[11:12], off
	s_waitcnt vmcnt(1)
	v_add_nc_u32_e32 v9, v45, v9
	s_waitcnt vmcnt(0)
	v_subrev_nc_u32_e32 v14, s62, v10
	s_delay_alu instid0(VALU_DEP_1)
	v_cmpx_lt_i32_e64 v9, v14
	s_cbranch_execz .LBB54_154
; %bb.152:                              ;   in Loop: Header=BB54_150 Depth=2
	v_ashrrev_i32_e32 v10, 31, v9
	s_mov_b32 s70, 0
	s_delay_alu instid0(VALU_DEP_1) | instskip(NEXT) | instid1(VALU_DEP_1)
	v_lshlrev_b64 v[12:13], 4, v[9:10]
	v_add_co_u32 v10, vcc_lo, s26, v12
	s_delay_alu instid0(VALU_DEP_2)
	v_add_co_ci_u32_e32 v11, vcc_lo, s27, v13, vcc_lo
	v_add_co_u32 v12, vcc_lo, s52, v12
	v_add_co_ci_u32_e32 v13, vcc_lo, s53, v13, vcc_lo
	.p2align	6
.LBB54_153:                             ;   Parent Loop BB54_3 Depth=1
                                        ;     Parent Loop BB54_150 Depth=2
                                        ; =>    This Inner Loop Header: Depth=3
	global_load_b128 v[19:22], v[12:13], off
	v_add_nc_u32_e32 v9, 32, v9
	v_add_co_u32 v12, vcc_lo, 0x200, v12
	v_add_co_ci_u32_e32 v13, vcc_lo, 0, v13, vcc_lo
	s_delay_alu instid0(VALU_DEP_3) | instskip(SKIP_4) | instid1(VALU_DEP_1)
	v_cmp_ge_i32_e32 vcc_lo, v9, v14
	s_or_b32 s70, vcc_lo, s70
	s_waitcnt vmcnt(0)
	global_store_b128 v[10:11], v[19:22], off
	v_add_co_u32 v10, s8, 0x200, v10
	v_add_co_ci_u32_e64 v11, s8, 0, v11, s8
	s_and_not1_b32 exec_lo, exec_lo, s70
	s_cbranch_execnz .LBB54_153
.LBB54_154:                             ;   in Loop: Header=BB54_150 Depth=2
	s_or_b32 exec_lo, exec_lo, s69
	v_add_co_u32 v9, vcc_lo, s12, v7
	v_add_co_ci_u32_e32 v10, vcc_lo, s13, v8, vcc_lo
	v_add_co_u32 v7, vcc_lo, s14, v7
	v_add_co_ci_u32_e32 v8, vcc_lo, s15, v8, vcc_lo
	s_mov_b32 s69, exec_lo
	global_load_b32 v9, v[9:10], off
	global_load_b32 v8, v[7:8], off
	s_waitcnt vmcnt(1)
	v_add_nc_u32_e32 v7, v46, v9
	s_waitcnt vmcnt(0)
	v_subrev_nc_u32_e32 v12, s63, v8
	s_delay_alu instid0(VALU_DEP_1)
	v_cmpx_lt_i32_e64 v7, v12
	s_cbranch_execz .LBB54_157
; %bb.155:                              ;   in Loop: Header=BB54_150 Depth=2
	v_ashrrev_i32_e32 v8, 31, v7
	s_mov_b32 s70, 0
	s_delay_alu instid0(VALU_DEP_1) | instskip(NEXT) | instid1(VALU_DEP_1)
	v_lshlrev_b64 v[10:11], 4, v[7:8]
	v_add_co_u32 v8, vcc_lo, s18, v10
	s_delay_alu instid0(VALU_DEP_2)
	v_add_co_ci_u32_e32 v9, vcc_lo, s19, v11, vcc_lo
	v_add_co_u32 v10, vcc_lo, s34, v10
	v_add_co_ci_u32_e32 v11, vcc_lo, s35, v11, vcc_lo
	.p2align	6
.LBB54_156:                             ;   Parent Loop BB54_3 Depth=1
                                        ;     Parent Loop BB54_150 Depth=2
                                        ; =>    This Inner Loop Header: Depth=3
	global_load_b128 v[13:16], v[10:11], off
	v_add_nc_u32_e32 v7, 32, v7
	v_add_co_u32 v10, vcc_lo, 0x200, v10
	v_add_co_ci_u32_e32 v11, vcc_lo, 0, v11, vcc_lo
	s_delay_alu instid0(VALU_DEP_3) | instskip(SKIP_4) | instid1(VALU_DEP_1)
	v_cmp_ge_i32_e32 vcc_lo, v7, v12
	s_or_b32 s70, vcc_lo, s70
	s_waitcnt vmcnt(0)
	global_store_b128 v[8:9], v[13:16], off
	v_add_co_u32 v8, s8, 0x200, v8
	v_add_co_ci_u32_e64 v9, s8, 0, v9, s8
	s_and_not1_b32 exec_lo, exec_lo, s70
	s_cbranch_execnz .LBB54_156
.LBB54_157:                             ;   in Loop: Header=BB54_150 Depth=2
	s_or_b32 exec_lo, exec_lo, s69
	s_delay_alu instid0(SALU_CYCLE_1)
	s_and_b32 exec_lo, exec_lo, s7
	s_cbranch_execz .LBB54_149
; %bb.158:                              ;   in Loop: Header=BB54_150 Depth=2
	v_lshlrev_b64 v[10:11], 4, v[5:6]
	s_delay_alu instid0(VALU_DEP_1) | instskip(NEXT) | instid1(VALU_DEP_2)
	v_add_co_u32 v6, vcc_lo, s50, v10
	v_add_co_ci_u32_e32 v7, vcc_lo, s51, v11, vcc_lo
	v_add_co_u32 v10, vcc_lo, s48, v10
	v_add_co_ci_u32_e32 v11, vcc_lo, s49, v11, vcc_lo
	global_load_b128 v[6:9], v[6:7], off
	s_waitcnt vmcnt(0)
	global_store_b128 v[10:11], v[6:9], off
	s_branch .LBB54_149
.LBB54_159:                             ;   in Loop: Header=BB54_3 Depth=1
	s_or_b32 exec_lo, exec_lo, s9
	s_mov_b32 s9, -1
	s_and_b32 vcc_lo, exec_lo, s58
	s_mov_b32 s8, -1
	s_cbranch_vccz .LBB54_169
; %bb.160:                              ;   in Loop: Header=BB54_3 Depth=1
	s_and_b32 vcc_lo, exec_lo, s66
                                        ; implicit-def: $sgpr10
	s_cbranch_vccz .LBB54_166
; %bb.161:                              ;   in Loop: Header=BB54_3 Depth=1
	s_and_b32 vcc_lo, exec_lo, s65
                                        ; implicit-def: $sgpr10
	s_cbranch_vccz .LBB54_163
; %bb.162:                              ;   in Loop: Header=BB54_3 Depth=1
	s_delay_alu instid0(VALU_DEP_1)
	v_cmp_ge_f64_e32 vcc_lo, s[46:47], v[1:2]
	s_mov_b32 s8, 0
	s_and_b32 s10, vcc_lo, exec_lo
.LBB54_163:                             ;   in Loop: Header=BB54_3 Depth=1
	s_and_not1_b32 vcc_lo, exec_lo, s8
	s_cbranch_vccnz .LBB54_165
; %bb.164:                              ;   in Loop: Header=BB54_3 Depth=1
	s_delay_alu instid0(VALU_DEP_1) | instskip(SKIP_2) | instid1(SALU_CYCLE_1)
	v_cmp_ge_f64_e32 vcc_lo, s[46:47], v[3:4]
	s_and_not1_b32 s8, s10, exec_lo
	s_and_b32 s10, vcc_lo, exec_lo
	s_or_b32 s10, s8, s10
.LBB54_165:                             ;   in Loop: Header=BB54_3 Depth=1
	s_mov_b32 s8, 0
.LBB54_166:                             ;   in Loop: Header=BB54_3 Depth=1
	s_delay_alu instid0(SALU_CYCLE_1)
	s_and_not1_b32 vcc_lo, exec_lo, s8
	s_cbranch_vccnz .LBB54_168
; %bb.167:                              ;   in Loop: Header=BB54_3 Depth=1
	s_delay_alu instid0(VALU_DEP_1) | instskip(NEXT) | instid1(VALU_DEP_2)
	v_cmp_ge_f64_e32 vcc_lo, s[46:47], v[3:4]
	v_cmp_ge_f64_e64 s8, s[46:47], v[1:2]
	s_and_not1_b32 s10, s10, exec_lo
	s_delay_alu instid0(VALU_DEP_1) | instskip(NEXT) | instid1(SALU_CYCLE_1)
	s_and_b32 s8, vcc_lo, s8
	s_and_b32 s8, s8, exec_lo
	s_delay_alu instid0(SALU_CYCLE_1)
	s_or_b32 s10, s10, s8
.LBB54_168:                             ;   in Loop: Header=BB54_3 Depth=1
	s_delay_alu instid0(SALU_CYCLE_1)
	s_xor_b32 s8, s10, -1
.LBB54_169:                             ;   in Loop: Header=BB54_3 Depth=1
	v_mov_b32_e32 v5, s67
	s_and_saveexec_b32 s10, s8
	s_cbranch_execz .LBB54_2
; %bb.170:                              ;   in Loop: Header=BB54_3 Depth=1
	s_add_i32 s67, s67, 1
	v_mov_b32_e32 v5, s11
	s_cmp_eq_u32 s67, s11
	s_cselect_b32 s8, -1, 0
	s_delay_alu instid0(SALU_CYCLE_1)
	s_or_not1_b32 s9, s8, exec_lo
	s_branch .LBB54_2
.LBB54_171:
	s_or_b32 exec_lo, exec_lo, s59
.LBB54_172:
	s_delay_alu instid0(SALU_CYCLE_1) | instskip(NEXT) | instid1(SALU_CYCLE_1)
	s_or_b32 exec_lo, exec_lo, s60
	s_and_not1_b32 vcc_lo, exec_lo, s58
	s_cbranch_vccnz .LBB54_189
; %bb.173:
	v_xor_b32_e32 v6, 16, v40
	v_xor_b32_e32 v7, 8, v40
	s_mov_b32 s0, exec_lo
	s_delay_alu instid0(VALU_DEP_2) | instskip(SKIP_1) | instid1(VALU_DEP_3)
	v_cmp_gt_i32_e32 vcc_lo, 32, v6
	v_cndmask_b32_e32 v6, v40, v6, vcc_lo
	v_cmp_gt_i32_e32 vcc_lo, 32, v7
	v_cndmask_b32_e32 v7, v40, v7, vcc_lo
	s_delay_alu instid0(VALU_DEP_1) | instskip(NEXT) | instid1(VALU_DEP_4)
	v_lshlrev_b32_e32 v7, 2, v7
	v_lshlrev_b32_e32 v6, 2, v6
	ds_bpermute_b32 v6, v6, v5
	s_waitcnt lgkmcnt(0)
	v_max_i32_e32 v5, v5, v6
	ds_bpermute_b32 v6, v7, v5
	v_xor_b32_e32 v7, 4, v40
	s_delay_alu instid0(VALU_DEP_1) | instskip(SKIP_1) | instid1(VALU_DEP_1)
	v_cmp_gt_i32_e32 vcc_lo, 32, v7
	v_cndmask_b32_e32 v7, v40, v7, vcc_lo
	v_lshlrev_b32_e32 v7, 2, v7
	s_waitcnt lgkmcnt(0)
	v_max_i32_e32 v5, v5, v6
	ds_bpermute_b32 v6, v7, v5
	v_xor_b32_e32 v7, 2, v40
	s_delay_alu instid0(VALU_DEP_1) | instskip(SKIP_1) | instid1(VALU_DEP_1)
	v_cmp_gt_i32_e32 vcc_lo, 32, v7
	v_cndmask_b32_e32 v7, v40, v7, vcc_lo
	v_lshlrev_b32_e32 v7, 2, v7
	s_waitcnt lgkmcnt(0)
	v_max_i32_e32 v5, v5, v6
	ds_bpermute_b32 v6, v7, v5
	v_xor_b32_e32 v7, 1, v40
	s_delay_alu instid0(VALU_DEP_1) | instskip(SKIP_3) | instid1(VALU_DEP_2)
	v_cmp_gt_i32_e32 vcc_lo, 32, v7
	v_cndmask_b32_e32 v7, v40, v7, vcc_lo
	s_waitcnt lgkmcnt(0)
	v_max_i32_e32 v5, v5, v6
	v_lshlrev_b32_e32 v6, 2, v7
	ds_bpermute_b32 v6, v6, v5
	v_cmpx_eq_u32_e32 31, v39
	s_cbranch_execz .LBB54_175
; %bb.174:
	v_lshlrev_b32_e32 v7, 2, v38
	s_waitcnt lgkmcnt(0)
	v_max_i32_e32 v5, v5, v6
	ds_store_b32 v7, v5 offset:256
.LBB54_175:
	s_or_b32 exec_lo, exec_lo, s0
	v_lshlrev_b32_e32 v5, 2, v0
	s_mov_b32 s0, exec_lo
	s_waitcnt lgkmcnt(0)
	s_waitcnt_vscnt null, 0x0
	s_barrier
	buffer_gl0_inv
	v_cmpx_gt_u32_e32 16, v0
	s_cbranch_execz .LBB54_177
; %bb.176:
	ds_load_2addr_b32 v[6:7], v5 offset0:64 offset1:80
	s_waitcnt lgkmcnt(0)
	v_max_i32_e32 v6, v6, v7
	ds_store_b32 v5, v6 offset:256
.LBB54_177:
	s_or_b32 exec_lo, exec_lo, s0
	s_delay_alu instid0(SALU_CYCLE_1)
	s_mov_b32 s0, exec_lo
	s_waitcnt lgkmcnt(0)
	s_barrier
	buffer_gl0_inv
	v_cmpx_gt_u32_e32 8, v0
	s_cbranch_execz .LBB54_179
; %bb.178:
	ds_load_2addr_b32 v[6:7], v5 offset0:64 offset1:72
	s_waitcnt lgkmcnt(0)
	v_max_i32_e32 v6, v6, v7
	ds_store_b32 v5, v6 offset:256
.LBB54_179:
	s_or_b32 exec_lo, exec_lo, s0
	s_delay_alu instid0(SALU_CYCLE_1)
	s_mov_b32 s0, exec_lo
	s_waitcnt lgkmcnt(0)
	;; [unrolled: 14-line block ×3, first 2 shown]
	s_barrier
	buffer_gl0_inv
	v_cmpx_gt_u32_e32 2, v0
	s_cbranch_execz .LBB54_183
; %bb.182:
	ds_load_2addr_b32 v[6:7], v5 offset0:64 offset1:66
	s_waitcnt lgkmcnt(0)
	v_max_i32_e32 v6, v6, v7
	ds_store_b32 v5, v6 offset:256
.LBB54_183:
	s_or_b32 exec_lo, exec_lo, s0
	v_cmp_eq_u32_e32 vcc_lo, 0, v0
	s_waitcnt lgkmcnt(0)
	s_barrier
	buffer_gl0_inv
	s_and_saveexec_b32 s0, vcc_lo
	s_cbranch_execz .LBB54_185
; %bb.184:
	v_mov_b32_e32 v7, 0
	ds_load_b64 v[5:6], v7 offset:256
	s_waitcnt lgkmcnt(0)
	v_max_i32_e32 v5, v5, v6
	ds_store_b32 v7, v5 offset:256
.LBB54_185:
	s_or_b32 exec_lo, exec_lo, s0
	s_waitcnt lgkmcnt(0)
	s_barrier
	buffer_gl0_inv
	s_and_saveexec_b32 s0, vcc_lo
	s_cbranch_execz .LBB54_188
; %bb.186:
	v_mbcnt_lo_u32_b32 v5, exec_lo, 0
	s_delay_alu instid0(VALU_DEP_1)
	v_cmp_eq_u32_e32 vcc_lo, 0, v5
	s_and_b32 exec_lo, exec_lo, vcc_lo
	s_cbranch_execz .LBB54_188
; %bb.187:
	v_mov_b32_e32 v5, 0
	ds_load_b32 v6, v5 offset:256
	s_waitcnt lgkmcnt(0)
	v_add_nc_u32_e32 v6, 1, v6
	global_atomic_max_i32 v5, v6, s[44:45]
.LBB54_188:
	s_or_b32 exec_lo, exec_lo, s0
.LBB54_189:
	v_cmp_eq_u32_e32 vcc_lo, 0, v0
	s_mov_b32 s2, 0
	s_and_b32 s0, vcc_lo, s56
	s_delay_alu instid0(SALU_CYCLE_1)
	s_and_saveexec_b32 s4, s0
	s_cbranch_execz .LBB54_194
; %bb.190:
	v_mov_b32_e32 v0, 0
	s_delay_alu instid0(VALU_DEP_4)
	v_cmp_eq_f64_e64 s0, 0, v[3:4]
	s_brev_b32 s3, 1
                                        ; implicit-def: $sgpr5
	global_load_b64 v[5:6], v0, s[28:29] glc
	s_waitcnt vmcnt(0)
	v_cmp_eq_u64_e64 s6, s[2:3], v[5:6]
                                        ; implicit-def: $sgpr3
	s_set_inst_prefetch_distance 0x1
	s_branch .LBB54_192
	.p2align	6
.LBB54_191:                             ;   in Loop: Header=BB54_192 Depth=1
	s_or_b32 exec_lo, exec_lo, s7
	s_delay_alu instid0(SALU_CYCLE_1) | instskip(NEXT) | instid1(SALU_CYCLE_1)
	s_and_b32 s1, exec_lo, s3
	s_or_b32 s2, s1, s2
	s_and_not1_b32 s1, s6, exec_lo
	s_and_b32 s6, s5, exec_lo
	s_delay_alu instid0(SALU_CYCLE_1)
	s_or_b32 s6, s1, s6
	s_and_not1_b32 exec_lo, exec_lo, s2
	s_cbranch_execz .LBB54_194
.LBB54_192:                             ; =>This Inner Loop Header: Depth=1
	v_cmp_lt_f64_e64 s1, v[5:6], v[3:4]
	s_delay_alu instid0(VALU_DEP_2) | instskip(SKIP_2) | instid1(VALU_DEP_1)
	s_and_b32 s7, s0, s6
	s_and_not1_b32 s5, s5, exec_lo
	s_or_b32 s3, s3, exec_lo
	s_or_b32 s1, s1, s7
	s_delay_alu instid0(SALU_CYCLE_1)
	s_and_saveexec_b32 s7, s1
	s_cbranch_execz .LBB54_191
; %bb.193:                              ;   in Loop: Header=BB54_192 Depth=1
	global_atomic_cmpswap_b64 v[7:8], v0, v[3:6], s[28:29] glc
	s_and_not1_b32 s5, s5, exec_lo
	s_and_not1_b32 s3, s3, exec_lo
	s_waitcnt vmcnt(0)
	v_cmp_eq_u64_e64 s1, v[7:8], v[5:6]
	s_delay_alu instid0(VALU_DEP_1) | instskip(SKIP_2) | instid1(SALU_CYCLE_1)
	v_cndmask_b32_e64 v6, v8, v6, s1
	v_cndmask_b32_e64 v5, v7, v5, s1
	s_and_b32 s1, s1, exec_lo
	s_or_b32 s3, s3, s1
	s_delay_alu instid0(VALU_DEP_1) | instskip(SKIP_1) | instid1(VALU_DEP_2)
	v_cmp_class_f64_e64 s6, v[5:6], 32
	v_dual_mov_b32 v5, v7 :: v_dual_mov_b32 v6, v8
	s_and_b32 s6, s6, exec_lo
	s_delay_alu instid0(SALU_CYCLE_1)
	s_or_b32 s5, s5, s6
                                        ; implicit-def: $sgpr6
	s_branch .LBB54_191
.LBB54_194:
	s_set_inst_prefetch_distance 0x2
	s_or_b32 exec_lo, exec_lo, s4
	s_and_b32 s0, vcc_lo, s33
	s_delay_alu instid0(SALU_CYCLE_1)
	s_and_saveexec_b32 s1, s0
	s_cbranch_execz .LBB54_199
; %bb.195:
	v_mov_b32_e32 v0, 0
	s_delay_alu instid0(VALU_DEP_4)
	v_cmp_eq_f64_e32 vcc_lo, 0, v[1:2]
	s_brev_b32 s3, 1
	s_mov_b32 s2, 0
                                        ; implicit-def: $sgpr1
	global_load_b64 v[3:4], v0, s[30:31] glc
	s_waitcnt vmcnt(0)
	v_cmp_eq_u64_e64 s4, s[2:3], v[3:4]
                                        ; implicit-def: $sgpr3
	s_set_inst_prefetch_distance 0x1
	s_branch .LBB54_197
	.p2align	6
.LBB54_196:                             ;   in Loop: Header=BB54_197 Depth=1
	s_or_b32 exec_lo, exec_lo, s5
	s_delay_alu instid0(SALU_CYCLE_1) | instskip(NEXT) | instid1(SALU_CYCLE_1)
	s_and_b32 s0, exec_lo, s1
	s_or_b32 s2, s0, s2
	s_and_not1_b32 s0, s4, exec_lo
	s_and_b32 s4, s3, exec_lo
	s_delay_alu instid0(SALU_CYCLE_1)
	s_or_b32 s4, s0, s4
	s_and_not1_b32 exec_lo, exec_lo, s2
	s_cbranch_execz .LBB54_199
.LBB54_197:                             ; =>This Inner Loop Header: Depth=1
	v_cmp_lt_f64_e64 s0, v[3:4], v[1:2]
	s_delay_alu instid0(VALU_DEP_2) | instskip(SKIP_2) | instid1(VALU_DEP_1)
	s_and_b32 s5, vcc_lo, s4
	s_and_not1_b32 s3, s3, exec_lo
	s_or_b32 s1, s1, exec_lo
	s_or_b32 s0, s0, s5
	s_delay_alu instid0(SALU_CYCLE_1)
	s_and_saveexec_b32 s5, s0
	s_cbranch_execz .LBB54_196
; %bb.198:                              ;   in Loop: Header=BB54_197 Depth=1
	global_atomic_cmpswap_b64 v[5:6], v0, v[1:4], s[30:31] glc
	s_and_not1_b32 s3, s3, exec_lo
	s_and_not1_b32 s1, s1, exec_lo
	s_waitcnt vmcnt(0)
	v_cmp_eq_u64_e64 s0, v[5:6], v[3:4]
	s_delay_alu instid0(VALU_DEP_1) | instskip(SKIP_2) | instid1(SALU_CYCLE_1)
	v_cndmask_b32_e64 v4, v6, v4, s0
	v_cndmask_b32_e64 v3, v5, v3, s0
	s_and_b32 s0, s0, exec_lo
	s_or_b32 s1, s1, s0
	s_delay_alu instid0(VALU_DEP_1) | instskip(SKIP_1) | instid1(VALU_DEP_2)
	v_cmp_class_f64_e64 s4, v[3:4], 32
	v_dual_mov_b32 v3, v5 :: v_dual_mov_b32 v4, v6
	s_and_b32 s4, s4, exec_lo
	s_delay_alu instid0(SALU_CYCLE_1)
	s_or_b32 s3, s3, s4
                                        ; implicit-def: $sgpr4
	s_branch .LBB54_196
.LBB54_199:
	s_set_inst_prefetch_distance 0x2
	s_nop 0
	s_sendmsg sendmsg(MSG_DEALLOC_VGPRS)
	s_endpgm
	.section	.rodata,"a",@progbits
	.p2align	6, 0x0
	.amdhsa_kernel _ZN9rocsparseL6kernelILi1024ELi32E21rocsparse_complex_numIdEiiEEvbbbT3_PS3_NS_15floating_traitsIT1_E6data_tES3_T2_PKS9_SB_PKS3_PKS6_21rocsparse_index_base_SB_SB_SD_PS6_SH_SG_SB_SB_SD_SH_SH_SG_SH_SH_PS8_SI_PKS8_
		.amdhsa_group_segment_fixed_size 384
		.amdhsa_private_segment_fixed_size 0
		.amdhsa_kernarg_size 208
		.amdhsa_user_sgpr_count 15
		.amdhsa_user_sgpr_dispatch_ptr 0
		.amdhsa_user_sgpr_queue_ptr 0
		.amdhsa_user_sgpr_kernarg_segment_ptr 1
		.amdhsa_user_sgpr_dispatch_id 0
		.amdhsa_user_sgpr_private_segment_size 0
		.amdhsa_wavefront_size32 1
		.amdhsa_uses_dynamic_stack 0
		.amdhsa_enable_private_segment 0
		.amdhsa_system_sgpr_workgroup_id_x 1
		.amdhsa_system_sgpr_workgroup_id_y 0
		.amdhsa_system_sgpr_workgroup_id_z 0
		.amdhsa_system_sgpr_workgroup_info 0
		.amdhsa_system_vgpr_workitem_id 0
		.amdhsa_next_free_vgpr 60
		.amdhsa_next_free_sgpr 81
		.amdhsa_reserve_vcc 1
		.amdhsa_float_round_mode_32 0
		.amdhsa_float_round_mode_16_64 0
		.amdhsa_float_denorm_mode_32 3
		.amdhsa_float_denorm_mode_16_64 3
		.amdhsa_dx10_clamp 1
		.amdhsa_ieee_mode 1
		.amdhsa_fp16_overflow 0
		.amdhsa_workgroup_processor_mode 1
		.amdhsa_memory_ordered 1
		.amdhsa_forward_progress 0
		.amdhsa_shared_vgpr_count 0
		.amdhsa_exception_fp_ieee_invalid_op 0
		.amdhsa_exception_fp_denorm_src 0
		.amdhsa_exception_fp_ieee_div_zero 0
		.amdhsa_exception_fp_ieee_overflow 0
		.amdhsa_exception_fp_ieee_underflow 0
		.amdhsa_exception_fp_ieee_inexact 0
		.amdhsa_exception_int_div_zero 0
	.end_amdhsa_kernel
	.section	.text._ZN9rocsparseL6kernelILi1024ELi32E21rocsparse_complex_numIdEiiEEvbbbT3_PS3_NS_15floating_traitsIT1_E6data_tES3_T2_PKS9_SB_PKS3_PKS6_21rocsparse_index_base_SB_SB_SD_PS6_SH_SG_SB_SB_SD_SH_SH_SG_SH_SH_PS8_SI_PKS8_,"axG",@progbits,_ZN9rocsparseL6kernelILi1024ELi32E21rocsparse_complex_numIdEiiEEvbbbT3_PS3_NS_15floating_traitsIT1_E6data_tES3_T2_PKS9_SB_PKS3_PKS6_21rocsparse_index_base_SB_SB_SD_PS6_SH_SG_SB_SB_SD_SH_SH_SG_SH_SH_PS8_SI_PKS8_,comdat
.Lfunc_end54:
	.size	_ZN9rocsparseL6kernelILi1024ELi32E21rocsparse_complex_numIdEiiEEvbbbT3_PS3_NS_15floating_traitsIT1_E6data_tES3_T2_PKS9_SB_PKS3_PKS6_21rocsparse_index_base_SB_SB_SD_PS6_SH_SG_SB_SB_SD_SH_SH_SG_SH_SH_PS8_SI_PKS8_, .Lfunc_end54-_ZN9rocsparseL6kernelILi1024ELi32E21rocsparse_complex_numIdEiiEEvbbbT3_PS3_NS_15floating_traitsIT1_E6data_tES3_T2_PKS9_SB_PKS3_PKS6_21rocsparse_index_base_SB_SB_SD_PS6_SH_SG_SB_SB_SD_SH_SH_SG_SH_SH_PS8_SI_PKS8_
                                        ; -- End function
	.section	.AMDGPU.csdata,"",@progbits
; Kernel info:
; codeLenInByte = 11256
; NumSgprs: 83
; NumVgprs: 60
; ScratchSize: 0
; MemoryBound: 1
; FloatMode: 240
; IeeeMode: 1
; LDSByteSize: 384 bytes/workgroup (compile time only)
; SGPRBlocks: 10
; VGPRBlocks: 7
; NumSGPRsForWavesPerEU: 83
; NumVGPRsForWavesPerEU: 60
; Occupancy: 16
; WaveLimiterHint : 1
; COMPUTE_PGM_RSRC2:SCRATCH_EN: 0
; COMPUTE_PGM_RSRC2:USER_SGPR: 15
; COMPUTE_PGM_RSRC2:TRAP_HANDLER: 0
; COMPUTE_PGM_RSRC2:TGID_X_EN: 1
; COMPUTE_PGM_RSRC2:TGID_Y_EN: 0
; COMPUTE_PGM_RSRC2:TGID_Z_EN: 0
; COMPUTE_PGM_RSRC2:TIDIG_COMP_CNT: 0
	.section	.text._ZN9rocsparseL6kernelILi1024ELi64E21rocsparse_complex_numIdEiiEEvbbbT3_PS3_NS_15floating_traitsIT1_E6data_tES3_T2_PKS9_SB_PKS3_PKS6_21rocsparse_index_base_SB_SB_SD_PS6_SH_SG_SB_SB_SD_SH_SH_SG_SH_SH_PS8_SI_PKS8_,"axG",@progbits,_ZN9rocsparseL6kernelILi1024ELi64E21rocsparse_complex_numIdEiiEEvbbbT3_PS3_NS_15floating_traitsIT1_E6data_tES3_T2_PKS9_SB_PKS3_PKS6_21rocsparse_index_base_SB_SB_SD_PS6_SH_SG_SB_SB_SD_SH_SH_SG_SH_SH_PS8_SI_PKS8_,comdat
	.globl	_ZN9rocsparseL6kernelILi1024ELi64E21rocsparse_complex_numIdEiiEEvbbbT3_PS3_NS_15floating_traitsIT1_E6data_tES3_T2_PKS9_SB_PKS3_PKS6_21rocsparse_index_base_SB_SB_SD_PS6_SH_SG_SB_SB_SD_SH_SH_SG_SH_SH_PS8_SI_PKS8_ ; -- Begin function _ZN9rocsparseL6kernelILi1024ELi64E21rocsparse_complex_numIdEiiEEvbbbT3_PS3_NS_15floating_traitsIT1_E6data_tES3_T2_PKS9_SB_PKS3_PKS6_21rocsparse_index_base_SB_SB_SD_PS6_SH_SG_SB_SB_SD_SH_SH_SG_SH_SH_PS8_SI_PKS8_
	.p2align	8
	.type	_ZN9rocsparseL6kernelILi1024ELi64E21rocsparse_complex_numIdEiiEEvbbbT3_PS3_NS_15floating_traitsIT1_E6data_tES3_T2_PKS9_SB_PKS3_PKS6_21rocsparse_index_base_SB_SB_SD_PS6_SH_SG_SB_SB_SD_SH_SH_SG_SH_SH_PS8_SI_PKS8_,@function
_ZN9rocsparseL6kernelILi1024ELi64E21rocsparse_complex_numIdEiiEEvbbbT3_PS3_NS_15floating_traitsIT1_E6data_tES3_T2_PKS9_SB_PKS3_PKS6_21rocsparse_index_base_SB_SB_SD_PS6_SH_SG_SB_SB_SD_SH_SH_SG_SH_SH_PS8_SI_PKS8_: ; @_ZN9rocsparseL6kernelILi1024ELi64E21rocsparse_complex_numIdEiiEEvbbbT3_PS3_NS_15floating_traitsIT1_E6data_tES3_T2_PKS9_SB_PKS3_PKS6_21rocsparse_index_base_SB_SB_SD_PS6_SH_SG_SB_SB_SD_SH_SH_SG_SH_SH_PS8_SI_PKS8_
; %bb.0:
	s_clause 0x4
	s_load_b32 s2, s[0:1], 0x0
	s_load_b64 s[10:11], s[0:1], 0x0
	s_load_b32 s56, s[0:1], 0x18
	s_load_b128 s[44:47], s[0:1], 0x8
	s_load_b128 s[28:31], s[0:1], 0xb8
	v_lshrrev_b32_e32 v38, 6, v0
	v_mov_b32_e32 v3, 0
	v_dual_mov_b32 v5, 0 :: v_dual_mov_b32 v4, 0
	s_delay_alu instid0(VALU_DEP_2) | instskip(SKIP_1) | instid1(VALU_DEP_3)
	v_mov_b32_e32 v1, v3
	v_lshlrev_b32_e32 v41, 3, v0
	v_dual_mov_b32 v6, v5 :: v_dual_and_b32 v39, 63, v0
	s_delay_alu instid0(VALU_DEP_4)
	v_mov_b32_e32 v2, v4
	v_mbcnt_lo_u32_b32 v40, -1, 0
	s_mov_b32 s58, 0
	ds_store_b64 v41, v[5:6]
	s_waitcnt lgkmcnt(0)
	s_barrier
	s_bitcmp1_b32 s2, 0
	buffer_gl0_inv
	s_cselect_b32 s57, -1, 0
	s_bitcmp1_b32 s2, 8
	s_cselect_b32 s33, -1, 0
	s_bitcmp1_b32 s10, 16
	s_cselect_b32 s10, -1, 0
	s_lshl_b32 s63, s15, 10
	s_cmp_gt_i32 s11, 0
	v_or_b32_e32 v42, s63, v38
	s_cselect_b32 s2, -1, 0
	s_delay_alu instid0(VALU_DEP_1) | instskip(SKIP_1) | instid1(SALU_CYCLE_1)
	v_cmp_gt_i32_e32 vcc_lo, s56, v42
	s_and_b32 s2, s2, vcc_lo
	s_and_saveexec_b32 s59, s2
	s_cbranch_execz .LBB55_168
; %bb.1:
	s_clause 0x9
	s_load_b32 s60, s[0:1], 0x40
	s_load_b32 s61, s[0:1], 0x70
	s_load_b32 s62, s[0:1], 0xa0
	s_load_b64 s[34:35], s[0:1], 0x98
	s_load_b64 s[52:53], s[0:1], 0x68
	s_load_b64 s[54:55], s[0:1], 0xc8
	s_load_b128 s[48:51], s[0:1], 0xa8
	s_load_b256 s[12:19], s[0:1], 0x78
	s_load_b256 s[20:27], s[0:1], 0x48
	;; [unrolled: 1-line block ×3, first 2 shown]
	v_dual_mov_b32 v1, 0 :: v_dual_mov_b32 v18, 0
	v_dual_mov_b32 v2, 0 :: v_dual_lshlrev_b32 v43, 3, v38
	s_addk_i32 s63, 0x400
	v_cmp_eq_u32_e64 s0, 63, v39
	v_cmp_gt_u32_e64 s1, 8, v0
	v_cmp_gt_u32_e64 s2, 4, v0
	v_cmp_gt_u32_e64 s3, 2, v0
	v_cmp_eq_u32_e64 s4, 0, v0
	v_cmp_gt_u32_e64 s5, s63, v42
	s_waitcnt lgkmcnt(0)
	v_subrev_nc_u32_e32 v44, s60, v39
	v_subrev_nc_u32_e32 v45, s61, v39
	;; [unrolled: 1-line block ×3, first 2 shown]
	v_cmp_eq_u32_e64 s6, 0, v39
	v_dual_mov_b32 v4, v2 :: v_dual_mov_b32 v3, v1
	s_and_b32 s7, s33, s10
	s_xor_b32 s64, s33, -1
	s_xor_b32 s65, s7, -1
	s_mov_b32 s66, 0
	s_branch .LBB55_3
.LBB55_2:                               ;   in Loop: Header=BB55_3 Depth=1
	s_or_b32 exec_lo, exec_lo, s9
	s_delay_alu instid0(SALU_CYCLE_1) | instskip(NEXT) | instid1(SALU_CYCLE_1)
	s_and_b32 s7, exec_lo, s8
	s_or_b32 s58, s7, s58
	s_delay_alu instid0(SALU_CYCLE_1)
	s_and_not1_b32 exec_lo, exec_lo, s58
	s_cbranch_execz .LBB55_167
.LBB55_3:                               ; =>This Loop Header: Depth=1
                                        ;     Child Loop BB55_7 Depth 2
                                        ;       Child Loop BB55_12 Depth 3
                                        ;         Child Loop BB55_16 Depth 4
                                        ;         Child Loop BB55_51 Depth 4
	;; [unrolled: 1-line block ×5, first 2 shown]
                                        ;     Child Loop BB55_146 Depth 2
                                        ;       Child Loop BB55_149 Depth 3
                                        ;       Child Loop BB55_152 Depth 3
	s_delay_alu instid0(VALU_DEP_2) | instskip(NEXT) | instid1(VALU_DEP_3)
	v_cndmask_b32_e64 v4, v4, 0, s33
	v_cndmask_b32_e64 v3, v3, 0, s33
	s_delay_alu instid0(VALU_DEP_4)
	v_cndmask_b32_e64 v2, v2, 0, s10
	v_cndmask_b32_e64 v1, v1, 0, s10
	s_mov_b32 s67, 0
	s_branch .LBB55_7
.LBB55_4:                               ;   in Loop: Header=BB55_7 Depth=2
	s_or_b32 exec_lo, exec_lo, s70
.LBB55_5:                               ;   in Loop: Header=BB55_7 Depth=2
	s_delay_alu instid0(SALU_CYCLE_1)
	s_or_b32 exec_lo, exec_lo, s69
.LBB55_6:                               ;   in Loop: Header=BB55_7 Depth=2
	s_delay_alu instid0(SALU_CYCLE_1) | instskip(SKIP_1) | instid1(SALU_CYCLE_1)
	s_or_b32 exec_lo, exec_lo, s68
	s_add_i32 s67, s67, 1
	s_cmp_eq_u32 s67, 64
	s_cbranch_scc1 .LBB55_119
.LBB55_7:                               ;   Parent Loop BB55_3 Depth=1
                                        ; =>  This Loop Header: Depth=2
                                        ;       Child Loop BB55_12 Depth 3
                                        ;         Child Loop BB55_16 Depth 4
                                        ;         Child Loop BB55_51 Depth 4
	;; [unrolled: 1-line block ×5, first 2 shown]
	v_lshl_add_u32 v19, s67, 4, v42
	s_mov_b32 s68, exec_lo
	s_delay_alu instid0(VALU_DEP_1)
	v_cmpx_gt_i32_e64 s56, v19
	s_cbranch_execz .LBB55_6
; %bb.8:                                ;   in Loop: Header=BB55_7 Depth=2
	v_ashrrev_i32_e32 v20, 31, v19
	s_mov_b32 s69, exec_lo
	s_delay_alu instid0(VALU_DEP_1) | instskip(NEXT) | instid1(VALU_DEP_1)
	v_lshlrev_b64 v[5:6], 2, v[19:20]
	v_add_co_u32 v7, vcc_lo, s36, v5
	s_delay_alu instid0(VALU_DEP_2)
	v_add_co_ci_u32_e32 v8, vcc_lo, s37, v6, vcc_lo
	v_add_co_u32 v9, vcc_lo, s38, v5
	v_add_co_ci_u32_e32 v10, vcc_lo, s39, v6, vcc_lo
	global_load_b32 v7, v[7:8], off
	global_load_b32 v8, v[9:10], off
	s_waitcnt vmcnt(1)
	v_add_nc_u32_e32 v20, v44, v7
	s_waitcnt vmcnt(0)
	v_subrev_nc_u32_e32 v47, s60, v8
	s_delay_alu instid0(VALU_DEP_1)
	v_cmpx_lt_i32_e64 v20, v47
	s_cbranch_execz .LBB55_5
; %bb.9:                                ;   in Loop: Header=BB55_7 Depth=2
	v_add_co_u32 v7, vcc_lo, s20, v5
	v_add_co_ci_u32_e32 v8, vcc_lo, s21, v6, vcc_lo
	v_add_co_u32 v5, vcc_lo, s22, v5
	v_add_co_ci_u32_e32 v6, vcc_lo, s23, v6, vcc_lo
	global_load_b32 v7, v[7:8], off
	s_mov_b32 s70, 0
	global_load_b32 v8, v[5:6], off
	s_waitcnt vmcnt(1)
	v_subrev_nc_u32_e32 v22, s61, v7
	s_waitcnt vmcnt(0)
	v_sub_nc_u32_e32 v48, v8, v7
	s_delay_alu instid0(VALU_DEP_2) | instskip(NEXT) | instid1(VALU_DEP_2)
	v_ashrrev_i32_e32 v23, 31, v22
	v_cmp_lt_i32_e64 s7, 0, v48
	s_delay_alu instid0(VALU_DEP_2) | instskip(SKIP_1) | instid1(VALU_DEP_2)
	v_lshlrev_b64 v[5:6], 2, v[22:23]
	v_lshlrev_b64 v[7:8], 4, v[22:23]
	v_add_co_u32 v49, vcc_lo, s24, v5
	s_delay_alu instid0(VALU_DEP_3) | instskip(NEXT) | instid1(VALU_DEP_3)
	v_add_co_ci_u32_e32 v50, vcc_lo, s25, v6, vcc_lo
	v_add_co_u32 v51, vcc_lo, s26, v7
	s_delay_alu instid0(VALU_DEP_4)
	v_add_co_ci_u32_e32 v52, vcc_lo, s27, v8, vcc_lo
	s_branch .LBB55_12
.LBB55_10:                              ;   in Loop: Header=BB55_12 Depth=3
	s_or_b32 exec_lo, exec_lo, s8
.LBB55_11:                              ;   in Loop: Header=BB55_12 Depth=3
	s_delay_alu instid0(SALU_CYCLE_1) | instskip(SKIP_1) | instid1(VALU_DEP_1)
	s_or_b32 exec_lo, exec_lo, s9
	v_add_nc_u32_e32 v20, 64, v20
	v_cmp_ge_i32_e32 vcc_lo, v20, v47
	s_or_b32 s70, vcc_lo, s70
	s_delay_alu instid0(SALU_CYCLE_1)
	s_and_not1_b32 exec_lo, exec_lo, s70
	s_cbranch_execz .LBB55_4
.LBB55_12:                              ;   Parent Loop BB55_3 Depth=1
                                        ;     Parent Loop BB55_7 Depth=2
                                        ; =>    This Loop Header: Depth=3
                                        ;         Child Loop BB55_16 Depth 4
                                        ;         Child Loop BB55_51 Depth 4
	;; [unrolled: 1-line block ×5, first 2 shown]
	v_ashrrev_i32_e32 v21, 31, v20
	v_mov_b32_e32 v25, 0
	v_dual_mov_b32 v26, 0 :: v_dual_mov_b32 v17, 0
	v_mov_b32_e32 v31, 0
	s_delay_alu instid0(VALU_DEP_4) | instskip(NEXT) | instid1(VALU_DEP_3)
	v_lshlrev_b64 v[5:6], 2, v[20:21]
	v_dual_mov_b32 v28, v26 :: v_dual_mov_b32 v27, v25
	s_delay_alu instid0(VALU_DEP_2) | instskip(NEXT) | instid1(VALU_DEP_3)
	v_add_co_u32 v5, vcc_lo, s40, v5
	v_add_co_ci_u32_e32 v6, vcc_lo, s41, v6, vcc_lo
	global_load_b32 v5, v[5:6], off
	s_waitcnt vmcnt(0)
	v_subrev_nc_u32_e32 v23, s60, v5
	s_delay_alu instid0(VALU_DEP_1) | instskip(NEXT) | instid1(VALU_DEP_1)
	v_ashrrev_i32_e32 v24, 31, v23
	v_lshlrev_b64 v[5:6], 2, v[23:24]
	s_delay_alu instid0(VALU_DEP_1) | instskip(NEXT) | instid1(VALU_DEP_2)
	v_add_co_u32 v7, vcc_lo, s12, v5
	v_add_co_ci_u32_e32 v8, vcc_lo, s13, v6, vcc_lo
	v_add_co_u32 v5, vcc_lo, s14, v5
	v_add_co_ci_u32_e32 v6, vcc_lo, s15, v6, vcc_lo
	global_load_b32 v7, v[7:8], off
	global_load_b32 v5, v[5:6], off
	s_waitcnt vmcnt(1)
	v_subrev_nc_u32_e32 v29, s62, v7
	s_waitcnt vmcnt(0)
	v_sub_nc_u32_e32 v53, v5, v7
	s_and_saveexec_b32 s9, s7
	s_cbranch_execz .LBB55_20
; %bb.13:                               ;   in Loop: Header=BB55_12 Depth=3
	v_ashrrev_i32_e32 v30, 31, v29
	v_mov_b32_e32 v25, 0
	v_dual_mov_b32 v31, 0 :: v_dual_mov_b32 v26, 0
	s_mov_b32 s71, 0
	s_delay_alu instid0(VALU_DEP_3) | instskip(SKIP_1) | instid1(VALU_DEP_3)
	v_lshlrev_b64 v[5:6], 2, v[29:30]
	v_lshlrev_b64 v[7:8], 4, v[29:30]
	v_dual_mov_b32 v17, v31 :: v_dual_mov_b32 v28, v26
	v_mov_b32_e32 v27, v25
                                        ; implicit-def: $sgpr72
	s_delay_alu instid0(VALU_DEP_4)
	v_add_co_u32 v5, vcc_lo, s16, v5
	v_add_co_ci_u32_e32 v6, vcc_lo, s17, v6, vcc_lo
	v_add_co_u32 v7, vcc_lo, s18, v7
	v_add_co_ci_u32_e32 v8, vcc_lo, s19, v8, vcc_lo
	s_branch .LBB55_16
.LBB55_14:                              ;   in Loop: Header=BB55_16 Depth=4
	s_or_b32 exec_lo, exec_lo, s8
	v_cmp_le_i32_e32 vcc_lo, v9, v10
	v_cmp_ge_i32_e64 s8, v9, v10
	v_add_co_ci_u32_e32 v17, vcc_lo, 0, v17, vcc_lo
	s_delay_alu instid0(VALU_DEP_2) | instskip(SKIP_1) | instid1(VALU_DEP_2)
	v_add_co_ci_u32_e64 v31, s8, 0, v31, s8
	s_and_not1_b32 s8, s72, exec_lo
	v_cmp_ge_i32_e32 vcc_lo, v17, v48
	s_and_b32 s72, vcc_lo, exec_lo
	s_delay_alu instid0(SALU_CYCLE_1)
	s_or_b32 s72, s8, s72
.LBB55_15:                              ;   in Loop: Header=BB55_16 Depth=4
	s_or_b32 exec_lo, exec_lo, s73
	s_delay_alu instid0(SALU_CYCLE_1) | instskip(NEXT) | instid1(SALU_CYCLE_1)
	s_and_b32 s8, exec_lo, s72
	s_or_b32 s71, s8, s71
	s_delay_alu instid0(SALU_CYCLE_1)
	s_and_not1_b32 exec_lo, exec_lo, s71
	s_cbranch_execz .LBB55_19
.LBB55_16:                              ;   Parent Loop BB55_3 Depth=1
                                        ;     Parent Loop BB55_7 Depth=2
                                        ;       Parent Loop BB55_12 Depth=3
                                        ; =>      This Inner Loop Header: Depth=4
	s_or_b32 s72, s72, exec_lo
	s_mov_b32 s73, exec_lo
	v_cmpx_lt_i32_e64 v31, v53
	s_cbranch_execz .LBB55_15
; %bb.17:                               ;   in Loop: Header=BB55_16 Depth=4
	v_mov_b32_e32 v32, v18
	v_lshlrev_b64 v[9:10], 2, v[17:18]
	s_mov_b32 s8, exec_lo
	s_delay_alu instid0(VALU_DEP_2) | instskip(NEXT) | instid1(VALU_DEP_2)
	v_lshlrev_b64 v[11:12], 2, v[31:32]
	v_add_co_u32 v9, vcc_lo, v49, v9
	s_delay_alu instid0(VALU_DEP_3) | instskip(NEXT) | instid1(VALU_DEP_3)
	v_add_co_ci_u32_e32 v10, vcc_lo, v50, v10, vcc_lo
	v_add_co_u32 v11, vcc_lo, v5, v11
	s_delay_alu instid0(VALU_DEP_4)
	v_add_co_ci_u32_e32 v12, vcc_lo, v6, v12, vcc_lo
	global_load_b32 v9, v[9:10], off
	global_load_b32 v10, v[11:12], off
	s_waitcnt vmcnt(1)
	v_subrev_nc_u32_e32 v9, s61, v9
	s_waitcnt vmcnt(0)
	v_subrev_nc_u32_e32 v10, s62, v10
	s_delay_alu instid0(VALU_DEP_1)
	v_cmpx_eq_u32_e64 v9, v10
	s_cbranch_execz .LBB55_14
; %bb.18:                               ;   in Loop: Header=BB55_16 Depth=4
	v_lshlrev_b64 v[11:12], 4, v[17:18]
	v_lshlrev_b64 v[13:14], 4, v[31:32]
	s_delay_alu instid0(VALU_DEP_2) | instskip(NEXT) | instid1(VALU_DEP_3)
	v_add_co_u32 v11, vcc_lo, v51, v11
	v_add_co_ci_u32_e32 v12, vcc_lo, v52, v12, vcc_lo
	s_delay_alu instid0(VALU_DEP_3) | instskip(NEXT) | instid1(VALU_DEP_4)
	v_add_co_u32 v15, vcc_lo, v7, v13
	v_add_co_ci_u32_e32 v16, vcc_lo, v8, v14, vcc_lo
	global_load_b128 v[11:14], v[11:12], off
	global_load_b128 v[32:35], v[15:16], off
	s_waitcnt vmcnt(0)
	v_fma_f64 v[15:16], v[11:12], v[32:33], v[25:26]
	v_fma_f64 v[27:28], v[13:14], v[32:33], v[27:28]
	s_delay_alu instid0(VALU_DEP_2) | instskip(NEXT) | instid1(VALU_DEP_2)
	v_fma_f64 v[25:26], -v[13:14], v[34:35], v[15:16]
	v_fma_f64 v[27:28], v[11:12], v[34:35], v[27:28]
	s_branch .LBB55_14
.LBB55_19:                              ;   in Loop: Header=BB55_12 Depth=3
	s_or_b32 exec_lo, exec_lo, s71
.LBB55_20:                              ;   in Loop: Header=BB55_12 Depth=3
	s_delay_alu instid0(SALU_CYCLE_1) | instskip(SKIP_3) | instid1(VALU_DEP_2)
	s_or_b32 exec_lo, exec_lo, s9
	v_lshlrev_b64 v[5:6], 4, v[20:21]
	v_cmp_le_i32_e64 s8, v19, v23
	s_mov_b32 s9, exec_lo
	v_add_co_u32 v5, vcc_lo, s42, v5
	s_delay_alu instid0(VALU_DEP_3)
	v_add_co_ci_u32_e32 v6, vcc_lo, s43, v6, vcc_lo
	global_load_b128 v[5:8], v[5:6], off
	s_waitcnt vmcnt(0)
	v_add_f64 v[9:10], v[5:6], -v[25:26]
	v_add_f64 v[11:12], v[7:8], -v[27:28]
	v_cmpx_gt_i32_e64 v19, v23
	s_cbranch_execz .LBB55_30
; %bb.21:                               ;   in Loop: Header=BB55_12 Depth=3
	v_lshlrev_b64 v[13:14], 4, v[23:24]
	s_mov_b32 s71, exec_lo
                                        ; implicit-def: $vgpr36_vgpr37
	s_delay_alu instid0(VALU_DEP_1) | instskip(NEXT) | instid1(VALU_DEP_2)
	v_add_co_u32 v13, vcc_lo, s48, v13
	v_add_co_ci_u32_e32 v14, vcc_lo, s49, v14, vcc_lo
	global_load_b128 v[13:16], v[13:14], off
	s_waitcnt vmcnt(0)
	v_cmp_gt_f64_e32 vcc_lo, 0, v[13:14]
	v_xor_b32_e32 v21, 0x80000000, v14
	v_mov_b32_e32 v32, v13
	v_xor_b32_e32 v30, 0x80000000, v16
	s_delay_alu instid0(VALU_DEP_3) | instskip(SKIP_1) | instid1(VALU_DEP_3)
	v_dual_mov_b32 v34, v15 :: v_dual_cndmask_b32 v33, v14, v21
	v_cmp_gt_f64_e32 vcc_lo, 0, v[15:16]
	v_cndmask_b32_e32 v35, v16, v30, vcc_lo
	s_delay_alu instid0(VALU_DEP_1)
	v_cmpx_ngt_f64_e32 v[32:33], v[34:35]
	s_xor_b32 s71, exec_lo, s71
	s_cbranch_execz .LBB55_25
; %bb.22:                               ;   in Loop: Header=BB55_12 Depth=3
	v_mov_b32_e32 v36, 0
	v_mov_b32_e32 v37, 0
	s_mov_b32 s72, exec_lo
	v_cmpx_neq_f64_e32 0, v[15:16]
	s_cbranch_execz .LBB55_24
; %bb.23:                               ;   in Loop: Header=BB55_12 Depth=3
	v_div_scale_f64 v[36:37], null, v[34:35], v[34:35], v[32:33]
	v_div_scale_f64 v[58:59], vcc_lo, v[32:33], v[34:35], v[32:33]
	s_delay_alu instid0(VALU_DEP_2) | instskip(SKIP_2) | instid1(VALU_DEP_1)
	v_rcp_f64_e32 v[54:55], v[36:37]
	s_waitcnt_depctr 0xfff
	v_fma_f64 v[56:57], -v[36:37], v[54:55], 1.0
	v_fma_f64 v[54:55], v[54:55], v[56:57], v[54:55]
	s_delay_alu instid0(VALU_DEP_1) | instskip(NEXT) | instid1(VALU_DEP_1)
	v_fma_f64 v[56:57], -v[36:37], v[54:55], 1.0
	v_fma_f64 v[54:55], v[54:55], v[56:57], v[54:55]
	s_delay_alu instid0(VALU_DEP_1) | instskip(NEXT) | instid1(VALU_DEP_1)
	v_mul_f64 v[56:57], v[58:59], v[54:55]
	v_fma_f64 v[36:37], -v[36:37], v[56:57], v[58:59]
	s_delay_alu instid0(VALU_DEP_1) | instskip(NEXT) | instid1(VALU_DEP_1)
	v_div_fmas_f64 v[36:37], v[36:37], v[54:55], v[56:57]
	v_div_fixup_f64 v[32:33], v[36:37], v[34:35], v[32:33]
	s_delay_alu instid0(VALU_DEP_1) | instskip(NEXT) | instid1(VALU_DEP_1)
	v_fma_f64 v[32:33], v[32:33], v[32:33], 1.0
	v_cmp_gt_f64_e32 vcc_lo, 0x10000000, v[32:33]
	v_cndmask_b32_e64 v21, 0, 1, vcc_lo
	s_delay_alu instid0(VALU_DEP_1) | instskip(NEXT) | instid1(VALU_DEP_1)
	v_lshlrev_b32_e32 v21, 8, v21
	v_ldexp_f64 v[32:33], v[32:33], v21
	v_cndmask_b32_e64 v21, 0, 0xffffff80, vcc_lo
	s_delay_alu instid0(VALU_DEP_2) | instskip(SKIP_4) | instid1(VALU_DEP_1)
	v_rsq_f64_e32 v[36:37], v[32:33]
	v_cmp_class_f64_e64 vcc_lo, v[32:33], 0x260
	s_waitcnt_depctr 0xfff
	v_mul_f64 v[54:55], v[32:33], v[36:37]
	v_mul_f64 v[36:37], v[36:37], 0.5
	v_fma_f64 v[56:57], -v[36:37], v[54:55], 0.5
	s_delay_alu instid0(VALU_DEP_1) | instskip(SKIP_1) | instid1(VALU_DEP_2)
	v_fma_f64 v[54:55], v[54:55], v[56:57], v[54:55]
	v_fma_f64 v[36:37], v[36:37], v[56:57], v[36:37]
	v_fma_f64 v[56:57], -v[54:55], v[54:55], v[32:33]
	s_delay_alu instid0(VALU_DEP_1) | instskip(NEXT) | instid1(VALU_DEP_1)
	v_fma_f64 v[54:55], v[56:57], v[36:37], v[54:55]
	v_fma_f64 v[56:57], -v[54:55], v[54:55], v[32:33]
	s_delay_alu instid0(VALU_DEP_1) | instskip(NEXT) | instid1(VALU_DEP_1)
	v_fma_f64 v[36:37], v[56:57], v[36:37], v[54:55]
	v_ldexp_f64 v[36:37], v[36:37], v21
	s_delay_alu instid0(VALU_DEP_1) | instskip(NEXT) | instid1(VALU_DEP_1)
	v_dual_cndmask_b32 v32, v36, v32 :: v_dual_cndmask_b32 v33, v37, v33
	v_mul_f64 v[36:37], v[34:35], v[32:33]
.LBB55_24:                              ;   in Loop: Header=BB55_12 Depth=3
	s_or_b32 exec_lo, exec_lo, s72
                                        ; implicit-def: $vgpr32_vgpr33
                                        ; implicit-def: $vgpr34_vgpr35
.LBB55_25:                              ;   in Loop: Header=BB55_12 Depth=3
	s_and_not1_saveexec_b32 s71, s71
	s_cbranch_execz .LBB55_27
; %bb.26:                               ;   in Loop: Header=BB55_12 Depth=3
	v_div_scale_f64 v[36:37], null, v[32:33], v[32:33], v[34:35]
	v_div_scale_f64 v[58:59], vcc_lo, v[34:35], v[32:33], v[34:35]
	s_delay_alu instid0(VALU_DEP_2) | instskip(SKIP_2) | instid1(VALU_DEP_1)
	v_rcp_f64_e32 v[54:55], v[36:37]
	s_waitcnt_depctr 0xfff
	v_fma_f64 v[56:57], -v[36:37], v[54:55], 1.0
	v_fma_f64 v[54:55], v[54:55], v[56:57], v[54:55]
	s_delay_alu instid0(VALU_DEP_1) | instskip(NEXT) | instid1(VALU_DEP_1)
	v_fma_f64 v[56:57], -v[36:37], v[54:55], 1.0
	v_fma_f64 v[54:55], v[54:55], v[56:57], v[54:55]
	s_delay_alu instid0(VALU_DEP_1) | instskip(NEXT) | instid1(VALU_DEP_1)
	v_mul_f64 v[56:57], v[58:59], v[54:55]
	v_fma_f64 v[36:37], -v[36:37], v[56:57], v[58:59]
	s_delay_alu instid0(VALU_DEP_1) | instskip(NEXT) | instid1(VALU_DEP_1)
	v_div_fmas_f64 v[36:37], v[36:37], v[54:55], v[56:57]
	v_div_fixup_f64 v[34:35], v[36:37], v[32:33], v[34:35]
	s_delay_alu instid0(VALU_DEP_1) | instskip(NEXT) | instid1(VALU_DEP_1)
	v_fma_f64 v[34:35], v[34:35], v[34:35], 1.0
	v_cmp_gt_f64_e32 vcc_lo, 0x10000000, v[34:35]
	v_cndmask_b32_e64 v21, 0, 1, vcc_lo
	s_delay_alu instid0(VALU_DEP_1) | instskip(NEXT) | instid1(VALU_DEP_1)
	v_lshlrev_b32_e32 v21, 8, v21
	v_ldexp_f64 v[34:35], v[34:35], v21
	v_cndmask_b32_e64 v21, 0, 0xffffff80, vcc_lo
	s_delay_alu instid0(VALU_DEP_2) | instskip(SKIP_4) | instid1(VALU_DEP_1)
	v_rsq_f64_e32 v[36:37], v[34:35]
	v_cmp_class_f64_e64 vcc_lo, v[34:35], 0x260
	s_waitcnt_depctr 0xfff
	v_mul_f64 v[54:55], v[34:35], v[36:37]
	v_mul_f64 v[36:37], v[36:37], 0.5
	v_fma_f64 v[56:57], -v[36:37], v[54:55], 0.5
	s_delay_alu instid0(VALU_DEP_1) | instskip(SKIP_1) | instid1(VALU_DEP_2)
	v_fma_f64 v[54:55], v[54:55], v[56:57], v[54:55]
	v_fma_f64 v[36:37], v[36:37], v[56:57], v[36:37]
	v_fma_f64 v[56:57], -v[54:55], v[54:55], v[34:35]
	s_delay_alu instid0(VALU_DEP_1) | instskip(NEXT) | instid1(VALU_DEP_1)
	v_fma_f64 v[54:55], v[56:57], v[36:37], v[54:55]
	v_fma_f64 v[56:57], -v[54:55], v[54:55], v[34:35]
	s_delay_alu instid0(VALU_DEP_1) | instskip(NEXT) | instid1(VALU_DEP_1)
	v_fma_f64 v[36:37], v[56:57], v[36:37], v[54:55]
	v_ldexp_f64 v[36:37], v[36:37], v21
	s_delay_alu instid0(VALU_DEP_1) | instskip(NEXT) | instid1(VALU_DEP_1)
	v_dual_cndmask_b32 v34, v36, v34 :: v_dual_cndmask_b32 v35, v37, v35
	v_mul_f64 v[36:37], v[32:33], v[34:35]
.LBB55_27:                              ;   in Loop: Header=BB55_12 Depth=3
	s_or_b32 exec_lo, exec_lo, s71
	v_mov_b32_e32 v32, 0
	v_mov_b32_e32 v33, 0
	s_mov_b32 s71, exec_lo
	s_delay_alu instid0(VALU_DEP_1) | instskip(NEXT) | instid1(VALU_DEP_4)
	v_dual_mov_b32 v35, v33 :: v_dual_mov_b32 v34, v32
	v_cmpx_lt_f64_e32 0, v[36:37]
	s_cbranch_execz .LBB55_29
; %bb.28:                               ;   in Loop: Header=BB55_12 Depth=3
	v_mul_f64 v[32:33], v[15:16], v[15:16]
	s_delay_alu instid0(VALU_DEP_1) | instskip(NEXT) | instid1(VALU_DEP_1)
	v_fma_f64 v[32:33], v[13:14], v[13:14], v[32:33]
	v_div_scale_f64 v[34:35], null, v[32:33], v[32:33], 1.0
	v_div_scale_f64 v[56:57], vcc_lo, 1.0, v[32:33], 1.0
	s_delay_alu instid0(VALU_DEP_2) | instskip(SKIP_2) | instid1(VALU_DEP_1)
	v_rcp_f64_e32 v[36:37], v[34:35]
	s_waitcnt_depctr 0xfff
	v_fma_f64 v[54:55], -v[34:35], v[36:37], 1.0
	v_fma_f64 v[36:37], v[36:37], v[54:55], v[36:37]
	s_delay_alu instid0(VALU_DEP_1) | instskip(NEXT) | instid1(VALU_DEP_1)
	v_fma_f64 v[54:55], -v[34:35], v[36:37], 1.0
	v_fma_f64 v[36:37], v[36:37], v[54:55], v[36:37]
	s_delay_alu instid0(VALU_DEP_1) | instskip(NEXT) | instid1(VALU_DEP_1)
	v_mul_f64 v[54:55], v[56:57], v[36:37]
	v_fma_f64 v[34:35], -v[34:35], v[54:55], v[56:57]
	v_mul_f64 v[56:57], v[11:12], v[15:16]
	v_mul_f64 v[15:16], v[15:16], -v[9:10]
	s_delay_alu instid0(VALU_DEP_3) | instskip(NEXT) | instid1(VALU_DEP_3)
	v_div_fmas_f64 v[34:35], v[34:35], v[36:37], v[54:55]
	v_fma_f64 v[9:10], v[9:10], v[13:14], v[56:57]
	s_delay_alu instid0(VALU_DEP_3) | instskip(NEXT) | instid1(VALU_DEP_3)
	v_fma_f64 v[11:12], v[11:12], v[13:14], v[15:16]
	v_div_fixup_f64 v[32:33], v[34:35], v[32:33], 1.0
	s_delay_alu instid0(VALU_DEP_1) | instskip(NEXT) | instid1(VALU_DEP_3)
	v_mul_f64 v[34:35], v[9:10], v[32:33]
	v_mul_f64 v[32:33], v[11:12], v[32:33]
.LBB55_29:                              ;   in Loop: Header=BB55_12 Depth=3
	s_or_b32 exec_lo, exec_lo, s71
	s_delay_alu instid0(VALU_DEP_1) | instskip(NEXT) | instid1(VALU_DEP_3)
	v_dual_mov_b32 v11, v32 :: v_dual_mov_b32 v12, v33
	v_dual_mov_b32 v9, v34 :: v_dual_mov_b32 v10, v35
.LBB55_30:                              ;   in Loop: Header=BB55_12 Depth=3
	s_or_b32 exec_lo, exec_lo, s9
	s_delay_alu instid0(VALU_DEP_1) | instskip(NEXT) | instid1(VALU_DEP_3)
	v_cmp_gt_f64_e32 vcc_lo, 0, v[9:10]
	v_cmp_gt_f64_e64 s9, 0, v[11:12]
	v_xor_b32_e32 v13, 0x80000000, v10
	v_xor_b32_e32 v15, 0x80000000, v12
                                        ; implicit-def: $vgpr32_vgpr33
	s_delay_alu instid0(VALU_DEP_2) | instskip(NEXT) | instid1(VALU_DEP_2)
	v_cndmask_b32_e32 v14, v10, v13, vcc_lo
	v_cndmask_b32_e64 v16, v12, v15, s9
	v_cndmask_b32_e32 v13, v9, v9, vcc_lo
	v_cndmask_b32_e64 v15, v11, v11, s9
	s_mov_b32 s9, exec_lo
	s_delay_alu instid0(VALU_DEP_1)
	v_cmpx_ngt_f64_e32 v[13:14], v[15:16]
	s_xor_b32 s9, exec_lo, s9
	s_cbranch_execnz .LBB55_34
; %bb.31:                               ;   in Loop: Header=BB55_12 Depth=3
	s_and_not1_saveexec_b32 s9, s9
	s_cbranch_execnz .LBB55_37
.LBB55_32:                              ;   in Loop: Header=BB55_12 Depth=3
	s_or_b32 exec_lo, exec_lo, s9
	s_delay_alu instid0(VALU_DEP_1) | instskip(NEXT) | instid1(VALU_DEP_1)
	v_cmp_class_f64_e64 s9, v[32:33], 0x1f8
	s_and_saveexec_b32 s71, s9
	s_cbranch_execnz .LBB55_38
.LBB55_33:                              ;   in Loop: Header=BB55_12 Depth=3
	s_or_b32 exec_lo, exec_lo, s71
	s_and_b32 s8, s9, s10
	s_delay_alu instid0(SALU_CYCLE_1)
	s_and_saveexec_b32 s9, s8
	s_cbranch_execz .LBB55_11
	s_branch .LBB55_79
.LBB55_34:                              ;   in Loop: Header=BB55_12 Depth=3
	v_mov_b32_e32 v32, 0
	v_mov_b32_e32 v33, 0
	s_mov_b32 s71, exec_lo
	v_cmpx_neq_f64_e32 0, v[11:12]
	s_cbranch_execz .LBB55_36
; %bb.35:                               ;   in Loop: Header=BB55_12 Depth=3
	v_div_scale_f64 v[32:33], null, v[15:16], v[15:16], v[13:14]
	v_div_scale_f64 v[54:55], vcc_lo, v[13:14], v[15:16], v[13:14]
	s_delay_alu instid0(VALU_DEP_2) | instskip(SKIP_2) | instid1(VALU_DEP_1)
	v_rcp_f64_e32 v[34:35], v[32:33]
	s_waitcnt_depctr 0xfff
	v_fma_f64 v[36:37], -v[32:33], v[34:35], 1.0
	v_fma_f64 v[34:35], v[34:35], v[36:37], v[34:35]
	s_delay_alu instid0(VALU_DEP_1) | instskip(NEXT) | instid1(VALU_DEP_1)
	v_fma_f64 v[36:37], -v[32:33], v[34:35], 1.0
	v_fma_f64 v[34:35], v[34:35], v[36:37], v[34:35]
	s_delay_alu instid0(VALU_DEP_1) | instskip(NEXT) | instid1(VALU_DEP_1)
	v_mul_f64 v[36:37], v[54:55], v[34:35]
	v_fma_f64 v[32:33], -v[32:33], v[36:37], v[54:55]
	s_delay_alu instid0(VALU_DEP_1) | instskip(NEXT) | instid1(VALU_DEP_1)
	v_div_fmas_f64 v[32:33], v[32:33], v[34:35], v[36:37]
	v_div_fixup_f64 v[13:14], v[32:33], v[15:16], v[13:14]
	s_delay_alu instid0(VALU_DEP_1) | instskip(NEXT) | instid1(VALU_DEP_1)
	v_fma_f64 v[13:14], v[13:14], v[13:14], 1.0
	v_cmp_gt_f64_e32 vcc_lo, 0x10000000, v[13:14]
	v_cndmask_b32_e64 v21, 0, 1, vcc_lo
	s_delay_alu instid0(VALU_DEP_1) | instskip(NEXT) | instid1(VALU_DEP_1)
	v_lshlrev_b32_e32 v21, 8, v21
	v_ldexp_f64 v[13:14], v[13:14], v21
	v_cndmask_b32_e64 v21, 0, 0xffffff80, vcc_lo
	s_delay_alu instid0(VALU_DEP_2) | instskip(SKIP_4) | instid1(VALU_DEP_1)
	v_rsq_f64_e32 v[32:33], v[13:14]
	v_cmp_class_f64_e64 vcc_lo, v[13:14], 0x260
	s_waitcnt_depctr 0xfff
	v_mul_f64 v[34:35], v[13:14], v[32:33]
	v_mul_f64 v[32:33], v[32:33], 0.5
	v_fma_f64 v[36:37], -v[32:33], v[34:35], 0.5
	s_delay_alu instid0(VALU_DEP_1) | instskip(SKIP_1) | instid1(VALU_DEP_2)
	v_fma_f64 v[34:35], v[34:35], v[36:37], v[34:35]
	v_fma_f64 v[32:33], v[32:33], v[36:37], v[32:33]
	v_fma_f64 v[36:37], -v[34:35], v[34:35], v[13:14]
	s_delay_alu instid0(VALU_DEP_1) | instskip(NEXT) | instid1(VALU_DEP_1)
	v_fma_f64 v[34:35], v[36:37], v[32:33], v[34:35]
	v_fma_f64 v[36:37], -v[34:35], v[34:35], v[13:14]
	s_delay_alu instid0(VALU_DEP_1) | instskip(NEXT) | instid1(VALU_DEP_1)
	v_fma_f64 v[32:33], v[36:37], v[32:33], v[34:35]
	v_ldexp_f64 v[32:33], v[32:33], v21
	s_delay_alu instid0(VALU_DEP_1) | instskip(NEXT) | instid1(VALU_DEP_1)
	v_dual_cndmask_b32 v14, v33, v14 :: v_dual_cndmask_b32 v13, v32, v13
	v_mul_f64 v[32:33], v[15:16], v[13:14]
.LBB55_36:                              ;   in Loop: Header=BB55_12 Depth=3
	s_or_b32 exec_lo, exec_lo, s71
                                        ; implicit-def: $vgpr13_vgpr14
                                        ; implicit-def: $vgpr15_vgpr16
	s_and_not1_saveexec_b32 s9, s9
	s_cbranch_execz .LBB55_32
.LBB55_37:                              ;   in Loop: Header=BB55_12 Depth=3
	v_div_scale_f64 v[32:33], null, v[13:14], v[13:14], v[15:16]
	v_div_scale_f64 v[54:55], vcc_lo, v[15:16], v[13:14], v[15:16]
	s_delay_alu instid0(VALU_DEP_2) | instskip(SKIP_2) | instid1(VALU_DEP_1)
	v_rcp_f64_e32 v[34:35], v[32:33]
	s_waitcnt_depctr 0xfff
	v_fma_f64 v[36:37], -v[32:33], v[34:35], 1.0
	v_fma_f64 v[34:35], v[34:35], v[36:37], v[34:35]
	s_delay_alu instid0(VALU_DEP_1) | instskip(NEXT) | instid1(VALU_DEP_1)
	v_fma_f64 v[36:37], -v[32:33], v[34:35], 1.0
	v_fma_f64 v[34:35], v[34:35], v[36:37], v[34:35]
	s_delay_alu instid0(VALU_DEP_1) | instskip(NEXT) | instid1(VALU_DEP_1)
	v_mul_f64 v[36:37], v[54:55], v[34:35]
	v_fma_f64 v[32:33], -v[32:33], v[36:37], v[54:55]
	s_delay_alu instid0(VALU_DEP_1) | instskip(NEXT) | instid1(VALU_DEP_1)
	v_div_fmas_f64 v[32:33], v[32:33], v[34:35], v[36:37]
	v_div_fixup_f64 v[15:16], v[32:33], v[13:14], v[15:16]
	s_delay_alu instid0(VALU_DEP_1) | instskip(NEXT) | instid1(VALU_DEP_1)
	v_fma_f64 v[15:16], v[15:16], v[15:16], 1.0
	v_cmp_gt_f64_e32 vcc_lo, 0x10000000, v[15:16]
	v_cndmask_b32_e64 v21, 0, 1, vcc_lo
	s_delay_alu instid0(VALU_DEP_1) | instskip(NEXT) | instid1(VALU_DEP_1)
	v_lshlrev_b32_e32 v21, 8, v21
	v_ldexp_f64 v[15:16], v[15:16], v21
	v_cndmask_b32_e64 v21, 0, 0xffffff80, vcc_lo
	s_delay_alu instid0(VALU_DEP_2) | instskip(SKIP_4) | instid1(VALU_DEP_1)
	v_rsq_f64_e32 v[32:33], v[15:16]
	v_cmp_class_f64_e64 vcc_lo, v[15:16], 0x260
	s_waitcnt_depctr 0xfff
	v_mul_f64 v[34:35], v[15:16], v[32:33]
	v_mul_f64 v[32:33], v[32:33], 0.5
	v_fma_f64 v[36:37], -v[32:33], v[34:35], 0.5
	s_delay_alu instid0(VALU_DEP_1) | instskip(SKIP_1) | instid1(VALU_DEP_2)
	v_fma_f64 v[34:35], v[34:35], v[36:37], v[34:35]
	v_fma_f64 v[32:33], v[32:33], v[36:37], v[32:33]
	v_fma_f64 v[36:37], -v[34:35], v[34:35], v[15:16]
	s_delay_alu instid0(VALU_DEP_1) | instskip(NEXT) | instid1(VALU_DEP_1)
	v_fma_f64 v[34:35], v[36:37], v[32:33], v[34:35]
	v_fma_f64 v[36:37], -v[34:35], v[34:35], v[15:16]
	s_delay_alu instid0(VALU_DEP_1) | instskip(NEXT) | instid1(VALU_DEP_1)
	v_fma_f64 v[32:33], v[36:37], v[32:33], v[34:35]
	v_ldexp_f64 v[32:33], v[32:33], v21
	s_delay_alu instid0(VALU_DEP_1) | instskip(NEXT) | instid1(VALU_DEP_1)
	v_dual_cndmask_b32 v16, v33, v16 :: v_dual_cndmask_b32 v15, v32, v15
	v_mul_f64 v[32:33], v[13:14], v[15:16]
	s_or_b32 exec_lo, exec_lo, s9
	s_delay_alu instid0(VALU_DEP_1) | instskip(NEXT) | instid1(VALU_DEP_1)
	v_cmp_class_f64_e64 s9, v[32:33], 0x1f8
	s_and_saveexec_b32 s71, s9
	s_cbranch_execz .LBB55_33
.LBB55_38:                              ;   in Loop: Header=BB55_12 Depth=3
	s_and_saveexec_b32 s72, s8
	s_delay_alu instid0(SALU_CYCLE_1)
	s_xor_b32 s72, exec_lo, s72
	s_cbranch_execz .LBB55_63
; %bb.39:                               ;   in Loop: Header=BB55_12 Depth=3
	s_mov_b32 s8, exec_lo
	v_cmpx_ge_i32_e64 v19, v23
	s_xor_b32 s73, exec_lo, s8
	s_cbranch_execz .LBB55_47
; %bb.40:                               ;   in Loop: Header=BB55_12 Depth=3
	v_lshlrev_b64 v[13:14], 4, v[23:24]
	s_delay_alu instid0(VALU_DEP_1) | instskip(NEXT) | instid1(VALU_DEP_2)
	v_add_co_u32 v15, vcc_lo, s50, v13
	v_add_co_ci_u32_e32 v16, vcc_lo, s51, v14, vcc_lo
	s_and_not1_b32 vcc_lo, exec_lo, s33
	global_store_b128 v[15:16], v[9:12], off
	s_cbranch_vccnz .LBB55_46
; %bb.41:                               ;   in Loop: Header=BB55_12 Depth=3
	v_add_co_u32 v13, vcc_lo, s48, v13
	v_add_co_ci_u32_e32 v14, vcc_lo, s49, v14, vcc_lo
	global_load_b128 v[13:16], v[13:14], off
	s_waitcnt vmcnt(0)
	v_add_f64 v[9:10], v[13:14], -v[9:10]
	v_add_f64 v[15:16], v[15:16], -v[11:12]
                                        ; implicit-def: $vgpr13_vgpr14
	s_delay_alu instid0(VALU_DEP_2) | instskip(NEXT) | instid1(VALU_DEP_2)
	v_cmp_gt_f64_e32 vcc_lo, 0, v[9:10]
	v_cmp_gt_f64_e64 s8, 0, v[15:16]
	v_xor_b32_e32 v11, 0x80000000, v10
	v_xor_b32_e32 v12, 0x80000000, v16
	s_delay_alu instid0(VALU_DEP_2) | instskip(NEXT) | instid1(VALU_DEP_2)
	v_dual_cndmask_b32 v10, v10, v11 :: v_dual_cndmask_b32 v9, v9, v9
	v_cndmask_b32_e64 v12, v16, v12, s8
	v_cndmask_b32_e64 v11, v15, v15, s8
	s_mov_b32 s8, exec_lo
	s_delay_alu instid0(VALU_DEP_1)
	v_cmpx_ngt_f64_e32 v[9:10], v[11:12]
	s_xor_b32 s8, exec_lo, s8
	s_cbranch_execnz .LBB55_107
; %bb.42:                               ;   in Loop: Header=BB55_12 Depth=3
	s_and_not1_saveexec_b32 s8, s8
	s_cbranch_execnz .LBB55_110
.LBB55_43:                              ;   in Loop: Header=BB55_12 Depth=3
	s_or_b32 exec_lo, exec_lo, s8
	s_delay_alu instid0(VALU_DEP_1) | instskip(NEXT) | instid1(VALU_DEP_1)
	v_cmp_class_f64_e64 s74, v[13:14], 0x1f8
	s_and_saveexec_b32 s8, s74
.LBB55_44:                              ;   in Loop: Header=BB55_12 Depth=3
	v_cmp_lt_f64_e32 vcc_lo, v[3:4], v[13:14]
	v_dual_cndmask_b32 v4, v4, v14 :: v_dual_cndmask_b32 v3, v3, v13
.LBB55_45:                              ;   in Loop: Header=BB55_12 Depth=3
	s_or_b32 exec_lo, exec_lo, s8
.LBB55_46:                              ;   in Loop: Header=BB55_12 Depth=3
                                        ; implicit-def: $vgpr9_vgpr10
.LBB55_47:                              ;   in Loop: Header=BB55_12 Depth=3
	s_and_not1_saveexec_b32 s73, s73
	s_cbranch_execz .LBB55_62
; %bb.48:                               ;   in Loop: Header=BB55_12 Depth=3
	s_mov_b32 s74, exec_lo
	v_cmpx_lt_i32_e64 v31, v53
	s_cbranch_execz .LBB55_61
; %bb.49:                               ;   in Loop: Header=BB55_12 Depth=3
	v_mov_b32_e32 v15, v31
	s_mov_b32 s8, 0
                                        ; implicit-def: $sgpr75
                                        ; implicit-def: $sgpr77
                                        ; implicit-def: $sgpr76
	s_set_inst_prefetch_distance 0x1
	s_branch .LBB55_51
	.p2align	6
.LBB55_50:                              ;   in Loop: Header=BB55_51 Depth=4
	s_or_b32 exec_lo, exec_lo, s78
	s_delay_alu instid0(SALU_CYCLE_1) | instskip(NEXT) | instid1(SALU_CYCLE_1)
	s_and_b32 s78, exec_lo, s77
	s_or_b32 s8, s78, s8
	s_and_not1_b32 s75, s75, exec_lo
	s_and_b32 s78, s76, exec_lo
	s_delay_alu instid0(SALU_CYCLE_1)
	s_or_b32 s75, s75, s78
	s_and_not1_b32 exec_lo, exec_lo, s8
	s_cbranch_execz .LBB55_53
.LBB55_51:                              ;   Parent Loop BB55_3 Depth=1
                                        ;     Parent Loop BB55_7 Depth=2
                                        ;       Parent Loop BB55_12 Depth=3
                                        ; =>      This Inner Loop Header: Depth=4
	s_delay_alu instid0(VALU_DEP_1) | instskip(SKIP_3) | instid1(VALU_DEP_1)
	v_add_nc_u32_e32 v13, v29, v15
	s_or_b32 s76, s76, exec_lo
	s_or_b32 s77, s77, exec_lo
	s_mov_b32 s78, exec_lo
	v_ashrrev_i32_e32 v14, 31, v13
	s_delay_alu instid0(VALU_DEP_1) | instskip(NEXT) | instid1(VALU_DEP_1)
	v_lshlrev_b64 v[32:33], 2, v[13:14]
	v_add_co_u32 v32, vcc_lo, s16, v32
	s_delay_alu instid0(VALU_DEP_2) | instskip(SKIP_3) | instid1(VALU_DEP_1)
	v_add_co_ci_u32_e32 v33, vcc_lo, s17, v33, vcc_lo
	global_load_b32 v16, v[32:33], off
	s_waitcnt vmcnt(0)
	v_subrev_nc_u32_e32 v16, s62, v16
	v_cmpx_ne_u32_e64 v16, v19
	s_cbranch_execz .LBB55_50
; %bb.52:                               ;   in Loop: Header=BB55_51 Depth=4
	v_add_nc_u32_e32 v15, 1, v15
	s_and_not1_b32 s77, s77, exec_lo
	s_and_not1_b32 s76, s76, exec_lo
	s_delay_alu instid0(VALU_DEP_1) | instskip(SKIP_1) | instid1(SALU_CYCLE_1)
	v_cmp_ge_i32_e32 vcc_lo, v15, v53
	s_and_b32 s79, vcc_lo, exec_lo
	s_or_b32 s77, s77, s79
	s_branch .LBB55_50
.LBB55_53:                              ;   in Loop: Header=BB55_12 Depth=3
	s_set_inst_prefetch_distance 0x2
	s_or_b32 exec_lo, exec_lo, s8
	s_and_saveexec_b32 s8, s75
	s_delay_alu instid0(SALU_CYCLE_1)
	s_xor_b32 s75, exec_lo, s8
	s_cbranch_execz .LBB55_60
; %bb.54:                               ;   in Loop: Header=BB55_12 Depth=3
	v_lshlrev_b64 v[13:14], 4, v[13:14]
	s_delay_alu instid0(VALU_DEP_1) | instskip(NEXT) | instid1(VALU_DEP_2)
	v_add_co_u32 v15, vcc_lo, s34, v13
	v_add_co_ci_u32_e32 v16, vcc_lo, s35, v14, vcc_lo
	s_and_not1_b32 vcc_lo, exec_lo, s33
	global_store_b128 v[15:16], v[9:12], off
	s_cbranch_vccnz .LBB55_60
; %bb.55:                               ;   in Loop: Header=BB55_12 Depth=3
	v_add_co_u32 v13, vcc_lo, s18, v13
	v_add_co_ci_u32_e32 v14, vcc_lo, s19, v14, vcc_lo
	global_load_b128 v[13:16], v[13:14], off
	s_waitcnt vmcnt(0)
	v_add_f64 v[9:10], v[13:14], -v[9:10]
	v_add_f64 v[15:16], v[15:16], -v[11:12]
                                        ; implicit-def: $vgpr13_vgpr14
	s_delay_alu instid0(VALU_DEP_2) | instskip(NEXT) | instid1(VALU_DEP_2)
	v_cmp_gt_f64_e32 vcc_lo, 0, v[9:10]
	v_cmp_gt_f64_e64 s8, 0, v[15:16]
	v_xor_b32_e32 v11, 0x80000000, v10
	v_xor_b32_e32 v12, 0x80000000, v16
	s_delay_alu instid0(VALU_DEP_2) | instskip(NEXT) | instid1(VALU_DEP_2)
	v_dual_cndmask_b32 v10, v10, v11 :: v_dual_cndmask_b32 v9, v9, v9
	v_cndmask_b32_e64 v12, v16, v12, s8
	v_cndmask_b32_e64 v11, v15, v15, s8
	s_mov_b32 s8, exec_lo
	s_delay_alu instid0(VALU_DEP_1)
	v_cmpx_ngt_f64_e32 v[9:10], v[11:12]
	s_xor_b32 s8, exec_lo, s8
	s_cbranch_execnz .LBB55_115
; %bb.56:                               ;   in Loop: Header=BB55_12 Depth=3
	s_and_not1_saveexec_b32 s8, s8
	s_cbranch_execnz .LBB55_118
.LBB55_57:                              ;   in Loop: Header=BB55_12 Depth=3
	s_or_b32 exec_lo, exec_lo, s8
	s_delay_alu instid0(VALU_DEP_1) | instskip(NEXT) | instid1(VALU_DEP_1)
	v_cmp_class_f64_e64 s76, v[13:14], 0x1f8
	s_and_saveexec_b32 s8, s76
.LBB55_58:                              ;   in Loop: Header=BB55_12 Depth=3
	v_cmp_lt_f64_e32 vcc_lo, v[3:4], v[13:14]
	v_dual_cndmask_b32 v4, v4, v14 :: v_dual_cndmask_b32 v3, v3, v13
.LBB55_59:                              ;   in Loop: Header=BB55_12 Depth=3
	s_or_b32 exec_lo, exec_lo, s8
.LBB55_60:                              ;   in Loop: Header=BB55_12 Depth=3
	s_delay_alu instid0(SALU_CYCLE_1)
	s_or_b32 exec_lo, exec_lo, s75
.LBB55_61:                              ;   in Loop: Header=BB55_12 Depth=3
	s_delay_alu instid0(SALU_CYCLE_1)
	s_or_b32 exec_lo, exec_lo, s74
.LBB55_62:                              ;   in Loop: Header=BB55_12 Depth=3
	s_delay_alu instid0(SALU_CYCLE_1)
	s_or_b32 exec_lo, exec_lo, s73
                                        ; implicit-def: $vgpr9_vgpr10
.LBB55_63:                              ;   in Loop: Header=BB55_12 Depth=3
	s_and_not1_saveexec_b32 s72, s72
	s_cbranch_execz .LBB55_78
; %bb.64:                               ;   in Loop: Header=BB55_12 Depth=3
	s_mov_b32 s73, exec_lo
	v_cmpx_lt_i32_e64 v17, v48
	s_cbranch_execz .LBB55_77
; %bb.65:                               ;   in Loop: Header=BB55_12 Depth=3
	v_mov_b32_e32 v15, v17
	s_mov_b32 s8, 0
                                        ; implicit-def: $sgpr74
                                        ; implicit-def: $sgpr76
                                        ; implicit-def: $sgpr75
	s_set_inst_prefetch_distance 0x1
	s_branch .LBB55_67
	.p2align	6
.LBB55_66:                              ;   in Loop: Header=BB55_67 Depth=4
	s_or_b32 exec_lo, exec_lo, s77
	s_delay_alu instid0(SALU_CYCLE_1) | instskip(NEXT) | instid1(SALU_CYCLE_1)
	s_and_b32 s77, exec_lo, s76
	s_or_b32 s8, s77, s8
	s_and_not1_b32 s74, s74, exec_lo
	s_and_b32 s77, s75, exec_lo
	s_delay_alu instid0(SALU_CYCLE_1)
	s_or_b32 s74, s74, s77
	s_and_not1_b32 exec_lo, exec_lo, s8
	s_cbranch_execz .LBB55_69
.LBB55_67:                              ;   Parent Loop BB55_3 Depth=1
                                        ;     Parent Loop BB55_7 Depth=2
                                        ;       Parent Loop BB55_12 Depth=3
                                        ; =>      This Inner Loop Header: Depth=4
	s_delay_alu instid0(VALU_DEP_1) | instskip(SKIP_3) | instid1(VALU_DEP_1)
	v_add_nc_u32_e32 v13, v22, v15
	s_or_b32 s75, s75, exec_lo
	s_or_b32 s76, s76, exec_lo
	s_mov_b32 s77, exec_lo
	v_ashrrev_i32_e32 v14, 31, v13
	s_delay_alu instid0(VALU_DEP_1) | instskip(NEXT) | instid1(VALU_DEP_1)
	v_lshlrev_b64 v[32:33], 2, v[13:14]
	v_add_co_u32 v32, vcc_lo, s24, v32
	s_delay_alu instid0(VALU_DEP_2) | instskip(SKIP_3) | instid1(VALU_DEP_1)
	v_add_co_ci_u32_e32 v33, vcc_lo, s25, v33, vcc_lo
	global_load_b32 v16, v[32:33], off
	s_waitcnt vmcnt(0)
	v_subrev_nc_u32_e32 v16, s61, v16
	v_cmpx_ne_u32_e64 v16, v23
	s_cbranch_execz .LBB55_66
; %bb.68:                               ;   in Loop: Header=BB55_67 Depth=4
	v_add_nc_u32_e32 v15, 1, v15
	s_and_not1_b32 s76, s76, exec_lo
	s_and_not1_b32 s75, s75, exec_lo
	s_delay_alu instid0(VALU_DEP_1) | instskip(SKIP_1) | instid1(SALU_CYCLE_1)
	v_cmp_ge_i32_e32 vcc_lo, v15, v48
	s_and_b32 s78, vcc_lo, exec_lo
	s_or_b32 s76, s76, s78
	s_branch .LBB55_66
.LBB55_69:                              ;   in Loop: Header=BB55_12 Depth=3
	s_set_inst_prefetch_distance 0x2
	s_or_b32 exec_lo, exec_lo, s8
	s_and_saveexec_b32 s8, s74
	s_delay_alu instid0(SALU_CYCLE_1)
	s_xor_b32 s74, exec_lo, s8
	s_cbranch_execz .LBB55_76
; %bb.70:                               ;   in Loop: Header=BB55_12 Depth=3
	v_lshlrev_b64 v[13:14], 4, v[13:14]
	s_delay_alu instid0(VALU_DEP_1) | instskip(NEXT) | instid1(VALU_DEP_2)
	v_add_co_u32 v15, vcc_lo, s52, v13
	v_add_co_ci_u32_e32 v16, vcc_lo, s53, v14, vcc_lo
	s_and_not1_b32 vcc_lo, exec_lo, s33
	global_store_b128 v[15:16], v[9:12], off
	s_cbranch_vccnz .LBB55_76
; %bb.71:                               ;   in Loop: Header=BB55_12 Depth=3
	v_add_co_u32 v13, vcc_lo, s26, v13
	v_add_co_ci_u32_e32 v14, vcc_lo, s27, v14, vcc_lo
	global_load_b128 v[13:16], v[13:14], off
	s_waitcnt vmcnt(0)
	v_add_f64 v[9:10], v[13:14], -v[9:10]
	v_add_f64 v[15:16], v[15:16], -v[11:12]
                                        ; implicit-def: $vgpr13_vgpr14
	s_delay_alu instid0(VALU_DEP_2) | instskip(NEXT) | instid1(VALU_DEP_2)
	v_cmp_gt_f64_e32 vcc_lo, 0, v[9:10]
	v_cmp_gt_f64_e64 s8, 0, v[15:16]
	v_xor_b32_e32 v11, 0x80000000, v10
	v_xor_b32_e32 v12, 0x80000000, v16
	s_delay_alu instid0(VALU_DEP_2) | instskip(NEXT) | instid1(VALU_DEP_2)
	v_dual_cndmask_b32 v10, v10, v11 :: v_dual_cndmask_b32 v9, v9, v9
	v_cndmask_b32_e64 v12, v16, v12, s8
	v_cndmask_b32_e64 v11, v15, v15, s8
	s_mov_b32 s8, exec_lo
	s_delay_alu instid0(VALU_DEP_1)
	v_cmpx_ngt_f64_e32 v[9:10], v[11:12]
	s_xor_b32 s8, exec_lo, s8
	s_cbranch_execnz .LBB55_111
; %bb.72:                               ;   in Loop: Header=BB55_12 Depth=3
	s_and_not1_saveexec_b32 s8, s8
	s_cbranch_execnz .LBB55_114
.LBB55_73:                              ;   in Loop: Header=BB55_12 Depth=3
	s_or_b32 exec_lo, exec_lo, s8
	s_delay_alu instid0(VALU_DEP_1) | instskip(NEXT) | instid1(VALU_DEP_1)
	v_cmp_class_f64_e64 s75, v[13:14], 0x1f8
	s_and_saveexec_b32 s8, s75
.LBB55_74:                              ;   in Loop: Header=BB55_12 Depth=3
	v_cmp_lt_f64_e32 vcc_lo, v[3:4], v[13:14]
	v_dual_cndmask_b32 v4, v4, v14 :: v_dual_cndmask_b32 v3, v3, v13
.LBB55_75:                              ;   in Loop: Header=BB55_12 Depth=3
	s_or_b32 exec_lo, exec_lo, s8
.LBB55_76:                              ;   in Loop: Header=BB55_12 Depth=3
	s_delay_alu instid0(SALU_CYCLE_1)
	s_or_b32 exec_lo, exec_lo, s74
.LBB55_77:                              ;   in Loop: Header=BB55_12 Depth=3
	s_delay_alu instid0(SALU_CYCLE_1)
	s_or_b32 exec_lo, exec_lo, s73
.LBB55_78:                              ;   in Loop: Header=BB55_12 Depth=3
	s_delay_alu instid0(SALU_CYCLE_1) | instskip(NEXT) | instid1(SALU_CYCLE_1)
	s_or_b32 exec_lo, exec_lo, s72
	s_or_b32 exec_lo, exec_lo, s71
	s_and_b32 s8, s9, s10
	s_delay_alu instid0(SALU_CYCLE_1)
	s_and_saveexec_b32 s9, s8
	s_cbranch_execz .LBB55_11
.LBB55_79:                              ;   in Loop: Header=BB55_12 Depth=3
	s_mov_b32 s8, exec_lo
	v_cmpx_ge_i32_e64 v31, v53
	s_xor_b32 s8, exec_lo, s8
	s_cbranch_execnz .LBB55_86
; %bb.80:                               ;   in Loop: Header=BB55_12 Depth=3
	s_and_not1_saveexec_b32 s8, s8
	s_cbranch_execnz .LBB55_100
.LBB55_81:                              ;   in Loop: Header=BB55_12 Depth=3
	s_or_b32 exec_lo, exec_lo, s8
	s_delay_alu instid0(SALU_CYCLE_1)
	s_mov_b32 s8, exec_lo
	v_cmpx_eq_u32_e64 v19, v23
	s_cbranch_execz .LBB55_83
.LBB55_82:                              ;   in Loop: Header=BB55_12 Depth=3
	v_lshlrev_b64 v[9:10], 4, v[23:24]
	s_delay_alu instid0(VALU_DEP_1) | instskip(NEXT) | instid1(VALU_DEP_2)
	v_add_co_u32 v9, vcc_lo, s48, v9
	v_add_co_ci_u32_e32 v10, vcc_lo, s49, v10, vcc_lo
	global_load_b128 v[9:12], v[9:10], off
	s_waitcnt vmcnt(0)
	v_add_f64 v[25:26], v[25:26], v[9:10]
	v_add_f64 v[27:28], v[27:28], v[11:12]
.LBB55_83:                              ;   in Loop: Header=BB55_12 Depth=3
	s_or_b32 exec_lo, exec_lo, s8
	s_delay_alu instid0(VALU_DEP_2) | instskip(NEXT) | instid1(VALU_DEP_2)
	v_add_f64 v[5:6], v[5:6], -v[25:26]
	v_add_f64 v[11:12], v[7:8], -v[27:28]
                                        ; implicit-def: $vgpr9_vgpr10
	s_delay_alu instid0(VALU_DEP_2) | instskip(NEXT) | instid1(VALU_DEP_2)
	v_cmp_gt_f64_e32 vcc_lo, 0, v[5:6]
	v_cmp_gt_f64_e64 s8, 0, v[11:12]
	v_xor_b32_e32 v7, 0x80000000, v6
	v_xor_b32_e32 v8, 0x80000000, v12
	s_delay_alu instid0(VALU_DEP_2) | instskip(NEXT) | instid1(VALU_DEP_2)
	v_dual_cndmask_b32 v6, v6, v7 :: v_dual_cndmask_b32 v5, v5, v5
	v_cndmask_b32_e64 v8, v12, v8, s8
	v_cndmask_b32_e64 v7, v11, v11, s8
	s_mov_b32 s8, exec_lo
	s_delay_alu instid0(VALU_DEP_1)
	v_cmpx_ngt_f64_e32 v[5:6], v[7:8]
	s_xor_b32 s8, exec_lo, s8
	s_cbranch_execnz .LBB55_91
; %bb.84:                               ;   in Loop: Header=BB55_12 Depth=3
	s_and_not1_saveexec_b32 s8, s8
	s_cbranch_execnz .LBB55_94
.LBB55_85:                              ;   in Loop: Header=BB55_12 Depth=3
	s_or_b32 exec_lo, exec_lo, s8
	s_delay_alu instid0(VALU_DEP_1) | instskip(NEXT) | instid1(VALU_DEP_1)
	v_cmp_class_f64_e64 s71, v[9:10], 0x1f8
	s_and_saveexec_b32 s8, s71
	s_cbranch_execz .LBB55_10
	s_branch .LBB55_95
.LBB55_86:                              ;   in Loop: Header=BB55_12 Depth=3
	s_mov_b32 s71, exec_lo
	v_cmpx_lt_i32_e64 v17, v48
	s_cbranch_execz .LBB55_99
; %bb.87:                               ;   in Loop: Header=BB55_12 Depth=3
	s_mov_b32 s73, 0
                                        ; implicit-def: $sgpr72
                                        ; implicit-def: $sgpr75
                                        ; implicit-def: $sgpr74
	s_set_inst_prefetch_distance 0x1
	s_branch .LBB55_89
	.p2align	6
.LBB55_88:                              ;   in Loop: Header=BB55_89 Depth=4
	s_or_b32 exec_lo, exec_lo, s76
	s_delay_alu instid0(SALU_CYCLE_1) | instskip(NEXT) | instid1(SALU_CYCLE_1)
	s_and_b32 s76, exec_lo, s75
	s_or_b32 s73, s76, s73
	s_and_not1_b32 s72, s72, exec_lo
	s_and_b32 s76, s74, exec_lo
	s_delay_alu instid0(SALU_CYCLE_1)
	s_or_b32 s72, s72, s76
	s_and_not1_b32 exec_lo, exec_lo, s73
	s_cbranch_execz .LBB55_96
.LBB55_89:                              ;   Parent Loop BB55_3 Depth=1
                                        ;     Parent Loop BB55_7 Depth=2
                                        ;       Parent Loop BB55_12 Depth=3
                                        ; =>      This Inner Loop Header: Depth=4
	v_add_nc_u32_e32 v9, v22, v17
	s_or_b32 s74, s74, exec_lo
	s_or_b32 s75, s75, exec_lo
	s_mov_b32 s76, exec_lo
	s_delay_alu instid0(VALU_DEP_1) | instskip(NEXT) | instid1(VALU_DEP_1)
	v_ashrrev_i32_e32 v10, 31, v9
	v_lshlrev_b64 v[11:12], 2, v[9:10]
	s_delay_alu instid0(VALU_DEP_1) | instskip(NEXT) | instid1(VALU_DEP_2)
	v_add_co_u32 v11, vcc_lo, s24, v11
	v_add_co_ci_u32_e32 v12, vcc_lo, s25, v12, vcc_lo
	global_load_b32 v11, v[11:12], off
	s_waitcnt vmcnt(0)
	v_subrev_nc_u32_e32 v11, s61, v11
	s_delay_alu instid0(VALU_DEP_1)
	v_cmpx_ne_u32_e64 v11, v23
	s_cbranch_execz .LBB55_88
; %bb.90:                               ;   in Loop: Header=BB55_89 Depth=4
	v_add_nc_u32_e32 v17, 1, v17
	s_and_not1_b32 s75, s75, exec_lo
	s_and_not1_b32 s74, s74, exec_lo
	s_delay_alu instid0(VALU_DEP_1) | instskip(SKIP_1) | instid1(SALU_CYCLE_1)
	v_cmp_ge_i32_e32 vcc_lo, v17, v48
	s_and_b32 s77, vcc_lo, exec_lo
	s_or_b32 s75, s75, s77
	s_branch .LBB55_88
.LBB55_91:                              ;   in Loop: Header=BB55_12 Depth=3
	v_mov_b32_e32 v9, 0
	v_mov_b32_e32 v10, 0
	s_mov_b32 s71, exec_lo
	v_cmpx_neq_f64_e32 0, v[11:12]
	s_cbranch_execz .LBB55_93
; %bb.92:                               ;   in Loop: Header=BB55_12 Depth=3
	v_div_scale_f64 v[9:10], null, v[7:8], v[7:8], v[5:6]
	v_div_scale_f64 v[15:16], vcc_lo, v[5:6], v[7:8], v[5:6]
	s_delay_alu instid0(VALU_DEP_2) | instskip(SKIP_2) | instid1(VALU_DEP_1)
	v_rcp_f64_e32 v[11:12], v[9:10]
	s_waitcnt_depctr 0xfff
	v_fma_f64 v[13:14], -v[9:10], v[11:12], 1.0
	v_fma_f64 v[11:12], v[11:12], v[13:14], v[11:12]
	s_delay_alu instid0(VALU_DEP_1) | instskip(NEXT) | instid1(VALU_DEP_1)
	v_fma_f64 v[13:14], -v[9:10], v[11:12], 1.0
	v_fma_f64 v[11:12], v[11:12], v[13:14], v[11:12]
	s_delay_alu instid0(VALU_DEP_1) | instskip(NEXT) | instid1(VALU_DEP_1)
	v_mul_f64 v[13:14], v[15:16], v[11:12]
	v_fma_f64 v[9:10], -v[9:10], v[13:14], v[15:16]
	s_delay_alu instid0(VALU_DEP_1) | instskip(NEXT) | instid1(VALU_DEP_1)
	v_div_fmas_f64 v[9:10], v[9:10], v[11:12], v[13:14]
	v_div_fixup_f64 v[5:6], v[9:10], v[7:8], v[5:6]
	s_delay_alu instid0(VALU_DEP_1) | instskip(NEXT) | instid1(VALU_DEP_1)
	v_fma_f64 v[5:6], v[5:6], v[5:6], 1.0
	v_cmp_gt_f64_e32 vcc_lo, 0x10000000, v[5:6]
	v_cndmask_b32_e64 v9, 0, 1, vcc_lo
	s_delay_alu instid0(VALU_DEP_1) | instskip(NEXT) | instid1(VALU_DEP_1)
	v_lshlrev_b32_e32 v9, 8, v9
	v_ldexp_f64 v[5:6], v[5:6], v9
	s_delay_alu instid0(VALU_DEP_1) | instskip(SKIP_3) | instid1(VALU_DEP_1)
	v_rsq_f64_e32 v[9:10], v[5:6]
	s_waitcnt_depctr 0xfff
	v_mul_f64 v[11:12], v[5:6], v[9:10]
	v_mul_f64 v[9:10], v[9:10], 0.5
	v_fma_f64 v[13:14], -v[9:10], v[11:12], 0.5
	s_delay_alu instid0(VALU_DEP_1) | instskip(SKIP_1) | instid1(VALU_DEP_2)
	v_fma_f64 v[11:12], v[11:12], v[13:14], v[11:12]
	v_fma_f64 v[9:10], v[9:10], v[13:14], v[9:10]
	v_fma_f64 v[13:14], -v[11:12], v[11:12], v[5:6]
	s_delay_alu instid0(VALU_DEP_1) | instskip(NEXT) | instid1(VALU_DEP_1)
	v_fma_f64 v[11:12], v[13:14], v[9:10], v[11:12]
	v_fma_f64 v[13:14], -v[11:12], v[11:12], v[5:6]
	s_delay_alu instid0(VALU_DEP_1) | instskip(SKIP_2) | instid1(VALU_DEP_2)
	v_fma_f64 v[9:10], v[13:14], v[9:10], v[11:12]
	v_cndmask_b32_e64 v11, 0, 0xffffff80, vcc_lo
	v_cmp_class_f64_e64 vcc_lo, v[5:6], 0x260
	v_ldexp_f64 v[9:10], v[9:10], v11
	s_delay_alu instid0(VALU_DEP_1) | instskip(NEXT) | instid1(VALU_DEP_1)
	v_dual_cndmask_b32 v6, v10, v6 :: v_dual_cndmask_b32 v5, v9, v5
	v_mul_f64 v[9:10], v[7:8], v[5:6]
.LBB55_93:                              ;   in Loop: Header=BB55_12 Depth=3
	s_or_b32 exec_lo, exec_lo, s71
                                        ; implicit-def: $vgpr5_vgpr6
                                        ; implicit-def: $vgpr7_vgpr8
	s_and_not1_saveexec_b32 s8, s8
	s_cbranch_execz .LBB55_85
.LBB55_94:                              ;   in Loop: Header=BB55_12 Depth=3
	v_div_scale_f64 v[9:10], null, v[5:6], v[5:6], v[7:8]
	v_div_scale_f64 v[15:16], vcc_lo, v[7:8], v[5:6], v[7:8]
	s_delay_alu instid0(VALU_DEP_2) | instskip(SKIP_2) | instid1(VALU_DEP_1)
	v_rcp_f64_e32 v[11:12], v[9:10]
	s_waitcnt_depctr 0xfff
	v_fma_f64 v[13:14], -v[9:10], v[11:12], 1.0
	v_fma_f64 v[11:12], v[11:12], v[13:14], v[11:12]
	s_delay_alu instid0(VALU_DEP_1) | instskip(NEXT) | instid1(VALU_DEP_1)
	v_fma_f64 v[13:14], -v[9:10], v[11:12], 1.0
	v_fma_f64 v[11:12], v[11:12], v[13:14], v[11:12]
	s_delay_alu instid0(VALU_DEP_1) | instskip(NEXT) | instid1(VALU_DEP_1)
	v_mul_f64 v[13:14], v[15:16], v[11:12]
	v_fma_f64 v[9:10], -v[9:10], v[13:14], v[15:16]
	s_delay_alu instid0(VALU_DEP_1) | instskip(NEXT) | instid1(VALU_DEP_1)
	v_div_fmas_f64 v[9:10], v[9:10], v[11:12], v[13:14]
	v_div_fixup_f64 v[7:8], v[9:10], v[5:6], v[7:8]
	s_delay_alu instid0(VALU_DEP_1) | instskip(NEXT) | instid1(VALU_DEP_1)
	v_fma_f64 v[7:8], v[7:8], v[7:8], 1.0
	v_cmp_gt_f64_e32 vcc_lo, 0x10000000, v[7:8]
	v_cndmask_b32_e64 v9, 0, 1, vcc_lo
	s_delay_alu instid0(VALU_DEP_1) | instskip(NEXT) | instid1(VALU_DEP_1)
	v_lshlrev_b32_e32 v9, 8, v9
	v_ldexp_f64 v[7:8], v[7:8], v9
	s_delay_alu instid0(VALU_DEP_1) | instskip(SKIP_3) | instid1(VALU_DEP_1)
	v_rsq_f64_e32 v[9:10], v[7:8]
	s_waitcnt_depctr 0xfff
	v_mul_f64 v[11:12], v[7:8], v[9:10]
	v_mul_f64 v[9:10], v[9:10], 0.5
	v_fma_f64 v[13:14], -v[9:10], v[11:12], 0.5
	s_delay_alu instid0(VALU_DEP_1) | instskip(SKIP_1) | instid1(VALU_DEP_2)
	v_fma_f64 v[11:12], v[11:12], v[13:14], v[11:12]
	v_fma_f64 v[9:10], v[9:10], v[13:14], v[9:10]
	v_fma_f64 v[13:14], -v[11:12], v[11:12], v[7:8]
	s_delay_alu instid0(VALU_DEP_1) | instskip(NEXT) | instid1(VALU_DEP_1)
	v_fma_f64 v[11:12], v[13:14], v[9:10], v[11:12]
	v_fma_f64 v[13:14], -v[11:12], v[11:12], v[7:8]
	s_delay_alu instid0(VALU_DEP_1) | instskip(SKIP_2) | instid1(VALU_DEP_2)
	v_fma_f64 v[9:10], v[13:14], v[9:10], v[11:12]
	v_cndmask_b32_e64 v11, 0, 0xffffff80, vcc_lo
	v_cmp_class_f64_e64 vcc_lo, v[7:8], 0x260
	v_ldexp_f64 v[9:10], v[9:10], v11
	s_delay_alu instid0(VALU_DEP_1) | instskip(NEXT) | instid1(VALU_DEP_1)
	v_dual_cndmask_b32 v8, v10, v8 :: v_dual_cndmask_b32 v7, v9, v7
	v_mul_f64 v[9:10], v[5:6], v[7:8]
	s_or_b32 exec_lo, exec_lo, s8
	s_delay_alu instid0(VALU_DEP_1) | instskip(NEXT) | instid1(VALU_DEP_1)
	v_cmp_class_f64_e64 s71, v[9:10], 0x1f8
	s_and_saveexec_b32 s8, s71
	s_cbranch_execz .LBB55_10
.LBB55_95:                              ;   in Loop: Header=BB55_12 Depth=3
	v_cmp_lt_f64_e32 vcc_lo, v[1:2], v[9:10]
	v_dual_cndmask_b32 v2, v2, v10 :: v_dual_cndmask_b32 v1, v1, v9
	s_branch .LBB55_10
.LBB55_96:                              ;   in Loop: Header=BB55_12 Depth=3
	s_set_inst_prefetch_distance 0x2
	s_or_b32 exec_lo, exec_lo, s73
	s_and_saveexec_b32 s73, s72
	s_delay_alu instid0(SALU_CYCLE_1)
	s_xor_b32 s72, exec_lo, s73
	s_cbranch_execz .LBB55_98
; %bb.97:                               ;   in Loop: Header=BB55_12 Depth=3
	v_lshlrev_b64 v[11:12], 4, v[23:24]
	v_lshlrev_b64 v[9:10], 4, v[9:10]
	s_delay_alu instid0(VALU_DEP_2) | instskip(NEXT) | instid1(VALU_DEP_3)
	v_add_co_u32 v11, vcc_lo, s48, v11
	v_add_co_ci_u32_e32 v12, vcc_lo, s49, v12, vcc_lo
	s_delay_alu instid0(VALU_DEP_3) | instskip(NEXT) | instid1(VALU_DEP_4)
	v_add_co_u32 v13, vcc_lo, s26, v9
	v_add_co_ci_u32_e32 v14, vcc_lo, s27, v10, vcc_lo
	global_load_b128 v[9:12], v[11:12], off
	global_load_b128 v[13:16], v[13:14], off
	s_waitcnt vmcnt(0)
	v_mul_f64 v[29:30], v[11:12], -v[15:16]
	v_mul_f64 v[11:12], v[11:12], v[13:14]
	s_delay_alu instid0(VALU_DEP_2) | instskip(NEXT) | instid1(VALU_DEP_2)
	v_fma_f64 v[13:14], v[13:14], v[9:10], v[29:30]
	v_fma_f64 v[9:10], v[15:16], v[9:10], v[11:12]
	s_delay_alu instid0(VALU_DEP_2) | instskip(NEXT) | instid1(VALU_DEP_2)
	v_add_f64 v[25:26], v[25:26], v[13:14]
	v_add_f64 v[27:28], v[27:28], v[9:10]
.LBB55_98:                              ;   in Loop: Header=BB55_12 Depth=3
	s_or_b32 exec_lo, exec_lo, s72
.LBB55_99:                              ;   in Loop: Header=BB55_12 Depth=3
	s_delay_alu instid0(SALU_CYCLE_1)
	s_or_b32 exec_lo, exec_lo, s71
                                        ; implicit-def: $vgpr31
                                        ; implicit-def: $vgpr29
                                        ; implicit-def: $vgpr53
	s_and_not1_saveexec_b32 s8, s8
	s_cbranch_execz .LBB55_81
.LBB55_100:                             ;   in Loop: Header=BB55_12 Depth=3
	s_mov_b32 s72, 0
                                        ; implicit-def: $sgpr71
                                        ; implicit-def: $sgpr74
                                        ; implicit-def: $sgpr73
	s_set_inst_prefetch_distance 0x1
	s_branch .LBB55_102
	.p2align	6
.LBB55_101:                             ;   in Loop: Header=BB55_102 Depth=4
	s_or_b32 exec_lo, exec_lo, s75
	s_delay_alu instid0(SALU_CYCLE_1) | instskip(NEXT) | instid1(SALU_CYCLE_1)
	s_and_b32 s75, exec_lo, s74
	s_or_b32 s72, s75, s72
	s_and_not1_b32 s71, s71, exec_lo
	s_and_b32 s75, s73, exec_lo
	s_delay_alu instid0(SALU_CYCLE_1)
	s_or_b32 s71, s71, s75
	s_and_not1_b32 exec_lo, exec_lo, s72
	s_cbranch_execz .LBB55_104
.LBB55_102:                             ;   Parent Loop BB55_3 Depth=1
                                        ;     Parent Loop BB55_7 Depth=2
                                        ;       Parent Loop BB55_12 Depth=3
                                        ; =>      This Inner Loop Header: Depth=4
	v_add_nc_u32_e32 v9, v29, v31
	s_or_b32 s73, s73, exec_lo
	s_or_b32 s74, s74, exec_lo
	s_mov_b32 s75, exec_lo
	s_delay_alu instid0(VALU_DEP_1) | instskip(NEXT) | instid1(VALU_DEP_1)
	v_ashrrev_i32_e32 v10, 31, v9
	v_lshlrev_b64 v[11:12], 2, v[9:10]
	s_delay_alu instid0(VALU_DEP_1) | instskip(NEXT) | instid1(VALU_DEP_2)
	v_add_co_u32 v11, vcc_lo, s16, v11
	v_add_co_ci_u32_e32 v12, vcc_lo, s17, v12, vcc_lo
	global_load_b32 v11, v[11:12], off
	s_waitcnt vmcnt(0)
	v_subrev_nc_u32_e32 v11, s62, v11
	s_delay_alu instid0(VALU_DEP_1)
	v_cmpx_ne_u32_e64 v11, v19
	s_cbranch_execz .LBB55_101
; %bb.103:                              ;   in Loop: Header=BB55_102 Depth=4
	v_add_nc_u32_e32 v31, 1, v31
	s_and_not1_b32 s74, s74, exec_lo
	s_and_not1_b32 s73, s73, exec_lo
	s_delay_alu instid0(VALU_DEP_1) | instskip(SKIP_1) | instid1(SALU_CYCLE_1)
	v_cmp_ge_i32_e32 vcc_lo, v31, v53
	s_and_b32 s76, vcc_lo, exec_lo
	s_or_b32 s74, s74, s76
	s_branch .LBB55_101
.LBB55_104:                             ;   in Loop: Header=BB55_12 Depth=3
	s_set_inst_prefetch_distance 0x2
	s_or_b32 exec_lo, exec_lo, s72
	s_and_saveexec_b32 s72, s71
	s_delay_alu instid0(SALU_CYCLE_1)
	s_xor_b32 s71, exec_lo, s72
	s_cbranch_execz .LBB55_106
; %bb.105:                              ;   in Loop: Header=BB55_12 Depth=3
	v_lshlrev_b64 v[9:10], 4, v[9:10]
	s_delay_alu instid0(VALU_DEP_1) | instskip(NEXT) | instid1(VALU_DEP_2)
	v_add_co_u32 v9, vcc_lo, s18, v9
	v_add_co_ci_u32_e32 v10, vcc_lo, s19, v10, vcc_lo
	global_load_b128 v[9:12], v[9:10], off
	s_waitcnt vmcnt(0)
	v_add_f64 v[25:26], v[25:26], v[9:10]
	v_add_f64 v[27:28], v[27:28], v[11:12]
.LBB55_106:                             ;   in Loop: Header=BB55_12 Depth=3
	s_or_b32 exec_lo, exec_lo, s71
	s_delay_alu instid0(SALU_CYCLE_1) | instskip(NEXT) | instid1(SALU_CYCLE_1)
	s_or_b32 exec_lo, exec_lo, s8
	s_mov_b32 s8, exec_lo
	v_cmpx_eq_u32_e64 v19, v23
	s_cbranch_execnz .LBB55_82
	s_branch .LBB55_83
.LBB55_107:                             ;   in Loop: Header=BB55_12 Depth=3
	v_mov_b32_e32 v13, 0
	v_mov_b32_e32 v14, 0
	s_mov_b32 s74, exec_lo
	v_cmpx_neq_f64_e32 0, v[15:16]
	s_cbranch_execz .LBB55_109
; %bb.108:                              ;   in Loop: Header=BB55_12 Depth=3
	v_div_scale_f64 v[13:14], null, v[11:12], v[11:12], v[9:10]
	v_div_scale_f64 v[34:35], vcc_lo, v[9:10], v[11:12], v[9:10]
	s_delay_alu instid0(VALU_DEP_2) | instskip(SKIP_2) | instid1(VALU_DEP_1)
	v_rcp_f64_e32 v[15:16], v[13:14]
	s_waitcnt_depctr 0xfff
	v_fma_f64 v[32:33], -v[13:14], v[15:16], 1.0
	v_fma_f64 v[15:16], v[15:16], v[32:33], v[15:16]
	s_delay_alu instid0(VALU_DEP_1) | instskip(NEXT) | instid1(VALU_DEP_1)
	v_fma_f64 v[32:33], -v[13:14], v[15:16], 1.0
	v_fma_f64 v[15:16], v[15:16], v[32:33], v[15:16]
	s_delay_alu instid0(VALU_DEP_1) | instskip(NEXT) | instid1(VALU_DEP_1)
	v_mul_f64 v[32:33], v[34:35], v[15:16]
	v_fma_f64 v[13:14], -v[13:14], v[32:33], v[34:35]
	s_delay_alu instid0(VALU_DEP_1) | instskip(NEXT) | instid1(VALU_DEP_1)
	v_div_fmas_f64 v[13:14], v[13:14], v[15:16], v[32:33]
	v_div_fixup_f64 v[9:10], v[13:14], v[11:12], v[9:10]
	s_delay_alu instid0(VALU_DEP_1) | instskip(NEXT) | instid1(VALU_DEP_1)
	v_fma_f64 v[9:10], v[9:10], v[9:10], 1.0
	v_cmp_gt_f64_e32 vcc_lo, 0x10000000, v[9:10]
	v_cndmask_b32_e64 v13, 0, 1, vcc_lo
	s_delay_alu instid0(VALU_DEP_1) | instskip(NEXT) | instid1(VALU_DEP_1)
	v_lshlrev_b32_e32 v13, 8, v13
	v_ldexp_f64 v[9:10], v[9:10], v13
	s_delay_alu instid0(VALU_DEP_1) | instskip(SKIP_3) | instid1(VALU_DEP_1)
	v_rsq_f64_e32 v[13:14], v[9:10]
	s_waitcnt_depctr 0xfff
	v_mul_f64 v[15:16], v[9:10], v[13:14]
	v_mul_f64 v[13:14], v[13:14], 0.5
	v_fma_f64 v[32:33], -v[13:14], v[15:16], 0.5
	s_delay_alu instid0(VALU_DEP_1) | instskip(SKIP_1) | instid1(VALU_DEP_2)
	v_fma_f64 v[15:16], v[15:16], v[32:33], v[15:16]
	v_fma_f64 v[13:14], v[13:14], v[32:33], v[13:14]
	v_fma_f64 v[32:33], -v[15:16], v[15:16], v[9:10]
	s_delay_alu instid0(VALU_DEP_1) | instskip(NEXT) | instid1(VALU_DEP_1)
	v_fma_f64 v[15:16], v[32:33], v[13:14], v[15:16]
	v_fma_f64 v[32:33], -v[15:16], v[15:16], v[9:10]
	s_delay_alu instid0(VALU_DEP_1) | instskip(SKIP_2) | instid1(VALU_DEP_2)
	v_fma_f64 v[13:14], v[32:33], v[13:14], v[15:16]
	v_cndmask_b32_e64 v15, 0, 0xffffff80, vcc_lo
	v_cmp_class_f64_e64 vcc_lo, v[9:10], 0x260
	v_ldexp_f64 v[13:14], v[13:14], v15
	s_delay_alu instid0(VALU_DEP_1) | instskip(NEXT) | instid1(VALU_DEP_1)
	v_dual_cndmask_b32 v10, v14, v10 :: v_dual_cndmask_b32 v9, v13, v9
	v_mul_f64 v[13:14], v[11:12], v[9:10]
.LBB55_109:                             ;   in Loop: Header=BB55_12 Depth=3
	s_or_b32 exec_lo, exec_lo, s74
                                        ; implicit-def: $vgpr9_vgpr10
                                        ; implicit-def: $vgpr11_vgpr12
	s_and_not1_saveexec_b32 s8, s8
	s_cbranch_execz .LBB55_43
.LBB55_110:                             ;   in Loop: Header=BB55_12 Depth=3
	v_div_scale_f64 v[13:14], null, v[9:10], v[9:10], v[11:12]
	v_div_scale_f64 v[34:35], vcc_lo, v[11:12], v[9:10], v[11:12]
	s_delay_alu instid0(VALU_DEP_2) | instskip(SKIP_2) | instid1(VALU_DEP_1)
	v_rcp_f64_e32 v[15:16], v[13:14]
	s_waitcnt_depctr 0xfff
	v_fma_f64 v[32:33], -v[13:14], v[15:16], 1.0
	v_fma_f64 v[15:16], v[15:16], v[32:33], v[15:16]
	s_delay_alu instid0(VALU_DEP_1) | instskip(NEXT) | instid1(VALU_DEP_1)
	v_fma_f64 v[32:33], -v[13:14], v[15:16], 1.0
	v_fma_f64 v[15:16], v[15:16], v[32:33], v[15:16]
	s_delay_alu instid0(VALU_DEP_1) | instskip(NEXT) | instid1(VALU_DEP_1)
	v_mul_f64 v[32:33], v[34:35], v[15:16]
	v_fma_f64 v[13:14], -v[13:14], v[32:33], v[34:35]
	s_delay_alu instid0(VALU_DEP_1) | instskip(NEXT) | instid1(VALU_DEP_1)
	v_div_fmas_f64 v[13:14], v[13:14], v[15:16], v[32:33]
	v_div_fixup_f64 v[11:12], v[13:14], v[9:10], v[11:12]
	s_delay_alu instid0(VALU_DEP_1) | instskip(NEXT) | instid1(VALU_DEP_1)
	v_fma_f64 v[11:12], v[11:12], v[11:12], 1.0
	v_cmp_gt_f64_e32 vcc_lo, 0x10000000, v[11:12]
	v_cndmask_b32_e64 v13, 0, 1, vcc_lo
	s_delay_alu instid0(VALU_DEP_1) | instskip(NEXT) | instid1(VALU_DEP_1)
	v_lshlrev_b32_e32 v13, 8, v13
	v_ldexp_f64 v[11:12], v[11:12], v13
	s_delay_alu instid0(VALU_DEP_1) | instskip(SKIP_3) | instid1(VALU_DEP_1)
	v_rsq_f64_e32 v[13:14], v[11:12]
	s_waitcnt_depctr 0xfff
	v_mul_f64 v[15:16], v[11:12], v[13:14]
	v_mul_f64 v[13:14], v[13:14], 0.5
	v_fma_f64 v[32:33], -v[13:14], v[15:16], 0.5
	s_delay_alu instid0(VALU_DEP_1) | instskip(SKIP_1) | instid1(VALU_DEP_2)
	v_fma_f64 v[15:16], v[15:16], v[32:33], v[15:16]
	v_fma_f64 v[13:14], v[13:14], v[32:33], v[13:14]
	v_fma_f64 v[32:33], -v[15:16], v[15:16], v[11:12]
	s_delay_alu instid0(VALU_DEP_1) | instskip(NEXT) | instid1(VALU_DEP_1)
	v_fma_f64 v[15:16], v[32:33], v[13:14], v[15:16]
	v_fma_f64 v[32:33], -v[15:16], v[15:16], v[11:12]
	s_delay_alu instid0(VALU_DEP_1) | instskip(SKIP_2) | instid1(VALU_DEP_2)
	v_fma_f64 v[13:14], v[32:33], v[13:14], v[15:16]
	v_cndmask_b32_e64 v15, 0, 0xffffff80, vcc_lo
	v_cmp_class_f64_e64 vcc_lo, v[11:12], 0x260
	v_ldexp_f64 v[13:14], v[13:14], v15
	s_delay_alu instid0(VALU_DEP_1) | instskip(NEXT) | instid1(VALU_DEP_1)
	v_dual_cndmask_b32 v12, v14, v12 :: v_dual_cndmask_b32 v11, v13, v11
	v_mul_f64 v[13:14], v[9:10], v[11:12]
	s_or_b32 exec_lo, exec_lo, s8
	s_delay_alu instid0(VALU_DEP_1) | instskip(NEXT) | instid1(VALU_DEP_1)
	v_cmp_class_f64_e64 s74, v[13:14], 0x1f8
	s_and_saveexec_b32 s8, s74
	s_cbranch_execnz .LBB55_44
	s_branch .LBB55_45
.LBB55_111:                             ;   in Loop: Header=BB55_12 Depth=3
	v_mov_b32_e32 v13, 0
	v_mov_b32_e32 v14, 0
	s_mov_b32 s75, exec_lo
	v_cmpx_neq_f64_e32 0, v[15:16]
	s_cbranch_execz .LBB55_113
; %bb.112:                              ;   in Loop: Header=BB55_12 Depth=3
	v_div_scale_f64 v[13:14], null, v[11:12], v[11:12], v[9:10]
	v_div_scale_f64 v[34:35], vcc_lo, v[9:10], v[11:12], v[9:10]
	s_delay_alu instid0(VALU_DEP_2) | instskip(SKIP_2) | instid1(VALU_DEP_1)
	v_rcp_f64_e32 v[15:16], v[13:14]
	s_waitcnt_depctr 0xfff
	v_fma_f64 v[32:33], -v[13:14], v[15:16], 1.0
	v_fma_f64 v[15:16], v[15:16], v[32:33], v[15:16]
	s_delay_alu instid0(VALU_DEP_1) | instskip(NEXT) | instid1(VALU_DEP_1)
	v_fma_f64 v[32:33], -v[13:14], v[15:16], 1.0
	v_fma_f64 v[15:16], v[15:16], v[32:33], v[15:16]
	s_delay_alu instid0(VALU_DEP_1) | instskip(NEXT) | instid1(VALU_DEP_1)
	v_mul_f64 v[32:33], v[34:35], v[15:16]
	v_fma_f64 v[13:14], -v[13:14], v[32:33], v[34:35]
	s_delay_alu instid0(VALU_DEP_1) | instskip(NEXT) | instid1(VALU_DEP_1)
	v_div_fmas_f64 v[13:14], v[13:14], v[15:16], v[32:33]
	v_div_fixup_f64 v[9:10], v[13:14], v[11:12], v[9:10]
	s_delay_alu instid0(VALU_DEP_1) | instskip(NEXT) | instid1(VALU_DEP_1)
	v_fma_f64 v[9:10], v[9:10], v[9:10], 1.0
	v_cmp_gt_f64_e32 vcc_lo, 0x10000000, v[9:10]
	v_cndmask_b32_e64 v13, 0, 1, vcc_lo
	s_delay_alu instid0(VALU_DEP_1) | instskip(NEXT) | instid1(VALU_DEP_1)
	v_lshlrev_b32_e32 v13, 8, v13
	v_ldexp_f64 v[9:10], v[9:10], v13
	s_delay_alu instid0(VALU_DEP_1) | instskip(SKIP_3) | instid1(VALU_DEP_1)
	v_rsq_f64_e32 v[13:14], v[9:10]
	s_waitcnt_depctr 0xfff
	v_mul_f64 v[15:16], v[9:10], v[13:14]
	v_mul_f64 v[13:14], v[13:14], 0.5
	v_fma_f64 v[32:33], -v[13:14], v[15:16], 0.5
	s_delay_alu instid0(VALU_DEP_1) | instskip(SKIP_1) | instid1(VALU_DEP_2)
	v_fma_f64 v[15:16], v[15:16], v[32:33], v[15:16]
	v_fma_f64 v[13:14], v[13:14], v[32:33], v[13:14]
	v_fma_f64 v[32:33], -v[15:16], v[15:16], v[9:10]
	s_delay_alu instid0(VALU_DEP_1) | instskip(NEXT) | instid1(VALU_DEP_1)
	v_fma_f64 v[15:16], v[32:33], v[13:14], v[15:16]
	v_fma_f64 v[32:33], -v[15:16], v[15:16], v[9:10]
	s_delay_alu instid0(VALU_DEP_1) | instskip(SKIP_2) | instid1(VALU_DEP_2)
	v_fma_f64 v[13:14], v[32:33], v[13:14], v[15:16]
	v_cndmask_b32_e64 v15, 0, 0xffffff80, vcc_lo
	v_cmp_class_f64_e64 vcc_lo, v[9:10], 0x260
	v_ldexp_f64 v[13:14], v[13:14], v15
	s_delay_alu instid0(VALU_DEP_1) | instskip(NEXT) | instid1(VALU_DEP_1)
	v_dual_cndmask_b32 v10, v14, v10 :: v_dual_cndmask_b32 v9, v13, v9
	v_mul_f64 v[13:14], v[11:12], v[9:10]
.LBB55_113:                             ;   in Loop: Header=BB55_12 Depth=3
	s_or_b32 exec_lo, exec_lo, s75
                                        ; implicit-def: $vgpr9_vgpr10
                                        ; implicit-def: $vgpr11_vgpr12
	s_and_not1_saveexec_b32 s8, s8
	s_cbranch_execz .LBB55_73
.LBB55_114:                             ;   in Loop: Header=BB55_12 Depth=3
	v_div_scale_f64 v[13:14], null, v[9:10], v[9:10], v[11:12]
	v_div_scale_f64 v[34:35], vcc_lo, v[11:12], v[9:10], v[11:12]
	s_delay_alu instid0(VALU_DEP_2) | instskip(SKIP_2) | instid1(VALU_DEP_1)
	v_rcp_f64_e32 v[15:16], v[13:14]
	s_waitcnt_depctr 0xfff
	v_fma_f64 v[32:33], -v[13:14], v[15:16], 1.0
	v_fma_f64 v[15:16], v[15:16], v[32:33], v[15:16]
	s_delay_alu instid0(VALU_DEP_1) | instskip(NEXT) | instid1(VALU_DEP_1)
	v_fma_f64 v[32:33], -v[13:14], v[15:16], 1.0
	v_fma_f64 v[15:16], v[15:16], v[32:33], v[15:16]
	s_delay_alu instid0(VALU_DEP_1) | instskip(NEXT) | instid1(VALU_DEP_1)
	v_mul_f64 v[32:33], v[34:35], v[15:16]
	v_fma_f64 v[13:14], -v[13:14], v[32:33], v[34:35]
	s_delay_alu instid0(VALU_DEP_1) | instskip(NEXT) | instid1(VALU_DEP_1)
	v_div_fmas_f64 v[13:14], v[13:14], v[15:16], v[32:33]
	v_div_fixup_f64 v[11:12], v[13:14], v[9:10], v[11:12]
	s_delay_alu instid0(VALU_DEP_1) | instskip(NEXT) | instid1(VALU_DEP_1)
	v_fma_f64 v[11:12], v[11:12], v[11:12], 1.0
	v_cmp_gt_f64_e32 vcc_lo, 0x10000000, v[11:12]
	v_cndmask_b32_e64 v13, 0, 1, vcc_lo
	s_delay_alu instid0(VALU_DEP_1) | instskip(NEXT) | instid1(VALU_DEP_1)
	v_lshlrev_b32_e32 v13, 8, v13
	v_ldexp_f64 v[11:12], v[11:12], v13
	s_delay_alu instid0(VALU_DEP_1) | instskip(SKIP_3) | instid1(VALU_DEP_1)
	v_rsq_f64_e32 v[13:14], v[11:12]
	s_waitcnt_depctr 0xfff
	v_mul_f64 v[15:16], v[11:12], v[13:14]
	v_mul_f64 v[13:14], v[13:14], 0.5
	v_fma_f64 v[32:33], -v[13:14], v[15:16], 0.5
	s_delay_alu instid0(VALU_DEP_1) | instskip(SKIP_1) | instid1(VALU_DEP_2)
	v_fma_f64 v[15:16], v[15:16], v[32:33], v[15:16]
	v_fma_f64 v[13:14], v[13:14], v[32:33], v[13:14]
	v_fma_f64 v[32:33], -v[15:16], v[15:16], v[11:12]
	s_delay_alu instid0(VALU_DEP_1) | instskip(NEXT) | instid1(VALU_DEP_1)
	v_fma_f64 v[15:16], v[32:33], v[13:14], v[15:16]
	v_fma_f64 v[32:33], -v[15:16], v[15:16], v[11:12]
	s_delay_alu instid0(VALU_DEP_1) | instskip(SKIP_2) | instid1(VALU_DEP_2)
	v_fma_f64 v[13:14], v[32:33], v[13:14], v[15:16]
	v_cndmask_b32_e64 v15, 0, 0xffffff80, vcc_lo
	v_cmp_class_f64_e64 vcc_lo, v[11:12], 0x260
	v_ldexp_f64 v[13:14], v[13:14], v15
	s_delay_alu instid0(VALU_DEP_1) | instskip(NEXT) | instid1(VALU_DEP_1)
	v_dual_cndmask_b32 v12, v14, v12 :: v_dual_cndmask_b32 v11, v13, v11
	v_mul_f64 v[13:14], v[9:10], v[11:12]
	s_or_b32 exec_lo, exec_lo, s8
	s_delay_alu instid0(VALU_DEP_1) | instskip(NEXT) | instid1(VALU_DEP_1)
	v_cmp_class_f64_e64 s75, v[13:14], 0x1f8
	s_and_saveexec_b32 s8, s75
	s_cbranch_execnz .LBB55_74
	s_branch .LBB55_75
.LBB55_115:                             ;   in Loop: Header=BB55_12 Depth=3
	v_mov_b32_e32 v13, 0
	v_mov_b32_e32 v14, 0
	s_mov_b32 s76, exec_lo
	v_cmpx_neq_f64_e32 0, v[15:16]
	s_cbranch_execz .LBB55_117
; %bb.116:                              ;   in Loop: Header=BB55_12 Depth=3
	v_div_scale_f64 v[13:14], null, v[11:12], v[11:12], v[9:10]
	v_div_scale_f64 v[34:35], vcc_lo, v[9:10], v[11:12], v[9:10]
	s_delay_alu instid0(VALU_DEP_2) | instskip(SKIP_2) | instid1(VALU_DEP_1)
	v_rcp_f64_e32 v[15:16], v[13:14]
	s_waitcnt_depctr 0xfff
	v_fma_f64 v[32:33], -v[13:14], v[15:16], 1.0
	v_fma_f64 v[15:16], v[15:16], v[32:33], v[15:16]
	s_delay_alu instid0(VALU_DEP_1) | instskip(NEXT) | instid1(VALU_DEP_1)
	v_fma_f64 v[32:33], -v[13:14], v[15:16], 1.0
	v_fma_f64 v[15:16], v[15:16], v[32:33], v[15:16]
	s_delay_alu instid0(VALU_DEP_1) | instskip(NEXT) | instid1(VALU_DEP_1)
	v_mul_f64 v[32:33], v[34:35], v[15:16]
	v_fma_f64 v[13:14], -v[13:14], v[32:33], v[34:35]
	s_delay_alu instid0(VALU_DEP_1) | instskip(NEXT) | instid1(VALU_DEP_1)
	v_div_fmas_f64 v[13:14], v[13:14], v[15:16], v[32:33]
	v_div_fixup_f64 v[9:10], v[13:14], v[11:12], v[9:10]
	s_delay_alu instid0(VALU_DEP_1) | instskip(NEXT) | instid1(VALU_DEP_1)
	v_fma_f64 v[9:10], v[9:10], v[9:10], 1.0
	v_cmp_gt_f64_e32 vcc_lo, 0x10000000, v[9:10]
	v_cndmask_b32_e64 v13, 0, 1, vcc_lo
	s_delay_alu instid0(VALU_DEP_1) | instskip(NEXT) | instid1(VALU_DEP_1)
	v_lshlrev_b32_e32 v13, 8, v13
	v_ldexp_f64 v[9:10], v[9:10], v13
	s_delay_alu instid0(VALU_DEP_1) | instskip(SKIP_3) | instid1(VALU_DEP_1)
	v_rsq_f64_e32 v[13:14], v[9:10]
	s_waitcnt_depctr 0xfff
	v_mul_f64 v[15:16], v[9:10], v[13:14]
	v_mul_f64 v[13:14], v[13:14], 0.5
	v_fma_f64 v[32:33], -v[13:14], v[15:16], 0.5
	s_delay_alu instid0(VALU_DEP_1) | instskip(SKIP_1) | instid1(VALU_DEP_2)
	v_fma_f64 v[15:16], v[15:16], v[32:33], v[15:16]
	v_fma_f64 v[13:14], v[13:14], v[32:33], v[13:14]
	v_fma_f64 v[32:33], -v[15:16], v[15:16], v[9:10]
	s_delay_alu instid0(VALU_DEP_1) | instskip(NEXT) | instid1(VALU_DEP_1)
	v_fma_f64 v[15:16], v[32:33], v[13:14], v[15:16]
	v_fma_f64 v[32:33], -v[15:16], v[15:16], v[9:10]
	s_delay_alu instid0(VALU_DEP_1) | instskip(SKIP_2) | instid1(VALU_DEP_2)
	v_fma_f64 v[13:14], v[32:33], v[13:14], v[15:16]
	v_cndmask_b32_e64 v15, 0, 0xffffff80, vcc_lo
	v_cmp_class_f64_e64 vcc_lo, v[9:10], 0x260
	v_ldexp_f64 v[13:14], v[13:14], v15
	s_delay_alu instid0(VALU_DEP_1) | instskip(NEXT) | instid1(VALU_DEP_1)
	v_dual_cndmask_b32 v10, v14, v10 :: v_dual_cndmask_b32 v9, v13, v9
	v_mul_f64 v[13:14], v[11:12], v[9:10]
.LBB55_117:                             ;   in Loop: Header=BB55_12 Depth=3
	s_or_b32 exec_lo, exec_lo, s76
                                        ; implicit-def: $vgpr9_vgpr10
                                        ; implicit-def: $vgpr11_vgpr12
	s_and_not1_saveexec_b32 s8, s8
	s_cbranch_execz .LBB55_57
.LBB55_118:                             ;   in Loop: Header=BB55_12 Depth=3
	v_div_scale_f64 v[13:14], null, v[9:10], v[9:10], v[11:12]
	v_div_scale_f64 v[34:35], vcc_lo, v[11:12], v[9:10], v[11:12]
	s_delay_alu instid0(VALU_DEP_2) | instskip(SKIP_2) | instid1(VALU_DEP_1)
	v_rcp_f64_e32 v[15:16], v[13:14]
	s_waitcnt_depctr 0xfff
	v_fma_f64 v[32:33], -v[13:14], v[15:16], 1.0
	v_fma_f64 v[15:16], v[15:16], v[32:33], v[15:16]
	s_delay_alu instid0(VALU_DEP_1) | instskip(NEXT) | instid1(VALU_DEP_1)
	v_fma_f64 v[32:33], -v[13:14], v[15:16], 1.0
	v_fma_f64 v[15:16], v[15:16], v[32:33], v[15:16]
	s_delay_alu instid0(VALU_DEP_1) | instskip(NEXT) | instid1(VALU_DEP_1)
	v_mul_f64 v[32:33], v[34:35], v[15:16]
	v_fma_f64 v[13:14], -v[13:14], v[32:33], v[34:35]
	s_delay_alu instid0(VALU_DEP_1) | instskip(NEXT) | instid1(VALU_DEP_1)
	v_div_fmas_f64 v[13:14], v[13:14], v[15:16], v[32:33]
	v_div_fixup_f64 v[11:12], v[13:14], v[9:10], v[11:12]
	s_delay_alu instid0(VALU_DEP_1) | instskip(NEXT) | instid1(VALU_DEP_1)
	v_fma_f64 v[11:12], v[11:12], v[11:12], 1.0
	v_cmp_gt_f64_e32 vcc_lo, 0x10000000, v[11:12]
	v_cndmask_b32_e64 v13, 0, 1, vcc_lo
	s_delay_alu instid0(VALU_DEP_1) | instskip(NEXT) | instid1(VALU_DEP_1)
	v_lshlrev_b32_e32 v13, 8, v13
	v_ldexp_f64 v[11:12], v[11:12], v13
	s_delay_alu instid0(VALU_DEP_1) | instskip(SKIP_3) | instid1(VALU_DEP_1)
	v_rsq_f64_e32 v[13:14], v[11:12]
	s_waitcnt_depctr 0xfff
	v_mul_f64 v[15:16], v[11:12], v[13:14]
	v_mul_f64 v[13:14], v[13:14], 0.5
	v_fma_f64 v[32:33], -v[13:14], v[15:16], 0.5
	s_delay_alu instid0(VALU_DEP_1) | instskip(SKIP_1) | instid1(VALU_DEP_2)
	v_fma_f64 v[15:16], v[15:16], v[32:33], v[15:16]
	v_fma_f64 v[13:14], v[13:14], v[32:33], v[13:14]
	v_fma_f64 v[32:33], -v[15:16], v[15:16], v[11:12]
	s_delay_alu instid0(VALU_DEP_1) | instskip(NEXT) | instid1(VALU_DEP_1)
	v_fma_f64 v[15:16], v[32:33], v[13:14], v[15:16]
	v_fma_f64 v[32:33], -v[15:16], v[15:16], v[11:12]
	s_delay_alu instid0(VALU_DEP_1) | instskip(SKIP_2) | instid1(VALU_DEP_2)
	v_fma_f64 v[13:14], v[32:33], v[13:14], v[15:16]
	v_cndmask_b32_e64 v15, 0, 0xffffff80, vcc_lo
	v_cmp_class_f64_e64 vcc_lo, v[11:12], 0x260
	v_ldexp_f64 v[13:14], v[13:14], v15
	s_delay_alu instid0(VALU_DEP_1) | instskip(NEXT) | instid1(VALU_DEP_1)
	v_dual_cndmask_b32 v12, v14, v12 :: v_dual_cndmask_b32 v11, v13, v11
	v_mul_f64 v[13:14], v[9:10], v[11:12]
	s_or_b32 exec_lo, exec_lo, s8
	s_delay_alu instid0(VALU_DEP_1) | instskip(NEXT) | instid1(VALU_DEP_1)
	v_cmp_class_f64_e64 s76, v[13:14], 0x1f8
	s_and_saveexec_b32 s8, s76
	s_cbranch_execnz .LBB55_58
	s_branch .LBB55_59
.LBB55_119:                             ;   in Loop: Header=BB55_3 Depth=1
	v_or_b32_e32 v12, 32, v40
	v_xor_b32_e32 v11, 16, v40
	v_xor_b32_e32 v10, 8, v40
	;; [unrolled: 1-line block ×5, first 2 shown]
	s_and_b32 vcc_lo, exec_lo, s33
	s_cbranch_vccnz .LBB55_122
; %bb.120:                              ;   in Loop: Header=BB55_3 Depth=1
	s_and_not1_b32 vcc_lo, exec_lo, s10
	s_cbranch_vccz .LBB55_133
.LBB55_121:                             ;   in Loop: Header=BB55_3 Depth=1
	s_and_saveexec_b32 s8, s5
	s_cbranch_execnz .LBB55_144
	s_branch .LBB55_155
.LBB55_122:                             ;   in Loop: Header=BB55_3 Depth=1
	v_cmp_gt_i32_e32 vcc_lo, 32, v12
	v_cmp_gt_i32_e64 s7, 32, v11
	v_cndmask_b32_e32 v5, v40, v12, vcc_lo
	s_delay_alu instid0(VALU_DEP_2) | instskip(SKIP_1) | instid1(VALU_DEP_3)
	v_cndmask_b32_e64 v13, v40, v11, s7
	v_cmp_gt_i32_e64 s7, 32, v10
	v_lshlrev_b32_e32 v6, 2, v5
	ds_bpermute_b32 v5, v6, v3
	ds_bpermute_b32 v6, v6, v4
	s_waitcnt lgkmcnt(0)
	v_cmp_lt_f64_e32 vcc_lo, v[3:4], v[5:6]
	v_dual_cndmask_b32 v4, v4, v6 :: v_dual_lshlrev_b32 v13, 2, v13
	ds_bpermute_b32 v6, v13, v4
	v_cndmask_b32_e32 v3, v3, v5, vcc_lo
	ds_bpermute_b32 v5, v13, v3
	v_cndmask_b32_e64 v13, v40, v10, s7
	v_cmp_gt_i32_e64 s7, 32, v9
	s_waitcnt lgkmcnt(0)
	v_cmp_lt_f64_e32 vcc_lo, v[3:4], v[5:6]
	s_delay_alu instid0(VALU_DEP_3)
	v_dual_cndmask_b32 v4, v4, v6 :: v_dual_lshlrev_b32 v13, 2, v13
	v_cndmask_b32_e32 v3, v3, v5, vcc_lo
	ds_bpermute_b32 v6, v13, v4
	ds_bpermute_b32 v5, v13, v3
	v_cndmask_b32_e64 v13, v40, v9, s7
	v_cmp_gt_i32_e64 s7, 32, v8
	s_delay_alu instid0(VALU_DEP_2)
	v_lshlrev_b32_e32 v13, 2, v13
	s_waitcnt lgkmcnt(0)
	v_cmp_lt_f64_e32 vcc_lo, v[3:4], v[5:6]
	v_dual_cndmask_b32 v4, v4, v6 :: v_dual_cndmask_b32 v3, v3, v5
	ds_bpermute_b32 v6, v13, v4
	ds_bpermute_b32 v5, v13, v3
	v_cndmask_b32_e64 v13, v40, v8, s7
	v_cmp_gt_i32_e64 s7, 32, v7
	s_delay_alu instid0(VALU_DEP_2)
	v_lshlrev_b32_e32 v13, 2, v13
	s_waitcnt lgkmcnt(0)
	v_cmp_lt_f64_e32 vcc_lo, v[3:4], v[5:6]
	v_dual_cndmask_b32 v4, v4, v6 :: v_dual_cndmask_b32 v3, v3, v5
	ds_bpermute_b32 v6, v13, v4
	ds_bpermute_b32 v5, v13, v3
	v_cndmask_b32_e64 v13, v40, v7, s7
	s_delay_alu instid0(VALU_DEP_1)
	v_lshlrev_b32_e32 v13, 2, v13
	s_waitcnt lgkmcnt(0)
	v_cmp_lt_f64_e32 vcc_lo, v[3:4], v[5:6]
	v_dual_cndmask_b32 v4, v4, v6 :: v_dual_cndmask_b32 v3, v3, v5
	ds_bpermute_b32 v6, v13, v4
	ds_bpermute_b32 v5, v13, v3
	s_and_saveexec_b32 s7, s0
	s_cbranch_execz .LBB55_124
; %bb.123:                              ;   in Loop: Header=BB55_3 Depth=1
	s_waitcnt lgkmcnt(0)
	v_cmp_lt_f64_e32 vcc_lo, v[3:4], v[5:6]
	v_dual_cndmask_b32 v4, v4, v6 :: v_dual_cndmask_b32 v3, v3, v5
	ds_store_b64 v43, v[3:4]
.LBB55_124:                             ;   in Loop: Header=BB55_3 Depth=1
	s_or_b32 exec_lo, exec_lo, s7
	s_waitcnt lgkmcnt(0)
	s_waitcnt_vscnt null, 0x0
	s_barrier
	buffer_gl0_inv
	s_and_saveexec_b32 s7, s1
	s_cbranch_execz .LBB55_126
; %bb.125:                              ;   in Loop: Header=BB55_3 Depth=1
	ds_load_2addr_b64 v[3:6], v41 offset1:8
	s_waitcnt lgkmcnt(0)
	v_cmp_lt_f64_e32 vcc_lo, v[3:4], v[5:6]
	v_dual_cndmask_b32 v4, v4, v6 :: v_dual_cndmask_b32 v3, v3, v5
	ds_store_b64 v41, v[3:4]
.LBB55_126:                             ;   in Loop: Header=BB55_3 Depth=1
	s_or_b32 exec_lo, exec_lo, s7
	s_waitcnt lgkmcnt(0)
	s_barrier
	buffer_gl0_inv
	s_and_saveexec_b32 s7, s2
	s_cbranch_execz .LBB55_128
; %bb.127:                              ;   in Loop: Header=BB55_3 Depth=1
	ds_load_2addr_b64 v[3:6], v41 offset1:4
	s_waitcnt lgkmcnt(0)
	v_cmp_lt_f64_e32 vcc_lo, v[3:4], v[5:6]
	v_dual_cndmask_b32 v4, v4, v6 :: v_dual_cndmask_b32 v3, v3, v5
	ds_store_b64 v41, v[3:4]
.LBB55_128:                             ;   in Loop: Header=BB55_3 Depth=1
	s_or_b32 exec_lo, exec_lo, s7
	s_waitcnt lgkmcnt(0)
	;; [unrolled: 13-line block ×3, first 2 shown]
	s_barrier
	buffer_gl0_inv
	s_and_saveexec_b32 s7, s4
	s_cbranch_execz .LBB55_132
; %bb.131:                              ;   in Loop: Header=BB55_3 Depth=1
	ds_load_b128 v[3:6], v18
	s_waitcnt lgkmcnt(0)
	v_cmp_lt_f64_e32 vcc_lo, v[3:4], v[5:6]
	v_dual_cndmask_b32 v4, v4, v6 :: v_dual_cndmask_b32 v3, v3, v5
	ds_store_b64 v18, v[3:4]
.LBB55_132:                             ;   in Loop: Header=BB55_3 Depth=1
	s_or_b32 exec_lo, exec_lo, s7
	s_waitcnt lgkmcnt(0)
	s_barrier
	buffer_gl0_inv
	ds_load_b64 v[3:4], v18
	s_load_b64 s[8:9], s[54:55], 0x0
	s_waitcnt lgkmcnt(0)
	v_div_scale_f64 v[5:6], null, s[8:9], s[8:9], v[3:4]
	s_delay_alu instid0(VALU_DEP_1) | instskip(SKIP_2) | instid1(VALU_DEP_1)
	v_rcp_f64_e32 v[13:14], v[5:6]
	s_waitcnt_depctr 0xfff
	v_fma_f64 v[15:16], -v[5:6], v[13:14], 1.0
	v_fma_f64 v[13:14], v[13:14], v[15:16], v[13:14]
	s_delay_alu instid0(VALU_DEP_1) | instskip(NEXT) | instid1(VALU_DEP_1)
	v_fma_f64 v[15:16], -v[5:6], v[13:14], 1.0
	v_fma_f64 v[13:14], v[13:14], v[15:16], v[13:14]
	v_div_scale_f64 v[15:16], vcc_lo, v[3:4], s[8:9], v[3:4]
	s_delay_alu instid0(VALU_DEP_1) | instskip(NEXT) | instid1(VALU_DEP_1)
	v_mul_f64 v[19:20], v[15:16], v[13:14]
	v_fma_f64 v[5:6], -v[5:6], v[19:20], v[15:16]
	s_delay_alu instid0(VALU_DEP_1) | instskip(NEXT) | instid1(VALU_DEP_1)
	v_div_fmas_f64 v[5:6], v[5:6], v[13:14], v[19:20]
	v_div_fixup_f64 v[3:4], v[5:6], s[8:9], v[3:4]
	s_and_not1_b32 vcc_lo, exec_lo, s10
	s_cbranch_vccnz .LBB55_121
.LBB55_133:                             ;   in Loop: Header=BB55_3 Depth=1
	v_cmp_gt_i32_e32 vcc_lo, 32, v12
	v_cmp_gt_i32_e64 s7, 32, v11
	v_cndmask_b32_e32 v5, v40, v12, vcc_lo
	s_delay_alu instid0(VALU_DEP_2) | instskip(SKIP_1) | instid1(VALU_DEP_3)
	v_cndmask_b32_e64 v11, v40, v11, s7
	v_cmp_gt_i32_e64 s7, 32, v10
	v_lshlrev_b32_e32 v6, 2, v5
	s_delay_alu instid0(VALU_DEP_2)
	v_cndmask_b32_e64 v10, v40, v10, s7
	v_cmp_gt_i32_e64 s7, 32, v9
	ds_bpermute_b32 v5, v6, v1
	ds_bpermute_b32 v6, v6, v2
	v_lshlrev_b32_e32 v10, 2, v10
	v_cndmask_b32_e64 v9, v40, v9, s7
	v_cmp_gt_i32_e64 s7, 32, v8
	s_delay_alu instid0(VALU_DEP_1) | instskip(SKIP_1) | instid1(VALU_DEP_2)
	v_cndmask_b32_e64 v8, v40, v8, s7
	v_cmp_gt_i32_e64 s7, 32, v7
	v_lshlrev_b32_e32 v8, 2, v8
	s_delay_alu instid0(VALU_DEP_2) | instskip(NEXT) | instid1(VALU_DEP_1)
	v_cndmask_b32_e64 v7, v40, v7, s7
	v_lshlrev_b32_e32 v7, 2, v7
	s_waitcnt lgkmcnt(0)
	v_cmp_lt_f64_e32 vcc_lo, v[1:2], v[5:6]
	v_dual_cndmask_b32 v2, v2, v6 :: v_dual_lshlrev_b32 v11, 2, v11
	v_cndmask_b32_e32 v1, v1, v5, vcc_lo
	ds_bpermute_b32 v6, v11, v2
	ds_bpermute_b32 v5, v11, v1
	s_waitcnt lgkmcnt(0)
	v_cmp_lt_f64_e32 vcc_lo, v[1:2], v[5:6]
	v_cndmask_b32_e32 v2, v2, v6, vcc_lo
	ds_bpermute_b32 v6, v10, v2
	v_cndmask_b32_e32 v1, v1, v5, vcc_lo
	ds_bpermute_b32 v5, v10, v1
	s_waitcnt lgkmcnt(0)
	v_cmp_lt_f64_e32 vcc_lo, v[1:2], v[5:6]
	v_dual_cndmask_b32 v2, v2, v6 :: v_dual_lshlrev_b32 v9, 2, v9
	v_cndmask_b32_e32 v1, v1, v5, vcc_lo
	ds_bpermute_b32 v6, v9, v2
	ds_bpermute_b32 v5, v9, v1
	s_waitcnt lgkmcnt(0)
	v_cmp_lt_f64_e32 vcc_lo, v[1:2], v[5:6]
	v_cndmask_b32_e32 v2, v2, v6, vcc_lo
	ds_bpermute_b32 v6, v8, v2
	v_cndmask_b32_e32 v1, v1, v5, vcc_lo
	ds_bpermute_b32 v5, v8, v1
	s_waitcnt lgkmcnt(0)
	v_cmp_lt_f64_e32 vcc_lo, v[1:2], v[5:6]
	v_dual_cndmask_b32 v2, v2, v6 :: v_dual_cndmask_b32 v1, v1, v5
	ds_bpermute_b32 v6, v7, v2
	ds_bpermute_b32 v5, v7, v1
	s_and_saveexec_b32 s7, s0
	s_cbranch_execz .LBB55_135
; %bb.134:                              ;   in Loop: Header=BB55_3 Depth=1
	s_waitcnt lgkmcnt(0)
	v_cmp_lt_f64_e32 vcc_lo, v[1:2], v[5:6]
	v_dual_cndmask_b32 v2, v2, v6 :: v_dual_cndmask_b32 v1, v1, v5
	ds_store_b64 v43, v[1:2]
.LBB55_135:                             ;   in Loop: Header=BB55_3 Depth=1
	s_or_b32 exec_lo, exec_lo, s7
	s_waitcnt lgkmcnt(0)
	s_waitcnt_vscnt null, 0x0
	s_barrier
	buffer_gl0_inv
	s_and_saveexec_b32 s7, s1
	s_cbranch_execz .LBB55_137
; %bb.136:                              ;   in Loop: Header=BB55_3 Depth=1
	ds_load_2addr_b64 v[5:8], v41 offset1:8
	s_waitcnt lgkmcnt(0)
	v_cmp_lt_f64_e32 vcc_lo, v[5:6], v[7:8]
	v_dual_cndmask_b32 v2, v6, v8 :: v_dual_cndmask_b32 v1, v5, v7
	ds_store_b64 v41, v[1:2]
.LBB55_137:                             ;   in Loop: Header=BB55_3 Depth=1
	s_or_b32 exec_lo, exec_lo, s7
	s_waitcnt lgkmcnt(0)
	s_barrier
	buffer_gl0_inv
	s_and_saveexec_b32 s7, s2
	s_cbranch_execz .LBB55_139
; %bb.138:                              ;   in Loop: Header=BB55_3 Depth=1
	ds_load_2addr_b64 v[5:8], v41 offset1:4
	s_waitcnt lgkmcnt(0)
	v_cmp_lt_f64_e32 vcc_lo, v[5:6], v[7:8]
	v_dual_cndmask_b32 v2, v6, v8 :: v_dual_cndmask_b32 v1, v5, v7
	ds_store_b64 v41, v[1:2]
.LBB55_139:                             ;   in Loop: Header=BB55_3 Depth=1
	s_or_b32 exec_lo, exec_lo, s7
	s_waitcnt lgkmcnt(0)
	;; [unrolled: 13-line block ×3, first 2 shown]
	s_barrier
	buffer_gl0_inv
	s_and_saveexec_b32 s7, s4
	s_cbranch_execz .LBB55_143
; %bb.142:                              ;   in Loop: Header=BB55_3 Depth=1
	ds_load_b128 v[5:8], v18
	s_waitcnt lgkmcnt(0)
	v_cmp_lt_f64_e32 vcc_lo, v[5:6], v[7:8]
	v_dual_cndmask_b32 v2, v6, v8 :: v_dual_cndmask_b32 v1, v5, v7
	ds_store_b64 v18, v[1:2]
.LBB55_143:                             ;   in Loop: Header=BB55_3 Depth=1
	s_or_b32 exec_lo, exec_lo, s7
	s_waitcnt lgkmcnt(0)
	s_barrier
	buffer_gl0_inv
	ds_load_b64 v[1:2], v18
	s_load_b64 s[8:9], s[54:55], 0x0
	s_waitcnt lgkmcnt(0)
	v_div_scale_f64 v[5:6], null, s[8:9], s[8:9], v[1:2]
	s_delay_alu instid0(VALU_DEP_1) | instskip(SKIP_2) | instid1(VALU_DEP_1)
	v_rcp_f64_e32 v[7:8], v[5:6]
	s_waitcnt_depctr 0xfff
	v_fma_f64 v[9:10], -v[5:6], v[7:8], 1.0
	v_fma_f64 v[7:8], v[7:8], v[9:10], v[7:8]
	s_delay_alu instid0(VALU_DEP_1) | instskip(NEXT) | instid1(VALU_DEP_1)
	v_fma_f64 v[9:10], -v[5:6], v[7:8], 1.0
	v_fma_f64 v[7:8], v[7:8], v[9:10], v[7:8]
	v_div_scale_f64 v[9:10], vcc_lo, v[1:2], s[8:9], v[1:2]
	s_delay_alu instid0(VALU_DEP_1) | instskip(NEXT) | instid1(VALU_DEP_1)
	v_mul_f64 v[11:12], v[9:10], v[7:8]
	v_fma_f64 v[5:6], -v[5:6], v[11:12], v[9:10]
	s_delay_alu instid0(VALU_DEP_1) | instskip(NEXT) | instid1(VALU_DEP_1)
	v_div_fmas_f64 v[5:6], v[5:6], v[7:8], v[11:12]
	v_div_fixup_f64 v[1:2], v[5:6], s[8:9], v[1:2]
	s_and_saveexec_b32 s8, s5
	s_cbranch_execz .LBB55_155
.LBB55_144:                             ;   in Loop: Header=BB55_3 Depth=1
	v_mov_b32_e32 v5, v42
	s_mov_b32 s9, 0
	s_branch .LBB55_146
.LBB55_145:                             ;   in Loop: Header=BB55_146 Depth=2
	s_or_b32 exec_lo, exec_lo, s67
	v_add_nc_u32_e32 v5, 16, v5
	s_delay_alu instid0(VALU_DEP_1) | instskip(SKIP_1) | instid1(SALU_CYCLE_1)
	v_cmp_le_u32_e32 vcc_lo, s63, v5
	s_or_b32 s9, vcc_lo, s9
	s_and_not1_b32 exec_lo, exec_lo, s9
	s_cbranch_execz .LBB55_155
.LBB55_146:                             ;   Parent Loop BB55_3 Depth=1
                                        ; =>  This Loop Header: Depth=2
                                        ;       Child Loop BB55_149 Depth 3
                                        ;       Child Loop BB55_152 Depth 3
	s_mov_b32 s67, exec_lo
	s_delay_alu instid0(VALU_DEP_1)
	v_cmpx_gt_i32_e64 s56, v5
	s_cbranch_execz .LBB55_145
; %bb.147:                              ;   in Loop: Header=BB55_146 Depth=2
	v_ashrrev_i32_e32 v6, 31, v5
	s_mov_b32 s68, exec_lo
	s_delay_alu instid0(VALU_DEP_1) | instskip(NEXT) | instid1(VALU_DEP_1)
	v_lshlrev_b64 v[7:8], 2, v[5:6]
	v_add_co_u32 v9, vcc_lo, s20, v7
	s_delay_alu instid0(VALU_DEP_2)
	v_add_co_ci_u32_e32 v10, vcc_lo, s21, v8, vcc_lo
	v_add_co_u32 v11, vcc_lo, s22, v7
	v_add_co_ci_u32_e32 v12, vcc_lo, s23, v8, vcc_lo
	global_load_b32 v9, v[9:10], off
	global_load_b32 v10, v[11:12], off
	s_waitcnt vmcnt(1)
	v_add_nc_u32_e32 v9, v45, v9
	s_waitcnt vmcnt(0)
	v_subrev_nc_u32_e32 v14, s61, v10
	s_delay_alu instid0(VALU_DEP_1)
	v_cmpx_lt_i32_e64 v9, v14
	s_cbranch_execz .LBB55_150
; %bb.148:                              ;   in Loop: Header=BB55_146 Depth=2
	v_ashrrev_i32_e32 v10, 31, v9
	s_mov_b32 s69, 0
	s_delay_alu instid0(VALU_DEP_1) | instskip(NEXT) | instid1(VALU_DEP_1)
	v_lshlrev_b64 v[12:13], 4, v[9:10]
	v_add_co_u32 v10, vcc_lo, s26, v12
	s_delay_alu instid0(VALU_DEP_2)
	v_add_co_ci_u32_e32 v11, vcc_lo, s27, v13, vcc_lo
	v_add_co_u32 v12, vcc_lo, s52, v12
	v_add_co_ci_u32_e32 v13, vcc_lo, s53, v13, vcc_lo
	.p2align	6
.LBB55_149:                             ;   Parent Loop BB55_3 Depth=1
                                        ;     Parent Loop BB55_146 Depth=2
                                        ; =>    This Inner Loop Header: Depth=3
	global_load_b128 v[19:22], v[12:13], off
	v_add_nc_u32_e32 v9, 64, v9
	v_add_co_u32 v12, vcc_lo, 0x400, v12
	v_add_co_ci_u32_e32 v13, vcc_lo, 0, v13, vcc_lo
	s_delay_alu instid0(VALU_DEP_3) | instskip(SKIP_4) | instid1(VALU_DEP_1)
	v_cmp_ge_i32_e32 vcc_lo, v9, v14
	s_or_b32 s69, vcc_lo, s69
	s_waitcnt vmcnt(0)
	global_store_b128 v[10:11], v[19:22], off
	v_add_co_u32 v10, s7, 0x400, v10
	v_add_co_ci_u32_e64 v11, s7, 0, v11, s7
	s_and_not1_b32 exec_lo, exec_lo, s69
	s_cbranch_execnz .LBB55_149
.LBB55_150:                             ;   in Loop: Header=BB55_146 Depth=2
	s_or_b32 exec_lo, exec_lo, s68
	v_add_co_u32 v9, vcc_lo, s12, v7
	v_add_co_ci_u32_e32 v10, vcc_lo, s13, v8, vcc_lo
	v_add_co_u32 v7, vcc_lo, s14, v7
	v_add_co_ci_u32_e32 v8, vcc_lo, s15, v8, vcc_lo
	s_mov_b32 s68, exec_lo
	global_load_b32 v9, v[9:10], off
	global_load_b32 v8, v[7:8], off
	s_waitcnt vmcnt(1)
	v_add_nc_u32_e32 v7, v46, v9
	s_waitcnt vmcnt(0)
	v_subrev_nc_u32_e32 v12, s62, v8
	s_delay_alu instid0(VALU_DEP_1)
	v_cmpx_lt_i32_e64 v7, v12
	s_cbranch_execz .LBB55_153
; %bb.151:                              ;   in Loop: Header=BB55_146 Depth=2
	v_ashrrev_i32_e32 v8, 31, v7
	s_mov_b32 s69, 0
	s_delay_alu instid0(VALU_DEP_1) | instskip(NEXT) | instid1(VALU_DEP_1)
	v_lshlrev_b64 v[10:11], 4, v[7:8]
	v_add_co_u32 v8, vcc_lo, s18, v10
	s_delay_alu instid0(VALU_DEP_2)
	v_add_co_ci_u32_e32 v9, vcc_lo, s19, v11, vcc_lo
	v_add_co_u32 v10, vcc_lo, s34, v10
	v_add_co_ci_u32_e32 v11, vcc_lo, s35, v11, vcc_lo
	.p2align	6
.LBB55_152:                             ;   Parent Loop BB55_3 Depth=1
                                        ;     Parent Loop BB55_146 Depth=2
                                        ; =>    This Inner Loop Header: Depth=3
	global_load_b128 v[13:16], v[10:11], off
	v_add_nc_u32_e32 v7, 64, v7
	v_add_co_u32 v10, vcc_lo, 0x400, v10
	v_add_co_ci_u32_e32 v11, vcc_lo, 0, v11, vcc_lo
	s_delay_alu instid0(VALU_DEP_3) | instskip(SKIP_4) | instid1(VALU_DEP_1)
	v_cmp_ge_i32_e32 vcc_lo, v7, v12
	s_or_b32 s69, vcc_lo, s69
	s_waitcnt vmcnt(0)
	global_store_b128 v[8:9], v[13:16], off
	v_add_co_u32 v8, s7, 0x400, v8
	v_add_co_ci_u32_e64 v9, s7, 0, v9, s7
	s_and_not1_b32 exec_lo, exec_lo, s69
	s_cbranch_execnz .LBB55_152
.LBB55_153:                             ;   in Loop: Header=BB55_146 Depth=2
	s_or_b32 exec_lo, exec_lo, s68
	s_delay_alu instid0(SALU_CYCLE_1)
	s_and_b32 exec_lo, exec_lo, s6
	s_cbranch_execz .LBB55_145
; %bb.154:                              ;   in Loop: Header=BB55_146 Depth=2
	v_lshlrev_b64 v[10:11], 4, v[5:6]
	s_delay_alu instid0(VALU_DEP_1) | instskip(NEXT) | instid1(VALU_DEP_2)
	v_add_co_u32 v6, vcc_lo, s50, v10
	v_add_co_ci_u32_e32 v7, vcc_lo, s51, v11, vcc_lo
	v_add_co_u32 v10, vcc_lo, s48, v10
	v_add_co_ci_u32_e32 v11, vcc_lo, s49, v11, vcc_lo
	global_load_b128 v[6:9], v[6:7], off
	s_waitcnt vmcnt(0)
	global_store_b128 v[10:11], v[6:9], off
	s_branch .LBB55_145
.LBB55_155:                             ;   in Loop: Header=BB55_3 Depth=1
	s_or_b32 exec_lo, exec_lo, s8
	s_mov_b32 s8, -1
	s_and_b32 vcc_lo, exec_lo, s57
	s_mov_b32 s7, -1
	s_cbranch_vccz .LBB55_165
; %bb.156:                              ;   in Loop: Header=BB55_3 Depth=1
	s_and_b32 vcc_lo, exec_lo, s65
                                        ; implicit-def: $sgpr9
	s_cbranch_vccz .LBB55_162
; %bb.157:                              ;   in Loop: Header=BB55_3 Depth=1
	s_and_b32 vcc_lo, exec_lo, s64
                                        ; implicit-def: $sgpr9
	s_cbranch_vccz .LBB55_159
; %bb.158:                              ;   in Loop: Header=BB55_3 Depth=1
	s_delay_alu instid0(VALU_DEP_1)
	v_cmp_ge_f64_e32 vcc_lo, s[46:47], v[1:2]
	s_mov_b32 s7, 0
	s_and_b32 s9, vcc_lo, exec_lo
.LBB55_159:                             ;   in Loop: Header=BB55_3 Depth=1
	s_and_not1_b32 vcc_lo, exec_lo, s7
	s_cbranch_vccnz .LBB55_161
; %bb.160:                              ;   in Loop: Header=BB55_3 Depth=1
	s_delay_alu instid0(VALU_DEP_1) | instskip(SKIP_2) | instid1(SALU_CYCLE_1)
	v_cmp_ge_f64_e32 vcc_lo, s[46:47], v[3:4]
	s_and_not1_b32 s7, s9, exec_lo
	s_and_b32 s9, vcc_lo, exec_lo
	s_or_b32 s9, s7, s9
.LBB55_161:                             ;   in Loop: Header=BB55_3 Depth=1
	s_mov_b32 s7, 0
.LBB55_162:                             ;   in Loop: Header=BB55_3 Depth=1
	s_delay_alu instid0(SALU_CYCLE_1)
	s_and_not1_b32 vcc_lo, exec_lo, s7
	s_cbranch_vccnz .LBB55_164
; %bb.163:                              ;   in Loop: Header=BB55_3 Depth=1
	s_delay_alu instid0(VALU_DEP_1) | instskip(NEXT) | instid1(VALU_DEP_2)
	v_cmp_ge_f64_e32 vcc_lo, s[46:47], v[3:4]
	v_cmp_ge_f64_e64 s7, s[46:47], v[1:2]
	s_and_not1_b32 s9, s9, exec_lo
	s_delay_alu instid0(VALU_DEP_1) | instskip(NEXT) | instid1(SALU_CYCLE_1)
	s_and_b32 s7, vcc_lo, s7
	s_and_b32 s7, s7, exec_lo
	s_delay_alu instid0(SALU_CYCLE_1)
	s_or_b32 s9, s9, s7
.LBB55_164:                             ;   in Loop: Header=BB55_3 Depth=1
	s_delay_alu instid0(SALU_CYCLE_1)
	s_xor_b32 s7, s9, -1
.LBB55_165:                             ;   in Loop: Header=BB55_3 Depth=1
	v_mov_b32_e32 v5, s66
	s_and_saveexec_b32 s9, s7
	s_cbranch_execz .LBB55_2
; %bb.166:                              ;   in Loop: Header=BB55_3 Depth=1
	s_add_i32 s66, s66, 1
	v_mov_b32_e32 v5, s11
	s_cmp_eq_u32 s66, s11
	s_cselect_b32 s7, -1, 0
	s_delay_alu instid0(SALU_CYCLE_1)
	s_or_not1_b32 s8, s7, exec_lo
	s_branch .LBB55_2
.LBB55_167:
	s_or_b32 exec_lo, exec_lo, s58
.LBB55_168:
	s_delay_alu instid0(SALU_CYCLE_1) | instskip(NEXT) | instid1(SALU_CYCLE_1)
	s_or_b32 exec_lo, exec_lo, s59
	s_and_not1_b32 vcc_lo, exec_lo, s57
	s_cbranch_vccnz .LBB55_183
; %bb.169:
	v_or_b32_e32 v6, 32, v40
	v_xor_b32_e32 v7, 16, v40
	s_mov_b32 s0, exec_lo
	s_delay_alu instid0(VALU_DEP_2) | instskip(SKIP_1) | instid1(VALU_DEP_3)
	v_cmp_gt_i32_e32 vcc_lo, 32, v6
	v_cndmask_b32_e32 v6, v40, v6, vcc_lo
	v_cmp_gt_i32_e32 vcc_lo, 32, v7
	v_cndmask_b32_e32 v7, v40, v7, vcc_lo
	s_delay_alu instid0(VALU_DEP_1) | instskip(NEXT) | instid1(VALU_DEP_4)
	v_lshlrev_b32_e32 v7, 2, v7
	v_lshlrev_b32_e32 v6, 2, v6
	ds_bpermute_b32 v6, v6, v5
	s_waitcnt lgkmcnt(0)
	v_max_i32_e32 v5, v5, v6
	ds_bpermute_b32 v6, v7, v5
	v_xor_b32_e32 v7, 8, v40
	s_delay_alu instid0(VALU_DEP_1) | instskip(SKIP_1) | instid1(VALU_DEP_1)
	v_cmp_gt_i32_e32 vcc_lo, 32, v7
	v_cndmask_b32_e32 v7, v40, v7, vcc_lo
	v_lshlrev_b32_e32 v7, 2, v7
	s_waitcnt lgkmcnt(0)
	v_max_i32_e32 v5, v5, v6
	ds_bpermute_b32 v6, v7, v5
	v_xor_b32_e32 v7, 4, v40
	s_delay_alu instid0(VALU_DEP_1) | instskip(SKIP_1) | instid1(VALU_DEP_1)
	v_cmp_gt_i32_e32 vcc_lo, 32, v7
	v_cndmask_b32_e32 v7, v40, v7, vcc_lo
	v_lshlrev_b32_e32 v7, 2, v7
	;; [unrolled: 8-line block ×3, first 2 shown]
	s_waitcnt lgkmcnt(0)
	v_max_i32_e32 v5, v5, v6
	ds_bpermute_b32 v6, v7, v5
	v_xor_b32_e32 v7, 1, v40
	s_delay_alu instid0(VALU_DEP_1) | instskip(SKIP_3) | instid1(VALU_DEP_2)
	v_cmp_gt_i32_e32 vcc_lo, 32, v7
	v_cndmask_b32_e32 v7, v40, v7, vcc_lo
	s_waitcnt lgkmcnt(0)
	v_max_i32_e32 v5, v5, v6
	v_lshlrev_b32_e32 v6, 2, v7
	ds_bpermute_b32 v6, v6, v5
	v_cmpx_eq_u32_e32 63, v39
	s_cbranch_execz .LBB55_171
; %bb.170:
	v_lshlrev_b32_e32 v7, 2, v38
	s_waitcnt lgkmcnt(0)
	v_max_i32_e32 v5, v5, v6
	ds_store_b32 v7, v5 offset:128
.LBB55_171:
	s_or_b32 exec_lo, exec_lo, s0
	v_lshlrev_b32_e32 v5, 2, v0
	s_mov_b32 s0, exec_lo
	s_waitcnt lgkmcnt(0)
	s_waitcnt_vscnt null, 0x0
	s_barrier
	buffer_gl0_inv
	v_cmpx_gt_u32_e32 8, v0
	s_cbranch_execz .LBB55_173
; %bb.172:
	ds_load_2addr_b32 v[6:7], v5 offset0:32 offset1:40
	s_waitcnt lgkmcnt(0)
	v_max_i32_e32 v6, v6, v7
	ds_store_b32 v5, v6 offset:128
.LBB55_173:
	s_or_b32 exec_lo, exec_lo, s0
	s_delay_alu instid0(SALU_CYCLE_1)
	s_mov_b32 s0, exec_lo
	s_waitcnt lgkmcnt(0)
	s_barrier
	buffer_gl0_inv
	v_cmpx_gt_u32_e32 4, v0
	s_cbranch_execz .LBB55_175
; %bb.174:
	ds_load_2addr_b32 v[6:7], v5 offset0:32 offset1:36
	s_waitcnt lgkmcnt(0)
	v_max_i32_e32 v6, v6, v7
	ds_store_b32 v5, v6 offset:128
.LBB55_175:
	s_or_b32 exec_lo, exec_lo, s0
	s_delay_alu instid0(SALU_CYCLE_1)
	s_mov_b32 s0, exec_lo
	s_waitcnt lgkmcnt(0)
	s_barrier
	buffer_gl0_inv
	v_cmpx_gt_u32_e32 2, v0
	s_cbranch_execz .LBB55_177
; %bb.176:
	ds_load_2addr_b32 v[6:7], v5 offset0:32 offset1:34
	s_waitcnt lgkmcnt(0)
	v_max_i32_e32 v6, v6, v7
	ds_store_b32 v5, v6 offset:128
.LBB55_177:
	s_or_b32 exec_lo, exec_lo, s0
	v_cmp_eq_u32_e32 vcc_lo, 0, v0
	s_waitcnt lgkmcnt(0)
	s_barrier
	buffer_gl0_inv
	s_and_saveexec_b32 s0, vcc_lo
	s_cbranch_execz .LBB55_179
; %bb.178:
	v_mov_b32_e32 v7, 0
	ds_load_b64 v[5:6], v7 offset:128
	s_waitcnt lgkmcnt(0)
	v_max_i32_e32 v5, v5, v6
	ds_store_b32 v7, v5 offset:128
.LBB55_179:
	s_or_b32 exec_lo, exec_lo, s0
	s_waitcnt lgkmcnt(0)
	s_barrier
	buffer_gl0_inv
	s_and_saveexec_b32 s0, vcc_lo
	s_cbranch_execz .LBB55_182
; %bb.180:
	v_mbcnt_lo_u32_b32 v5, exec_lo, 0
	s_delay_alu instid0(VALU_DEP_1)
	v_cmp_eq_u32_e32 vcc_lo, 0, v5
	s_and_b32 exec_lo, exec_lo, vcc_lo
	s_cbranch_execz .LBB55_182
; %bb.181:
	v_mov_b32_e32 v5, 0
	ds_load_b32 v6, v5 offset:128
	s_waitcnt lgkmcnt(0)
	v_add_nc_u32_e32 v6, 1, v6
	global_atomic_max_i32 v5, v6, s[44:45]
.LBB55_182:
	s_or_b32 exec_lo, exec_lo, s0
.LBB55_183:
	v_cmp_eq_u32_e32 vcc_lo, 0, v0
	s_mov_b32 s2, 0
	s_and_b32 s0, vcc_lo, s33
	s_delay_alu instid0(SALU_CYCLE_1)
	s_and_saveexec_b32 s4, s0
	s_cbranch_execz .LBB55_188
; %bb.184:
	v_mov_b32_e32 v0, 0
	s_delay_alu instid0(VALU_DEP_4)
	v_cmp_eq_f64_e64 s0, 0, v[3:4]
	s_brev_b32 s3, 1
                                        ; implicit-def: $sgpr5
	global_load_b64 v[5:6], v0, s[28:29] glc
	s_waitcnt vmcnt(0)
	v_cmp_eq_u64_e64 s6, s[2:3], v[5:6]
                                        ; implicit-def: $sgpr3
	s_set_inst_prefetch_distance 0x1
	s_branch .LBB55_186
	.p2align	6
.LBB55_185:                             ;   in Loop: Header=BB55_186 Depth=1
	s_or_b32 exec_lo, exec_lo, s7
	s_delay_alu instid0(SALU_CYCLE_1) | instskip(NEXT) | instid1(SALU_CYCLE_1)
	s_and_b32 s1, exec_lo, s3
	s_or_b32 s2, s1, s2
	s_and_not1_b32 s1, s6, exec_lo
	s_and_b32 s6, s5, exec_lo
	s_delay_alu instid0(SALU_CYCLE_1)
	s_or_b32 s6, s1, s6
	s_and_not1_b32 exec_lo, exec_lo, s2
	s_cbranch_execz .LBB55_188
.LBB55_186:                             ; =>This Inner Loop Header: Depth=1
	v_cmp_lt_f64_e64 s1, v[5:6], v[3:4]
	s_delay_alu instid0(VALU_DEP_2) | instskip(SKIP_2) | instid1(VALU_DEP_1)
	s_and_b32 s7, s0, s6
	s_and_not1_b32 s5, s5, exec_lo
	s_or_b32 s3, s3, exec_lo
	s_or_b32 s1, s1, s7
	s_delay_alu instid0(SALU_CYCLE_1)
	s_and_saveexec_b32 s7, s1
	s_cbranch_execz .LBB55_185
; %bb.187:                              ;   in Loop: Header=BB55_186 Depth=1
	global_atomic_cmpswap_b64 v[7:8], v0, v[3:6], s[28:29] glc
	s_and_not1_b32 s5, s5, exec_lo
	s_and_not1_b32 s3, s3, exec_lo
	s_waitcnt vmcnt(0)
	v_cmp_eq_u64_e64 s1, v[7:8], v[5:6]
	s_delay_alu instid0(VALU_DEP_1) | instskip(SKIP_2) | instid1(SALU_CYCLE_1)
	v_cndmask_b32_e64 v6, v8, v6, s1
	v_cndmask_b32_e64 v5, v7, v5, s1
	s_and_b32 s1, s1, exec_lo
	s_or_b32 s3, s3, s1
	s_delay_alu instid0(VALU_DEP_1) | instskip(SKIP_1) | instid1(VALU_DEP_2)
	v_cmp_class_f64_e64 s6, v[5:6], 32
	v_dual_mov_b32 v5, v7 :: v_dual_mov_b32 v6, v8
	s_and_b32 s6, s6, exec_lo
	s_delay_alu instid0(SALU_CYCLE_1)
	s_or_b32 s5, s5, s6
                                        ; implicit-def: $sgpr6
	s_branch .LBB55_185
.LBB55_188:
	s_set_inst_prefetch_distance 0x2
	s_or_b32 exec_lo, exec_lo, s4
	s_and_b32 s0, vcc_lo, s10
	s_delay_alu instid0(SALU_CYCLE_1)
	s_and_saveexec_b32 s1, s0
	s_cbranch_execz .LBB55_193
; %bb.189:
	v_mov_b32_e32 v0, 0
	s_delay_alu instid0(VALU_DEP_4)
	v_cmp_eq_f64_e32 vcc_lo, 0, v[1:2]
	s_brev_b32 s3, 1
	s_mov_b32 s2, 0
                                        ; implicit-def: $sgpr1
	global_load_b64 v[3:4], v0, s[30:31] glc
	s_waitcnt vmcnt(0)
	v_cmp_eq_u64_e64 s4, s[2:3], v[3:4]
                                        ; implicit-def: $sgpr3
	s_set_inst_prefetch_distance 0x1
	s_branch .LBB55_191
	.p2align	6
.LBB55_190:                             ;   in Loop: Header=BB55_191 Depth=1
	s_or_b32 exec_lo, exec_lo, s5
	s_delay_alu instid0(SALU_CYCLE_1) | instskip(NEXT) | instid1(SALU_CYCLE_1)
	s_and_b32 s0, exec_lo, s1
	s_or_b32 s2, s0, s2
	s_and_not1_b32 s0, s4, exec_lo
	s_and_b32 s4, s3, exec_lo
	s_delay_alu instid0(SALU_CYCLE_1)
	s_or_b32 s4, s0, s4
	s_and_not1_b32 exec_lo, exec_lo, s2
	s_cbranch_execz .LBB55_193
.LBB55_191:                             ; =>This Inner Loop Header: Depth=1
	v_cmp_lt_f64_e64 s0, v[3:4], v[1:2]
	s_delay_alu instid0(VALU_DEP_2) | instskip(SKIP_2) | instid1(VALU_DEP_1)
	s_and_b32 s5, vcc_lo, s4
	s_and_not1_b32 s3, s3, exec_lo
	s_or_b32 s1, s1, exec_lo
	s_or_b32 s0, s0, s5
	s_delay_alu instid0(SALU_CYCLE_1)
	s_and_saveexec_b32 s5, s0
	s_cbranch_execz .LBB55_190
; %bb.192:                              ;   in Loop: Header=BB55_191 Depth=1
	global_atomic_cmpswap_b64 v[5:6], v0, v[1:4], s[30:31] glc
	s_and_not1_b32 s3, s3, exec_lo
	s_and_not1_b32 s1, s1, exec_lo
	s_waitcnt vmcnt(0)
	v_cmp_eq_u64_e64 s0, v[5:6], v[3:4]
	s_delay_alu instid0(VALU_DEP_1) | instskip(SKIP_2) | instid1(SALU_CYCLE_1)
	v_cndmask_b32_e64 v4, v6, v4, s0
	v_cndmask_b32_e64 v3, v5, v3, s0
	s_and_b32 s0, s0, exec_lo
	s_or_b32 s1, s1, s0
	s_delay_alu instid0(VALU_DEP_1) | instskip(SKIP_1) | instid1(VALU_DEP_2)
	v_cmp_class_f64_e64 s4, v[3:4], 32
	v_dual_mov_b32 v3, v5 :: v_dual_mov_b32 v4, v6
	s_and_b32 s4, s4, exec_lo
	s_delay_alu instid0(SALU_CYCLE_1)
	s_or_b32 s3, s3, s4
                                        ; implicit-def: $sgpr4
	s_branch .LBB55_190
.LBB55_193:
	s_set_inst_prefetch_distance 0x2
	s_nop 0
	s_sendmsg sendmsg(MSG_DEALLOC_VGPRS)
	s_endpgm
	.section	.rodata,"a",@progbits
	.p2align	6, 0x0
	.amdhsa_kernel _ZN9rocsparseL6kernelILi1024ELi64E21rocsparse_complex_numIdEiiEEvbbbT3_PS3_NS_15floating_traitsIT1_E6data_tES3_T2_PKS9_SB_PKS3_PKS6_21rocsparse_index_base_SB_SB_SD_PS6_SH_SG_SB_SB_SD_SH_SH_SG_SH_SH_PS8_SI_PKS8_
		.amdhsa_group_segment_fixed_size 192
		.amdhsa_private_segment_fixed_size 0
		.amdhsa_kernarg_size 208
		.amdhsa_user_sgpr_count 15
		.amdhsa_user_sgpr_dispatch_ptr 0
		.amdhsa_user_sgpr_queue_ptr 0
		.amdhsa_user_sgpr_kernarg_segment_ptr 1
		.amdhsa_user_sgpr_dispatch_id 0
		.amdhsa_user_sgpr_private_segment_size 0
		.amdhsa_wavefront_size32 1
		.amdhsa_uses_dynamic_stack 0
		.amdhsa_enable_private_segment 0
		.amdhsa_system_sgpr_workgroup_id_x 1
		.amdhsa_system_sgpr_workgroup_id_y 0
		.amdhsa_system_sgpr_workgroup_id_z 0
		.amdhsa_system_sgpr_workgroup_info 0
		.amdhsa_system_vgpr_workitem_id 0
		.amdhsa_next_free_vgpr 60
		.amdhsa_next_free_sgpr 80
		.amdhsa_reserve_vcc 1
		.amdhsa_float_round_mode_32 0
		.amdhsa_float_round_mode_16_64 0
		.amdhsa_float_denorm_mode_32 3
		.amdhsa_float_denorm_mode_16_64 3
		.amdhsa_dx10_clamp 1
		.amdhsa_ieee_mode 1
		.amdhsa_fp16_overflow 0
		.amdhsa_workgroup_processor_mode 1
		.amdhsa_memory_ordered 1
		.amdhsa_forward_progress 0
		.amdhsa_shared_vgpr_count 0
		.amdhsa_exception_fp_ieee_invalid_op 0
		.amdhsa_exception_fp_denorm_src 0
		.amdhsa_exception_fp_ieee_div_zero 0
		.amdhsa_exception_fp_ieee_overflow 0
		.amdhsa_exception_fp_ieee_underflow 0
		.amdhsa_exception_fp_ieee_inexact 0
		.amdhsa_exception_int_div_zero 0
	.end_amdhsa_kernel
	.section	.text._ZN9rocsparseL6kernelILi1024ELi64E21rocsparse_complex_numIdEiiEEvbbbT3_PS3_NS_15floating_traitsIT1_E6data_tES3_T2_PKS9_SB_PKS3_PKS6_21rocsparse_index_base_SB_SB_SD_PS6_SH_SG_SB_SB_SD_SH_SH_SG_SH_SH_PS8_SI_PKS8_,"axG",@progbits,_ZN9rocsparseL6kernelILi1024ELi64E21rocsparse_complex_numIdEiiEEvbbbT3_PS3_NS_15floating_traitsIT1_E6data_tES3_T2_PKS9_SB_PKS3_PKS6_21rocsparse_index_base_SB_SB_SD_PS6_SH_SG_SB_SB_SD_SH_SH_SG_SH_SH_PS8_SI_PKS8_,comdat
.Lfunc_end55:
	.size	_ZN9rocsparseL6kernelILi1024ELi64E21rocsparse_complex_numIdEiiEEvbbbT3_PS3_NS_15floating_traitsIT1_E6data_tES3_T2_PKS9_SB_PKS3_PKS6_21rocsparse_index_base_SB_SB_SD_PS6_SH_SG_SB_SB_SD_SH_SH_SG_SH_SH_PS8_SI_PKS8_, .Lfunc_end55-_ZN9rocsparseL6kernelILi1024ELi64E21rocsparse_complex_numIdEiiEEvbbbT3_PS3_NS_15floating_traitsIT1_E6data_tES3_T2_PKS9_SB_PKS3_PKS6_21rocsparse_index_base_SB_SB_SD_PS6_SH_SG_SB_SB_SD_SH_SH_SG_SH_SH_PS8_SI_PKS8_
                                        ; -- End function
	.section	.AMDGPU.csdata,"",@progbits
; Kernel info:
; codeLenInByte = 11220
; NumSgprs: 82
; NumVgprs: 60
; ScratchSize: 0
; MemoryBound: 1
; FloatMode: 240
; IeeeMode: 1
; LDSByteSize: 192 bytes/workgroup (compile time only)
; SGPRBlocks: 10
; VGPRBlocks: 7
; NumSGPRsForWavesPerEU: 82
; NumVGPRsForWavesPerEU: 60
; Occupancy: 16
; WaveLimiterHint : 1
; COMPUTE_PGM_RSRC2:SCRATCH_EN: 0
; COMPUTE_PGM_RSRC2:USER_SGPR: 15
; COMPUTE_PGM_RSRC2:TRAP_HANDLER: 0
; COMPUTE_PGM_RSRC2:TGID_X_EN: 1
; COMPUTE_PGM_RSRC2:TGID_Y_EN: 0
; COMPUTE_PGM_RSRC2:TGID_Z_EN: 0
; COMPUTE_PGM_RSRC2:TIDIG_COMP_CNT: 0
	.text
	.p2alignl 7, 3214868480
	.fill 96, 4, 3214868480
	.type	__hip_cuid_b739788d3aba3da1,@object ; @__hip_cuid_b739788d3aba3da1
	.section	.bss,"aw",@nobits
	.globl	__hip_cuid_b739788d3aba3da1
__hip_cuid_b739788d3aba3da1:
	.byte	0                               ; 0x0
	.size	__hip_cuid_b739788d3aba3da1, 1

	.ident	"AMD clang version 19.0.0git (https://github.com/RadeonOpenCompute/llvm-project roc-6.4.0 25133 c7fe45cf4b819c5991fe208aaa96edf142730f1d)"
	.section	".note.GNU-stack","",@progbits
	.addrsig
	.addrsig_sym __hip_cuid_b739788d3aba3da1
	.amdgpu_metadata
---
amdhsa.kernels:
  - .args:
      - .offset:         0
        .size:           4
        .value_kind:     by_value
      - .offset:         4
        .size:           4
        .value_kind:     by_value
      - .offset:         8
        .size:           4
        .value_kind:     by_value
      - .actual_access:  read_only
        .address_space:  global
        .offset:         16
        .size:           8
        .value_kind:     global_buffer
      - .actual_access:  read_only
        .address_space:  global
        .offset:         24
        .size:           8
        .value_kind:     global_buffer
      - .actual_access:  read_only
        .address_space:  global
        .offset:         32
        .size:           8
        .value_kind:     global_buffer
      - .actual_access:  read_only
        .address_space:  global
        .offset:         40
        .size:           8
        .value_kind:     global_buffer
      - .offset:         48
        .size:           4
        .value_kind:     by_value
      - .actual_access:  read_only
        .address_space:  global
        .offset:         56
        .size:           8
        .value_kind:     global_buffer
      - .actual_access:  read_only
        .address_space:  global
        .offset:         64
        .size:           8
        .value_kind:     global_buffer
      - .actual_access:  read_only
        .address_space:  global
        .offset:         72
        .size:           8
        .value_kind:     global_buffer
      - .address_space:  global
        .offset:         80
        .size:           8
        .value_kind:     global_buffer
      - .address_space:  global
        .offset:         88
        .size:           8
        .value_kind:     global_buffer
      - .offset:         96
        .size:           4
        .value_kind:     by_value
      - .actual_access:  read_only
        .address_space:  global
        .offset:         104
        .size:           8
        .value_kind:     global_buffer
      - .actual_access:  read_only
        .address_space:  global
        .offset:         112
        .size:           8
        .value_kind:     global_buffer
      - .actual_access:  read_only
        .address_space:  global
        .offset:         120
        .size:           8
        .value_kind:     global_buffer
      - .address_space:  global
        .offset:         128
        .size:           8
        .value_kind:     global_buffer
      - .address_space:  global
        .offset:         136
        .size:           8
        .value_kind:     global_buffer
      - .offset:         144
        .size:           4
        .value_kind:     by_value
      - .address_space:  global
        .offset:         152
        .size:           8
        .value_kind:     global_buffer
      - .address_space:  global
        .offset:         160
        .size:           8
        .value_kind:     global_buffer
    .group_segment_fixed_size: 0
    .kernarg_segment_align: 8
    .kernarg_segment_size: 168
    .language:       OpenCL C
    .language_version:
      - 2
      - 0
    .max_flat_workgroup_size: 1024
    .name:           _ZN9rocsparseL14kernel_freerunILi1024ELi1EfiiEEvT3_S1_T2_PKS2_S4_PKS1_PKT1_21rocsparse_index_base_S4_S4_S6_PS7_SB_SA_S4_S4_S6_SB_SB_SA_SB_SB_
    .private_segment_fixed_size: 0
    .sgpr_count:     54
    .sgpr_spill_count: 0
    .symbol:         _ZN9rocsparseL14kernel_freerunILi1024ELi1EfiiEEvT3_S1_T2_PKS2_S4_PKS1_PKT1_21rocsparse_index_base_S4_S4_S6_PS7_SB_SA_S4_S4_S6_SB_SB_SA_SB_SB_.kd
    .uniform_work_group_size: 1
    .uses_dynamic_stack: false
    .vgpr_count:     34
    .vgpr_spill_count: 0
    .wavefront_size: 32
    .workgroup_processor_mode: 1
  - .args:
      - .offset:         0
        .size:           4
        .value_kind:     by_value
      - .offset:         4
        .size:           4
        .value_kind:     by_value
      - .offset:         8
        .size:           4
        .value_kind:     by_value
      - .actual_access:  read_only
        .address_space:  global
        .offset:         16
        .size:           8
        .value_kind:     global_buffer
      - .actual_access:  read_only
        .address_space:  global
        .offset:         24
        .size:           8
        .value_kind:     global_buffer
      - .actual_access:  read_only
        .address_space:  global
        .offset:         32
        .size:           8
        .value_kind:     global_buffer
      - .actual_access:  read_only
        .address_space:  global
        .offset:         40
        .size:           8
        .value_kind:     global_buffer
      - .offset:         48
        .size:           4
        .value_kind:     by_value
      - .actual_access:  read_only
        .address_space:  global
        .offset:         56
        .size:           8
        .value_kind:     global_buffer
      - .actual_access:  read_only
        .address_space:  global
        .offset:         64
        .size:           8
        .value_kind:     global_buffer
      - .actual_access:  read_only
        .address_space:  global
        .offset:         72
        .size:           8
        .value_kind:     global_buffer
      - .address_space:  global
        .offset:         80
        .size:           8
        .value_kind:     global_buffer
      - .address_space:  global
        .offset:         88
        .size:           8
        .value_kind:     global_buffer
      - .offset:         96
        .size:           4
        .value_kind:     by_value
      - .actual_access:  read_only
        .address_space:  global
        .offset:         104
        .size:           8
        .value_kind:     global_buffer
      - .actual_access:  read_only
        .address_space:  global
        .offset:         112
        .size:           8
        .value_kind:     global_buffer
      - .actual_access:  read_only
        .address_space:  global
        .offset:         120
        .size:           8
        .value_kind:     global_buffer
      - .address_space:  global
        .offset:         128
        .size:           8
        .value_kind:     global_buffer
      - .address_space:  global
        .offset:         136
        .size:           8
        .value_kind:     global_buffer
      - .offset:         144
        .size:           4
        .value_kind:     by_value
      - .address_space:  global
        .offset:         152
        .size:           8
        .value_kind:     global_buffer
      - .address_space:  global
        .offset:         160
        .size:           8
        .value_kind:     global_buffer
    .group_segment_fixed_size: 0
    .kernarg_segment_align: 8
    .kernarg_segment_size: 168
    .language:       OpenCL C
    .language_version:
      - 2
      - 0
    .max_flat_workgroup_size: 1024
    .name:           _ZN9rocsparseL14kernel_freerunILi1024ELi2EfiiEEvT3_S1_T2_PKS2_S4_PKS1_PKT1_21rocsparse_index_base_S4_S4_S6_PS7_SB_SA_S4_S4_S6_SB_SB_SA_SB_SB_
    .private_segment_fixed_size: 0
    .sgpr_count:     57
    .sgpr_spill_count: 0
    .symbol:         _ZN9rocsparseL14kernel_freerunILi1024ELi2EfiiEEvT3_S1_T2_PKS2_S4_PKS1_PKT1_21rocsparse_index_base_S4_S4_S6_PS7_SB_SA_S4_S4_S6_SB_SB_SA_SB_SB_.kd
    .uniform_work_group_size: 1
    .uses_dynamic_stack: false
    .vgpr_count:     53
    .vgpr_spill_count: 0
    .wavefront_size: 32
    .workgroup_processor_mode: 1
  - .args:
      - .offset:         0
        .size:           4
        .value_kind:     by_value
      - .offset:         4
        .size:           4
        .value_kind:     by_value
      - .offset:         8
        .size:           4
        .value_kind:     by_value
      - .actual_access:  read_only
        .address_space:  global
        .offset:         16
        .size:           8
        .value_kind:     global_buffer
      - .actual_access:  read_only
        .address_space:  global
        .offset:         24
        .size:           8
        .value_kind:     global_buffer
      - .actual_access:  read_only
        .address_space:  global
        .offset:         32
        .size:           8
        .value_kind:     global_buffer
      - .actual_access:  read_only
        .address_space:  global
        .offset:         40
        .size:           8
        .value_kind:     global_buffer
      - .offset:         48
        .size:           4
        .value_kind:     by_value
      - .actual_access:  read_only
        .address_space:  global
        .offset:         56
        .size:           8
        .value_kind:     global_buffer
      - .actual_access:  read_only
        .address_space:  global
        .offset:         64
        .size:           8
        .value_kind:     global_buffer
      - .actual_access:  read_only
        .address_space:  global
        .offset:         72
        .size:           8
        .value_kind:     global_buffer
      - .address_space:  global
        .offset:         80
        .size:           8
        .value_kind:     global_buffer
      - .address_space:  global
        .offset:         88
        .size:           8
        .value_kind:     global_buffer
      - .offset:         96
        .size:           4
        .value_kind:     by_value
      - .actual_access:  read_only
        .address_space:  global
        .offset:         104
        .size:           8
        .value_kind:     global_buffer
      - .actual_access:  read_only
        .address_space:  global
        .offset:         112
        .size:           8
        .value_kind:     global_buffer
      - .actual_access:  read_only
        .address_space:  global
        .offset:         120
        .size:           8
        .value_kind:     global_buffer
      - .address_space:  global
        .offset:         128
        .size:           8
        .value_kind:     global_buffer
      - .address_space:  global
        .offset:         136
        .size:           8
        .value_kind:     global_buffer
      - .offset:         144
        .size:           4
        .value_kind:     by_value
      - .address_space:  global
        .offset:         152
        .size:           8
        .value_kind:     global_buffer
      - .address_space:  global
        .offset:         160
        .size:           8
        .value_kind:     global_buffer
    .group_segment_fixed_size: 0
    .kernarg_segment_align: 8
    .kernarg_segment_size: 168
    .language:       OpenCL C
    .language_version:
      - 2
      - 0
    .max_flat_workgroup_size: 1024
    .name:           _ZN9rocsparseL14kernel_freerunILi1024ELi4EfiiEEvT3_S1_T2_PKS2_S4_PKS1_PKT1_21rocsparse_index_base_S4_S4_S6_PS7_SB_SA_S4_S4_S6_SB_SB_SA_SB_SB_
    .private_segment_fixed_size: 0
    .sgpr_count:     59
    .sgpr_spill_count: 0
    .symbol:         _ZN9rocsparseL14kernel_freerunILi1024ELi4EfiiEEvT3_S1_T2_PKS2_S4_PKS1_PKT1_21rocsparse_index_base_S4_S4_S6_PS7_SB_SA_S4_S4_S6_SB_SB_SA_SB_SB_.kd
    .uniform_work_group_size: 1
    .uses_dynamic_stack: false
    .vgpr_count:     37
    .vgpr_spill_count: 0
    .wavefront_size: 32
    .workgroup_processor_mode: 1
  - .args:
      - .offset:         0
        .size:           4
        .value_kind:     by_value
      - .offset:         4
        .size:           4
        .value_kind:     by_value
      - .offset:         8
        .size:           4
        .value_kind:     by_value
      - .actual_access:  read_only
        .address_space:  global
        .offset:         16
        .size:           8
        .value_kind:     global_buffer
      - .actual_access:  read_only
        .address_space:  global
        .offset:         24
        .size:           8
        .value_kind:     global_buffer
      - .actual_access:  read_only
        .address_space:  global
        .offset:         32
        .size:           8
        .value_kind:     global_buffer
      - .actual_access:  read_only
        .address_space:  global
        .offset:         40
        .size:           8
        .value_kind:     global_buffer
      - .offset:         48
        .size:           4
        .value_kind:     by_value
      - .actual_access:  read_only
        .address_space:  global
        .offset:         56
        .size:           8
        .value_kind:     global_buffer
      - .actual_access:  read_only
        .address_space:  global
        .offset:         64
        .size:           8
        .value_kind:     global_buffer
      - .actual_access:  read_only
        .address_space:  global
        .offset:         72
        .size:           8
        .value_kind:     global_buffer
      - .address_space:  global
        .offset:         80
        .size:           8
        .value_kind:     global_buffer
      - .address_space:  global
        .offset:         88
        .size:           8
        .value_kind:     global_buffer
      - .offset:         96
        .size:           4
        .value_kind:     by_value
      - .actual_access:  read_only
        .address_space:  global
        .offset:         104
        .size:           8
        .value_kind:     global_buffer
      - .actual_access:  read_only
        .address_space:  global
        .offset:         112
        .size:           8
        .value_kind:     global_buffer
      - .actual_access:  read_only
        .address_space:  global
        .offset:         120
        .size:           8
        .value_kind:     global_buffer
      - .address_space:  global
        .offset:         128
        .size:           8
        .value_kind:     global_buffer
      - .address_space:  global
        .offset:         136
        .size:           8
        .value_kind:     global_buffer
      - .offset:         144
        .size:           4
        .value_kind:     by_value
      - .address_space:  global
        .offset:         152
        .size:           8
        .value_kind:     global_buffer
      - .address_space:  global
        .offset:         160
        .size:           8
        .value_kind:     global_buffer
    .group_segment_fixed_size: 0
    .kernarg_segment_align: 8
    .kernarg_segment_size: 168
    .language:       OpenCL C
    .language_version:
      - 2
      - 0
    .max_flat_workgroup_size: 1024
    .name:           _ZN9rocsparseL14kernel_freerunILi1024ELi8EfiiEEvT3_S1_T2_PKS2_S4_PKS1_PKT1_21rocsparse_index_base_S4_S4_S6_PS7_SB_SA_S4_S4_S6_SB_SB_SA_SB_SB_
    .private_segment_fixed_size: 0
    .sgpr_count:     59
    .sgpr_spill_count: 0
    .symbol:         _ZN9rocsparseL14kernel_freerunILi1024ELi8EfiiEEvT3_S1_T2_PKS2_S4_PKS1_PKT1_21rocsparse_index_base_S4_S4_S6_PS7_SB_SA_S4_S4_S6_SB_SB_SA_SB_SB_.kd
    .uniform_work_group_size: 1
    .uses_dynamic_stack: false
    .vgpr_count:     37
    .vgpr_spill_count: 0
    .wavefront_size: 32
    .workgroup_processor_mode: 1
  - .args:
      - .offset:         0
        .size:           4
        .value_kind:     by_value
      - .offset:         4
        .size:           4
        .value_kind:     by_value
      - .offset:         8
        .size:           4
        .value_kind:     by_value
      - .actual_access:  read_only
        .address_space:  global
        .offset:         16
        .size:           8
        .value_kind:     global_buffer
      - .actual_access:  read_only
        .address_space:  global
        .offset:         24
        .size:           8
        .value_kind:     global_buffer
      - .actual_access:  read_only
        .address_space:  global
        .offset:         32
        .size:           8
        .value_kind:     global_buffer
      - .actual_access:  read_only
        .address_space:  global
        .offset:         40
        .size:           8
        .value_kind:     global_buffer
      - .offset:         48
        .size:           4
        .value_kind:     by_value
      - .actual_access:  read_only
        .address_space:  global
        .offset:         56
        .size:           8
        .value_kind:     global_buffer
      - .actual_access:  read_only
        .address_space:  global
        .offset:         64
        .size:           8
        .value_kind:     global_buffer
      - .actual_access:  read_only
        .address_space:  global
        .offset:         72
        .size:           8
        .value_kind:     global_buffer
      - .address_space:  global
        .offset:         80
        .size:           8
        .value_kind:     global_buffer
      - .address_space:  global
        .offset:         88
        .size:           8
        .value_kind:     global_buffer
      - .offset:         96
        .size:           4
        .value_kind:     by_value
      - .actual_access:  read_only
        .address_space:  global
        .offset:         104
        .size:           8
        .value_kind:     global_buffer
      - .actual_access:  read_only
        .address_space:  global
        .offset:         112
        .size:           8
        .value_kind:     global_buffer
      - .actual_access:  read_only
        .address_space:  global
        .offset:         120
        .size:           8
        .value_kind:     global_buffer
      - .address_space:  global
        .offset:         128
        .size:           8
        .value_kind:     global_buffer
      - .address_space:  global
        .offset:         136
        .size:           8
        .value_kind:     global_buffer
      - .offset:         144
        .size:           4
        .value_kind:     by_value
      - .address_space:  global
        .offset:         152
        .size:           8
        .value_kind:     global_buffer
      - .address_space:  global
        .offset:         160
        .size:           8
        .value_kind:     global_buffer
    .group_segment_fixed_size: 0
    .kernarg_segment_align: 8
    .kernarg_segment_size: 168
    .language:       OpenCL C
    .language_version:
      - 2
      - 0
    .max_flat_workgroup_size: 1024
    .name:           _ZN9rocsparseL14kernel_freerunILi1024ELi16EfiiEEvT3_S1_T2_PKS2_S4_PKS1_PKT1_21rocsparse_index_base_S4_S4_S6_PS7_SB_SA_S4_S4_S6_SB_SB_SA_SB_SB_
    .private_segment_fixed_size: 0
    .sgpr_count:     59
    .sgpr_spill_count: 0
    .symbol:         _ZN9rocsparseL14kernel_freerunILi1024ELi16EfiiEEvT3_S1_T2_PKS2_S4_PKS1_PKT1_21rocsparse_index_base_S4_S4_S6_PS7_SB_SA_S4_S4_S6_SB_SB_SA_SB_SB_.kd
    .uniform_work_group_size: 1
    .uses_dynamic_stack: false
    .vgpr_count:     37
    .vgpr_spill_count: 0
    .wavefront_size: 32
    .workgroup_processor_mode: 1
  - .args:
      - .offset:         0
        .size:           4
        .value_kind:     by_value
      - .offset:         4
        .size:           4
        .value_kind:     by_value
      - .offset:         8
        .size:           4
        .value_kind:     by_value
      - .actual_access:  read_only
        .address_space:  global
        .offset:         16
        .size:           8
        .value_kind:     global_buffer
      - .actual_access:  read_only
        .address_space:  global
        .offset:         24
        .size:           8
        .value_kind:     global_buffer
      - .actual_access:  read_only
        .address_space:  global
        .offset:         32
        .size:           8
        .value_kind:     global_buffer
      - .actual_access:  read_only
        .address_space:  global
        .offset:         40
        .size:           8
        .value_kind:     global_buffer
      - .offset:         48
        .size:           4
        .value_kind:     by_value
      - .actual_access:  read_only
        .address_space:  global
        .offset:         56
        .size:           8
        .value_kind:     global_buffer
      - .actual_access:  read_only
        .address_space:  global
        .offset:         64
        .size:           8
        .value_kind:     global_buffer
      - .actual_access:  read_only
        .address_space:  global
        .offset:         72
        .size:           8
        .value_kind:     global_buffer
      - .address_space:  global
        .offset:         80
        .size:           8
        .value_kind:     global_buffer
      - .address_space:  global
        .offset:         88
        .size:           8
        .value_kind:     global_buffer
      - .offset:         96
        .size:           4
        .value_kind:     by_value
      - .actual_access:  read_only
        .address_space:  global
        .offset:         104
        .size:           8
        .value_kind:     global_buffer
      - .actual_access:  read_only
        .address_space:  global
        .offset:         112
        .size:           8
        .value_kind:     global_buffer
      - .actual_access:  read_only
        .address_space:  global
        .offset:         120
        .size:           8
        .value_kind:     global_buffer
      - .address_space:  global
        .offset:         128
        .size:           8
        .value_kind:     global_buffer
      - .address_space:  global
        .offset:         136
        .size:           8
        .value_kind:     global_buffer
      - .offset:         144
        .size:           4
        .value_kind:     by_value
      - .address_space:  global
        .offset:         152
        .size:           8
        .value_kind:     global_buffer
      - .address_space:  global
        .offset:         160
        .size:           8
        .value_kind:     global_buffer
    .group_segment_fixed_size: 0
    .kernarg_segment_align: 8
    .kernarg_segment_size: 168
    .language:       OpenCL C
    .language_version:
      - 2
      - 0
    .max_flat_workgroup_size: 1024
    .name:           _ZN9rocsparseL14kernel_freerunILi1024ELi32EfiiEEvT3_S1_T2_PKS2_S4_PKS1_PKT1_21rocsparse_index_base_S4_S4_S6_PS7_SB_SA_S4_S4_S6_SB_SB_SA_SB_SB_
    .private_segment_fixed_size: 0
    .sgpr_count:     59
    .sgpr_spill_count: 0
    .symbol:         _ZN9rocsparseL14kernel_freerunILi1024ELi32EfiiEEvT3_S1_T2_PKS2_S4_PKS1_PKT1_21rocsparse_index_base_S4_S4_S6_PS7_SB_SA_S4_S4_S6_SB_SB_SA_SB_SB_.kd
    .uniform_work_group_size: 1
    .uses_dynamic_stack: false
    .vgpr_count:     37
    .vgpr_spill_count: 0
    .wavefront_size: 32
    .workgroup_processor_mode: 1
  - .args:
      - .offset:         0
        .size:           4
        .value_kind:     by_value
      - .offset:         4
        .size:           4
        .value_kind:     by_value
      - .offset:         8
        .size:           4
        .value_kind:     by_value
      - .actual_access:  read_only
        .address_space:  global
        .offset:         16
        .size:           8
        .value_kind:     global_buffer
      - .actual_access:  read_only
        .address_space:  global
        .offset:         24
        .size:           8
        .value_kind:     global_buffer
      - .actual_access:  read_only
        .address_space:  global
        .offset:         32
        .size:           8
        .value_kind:     global_buffer
      - .actual_access:  read_only
        .address_space:  global
        .offset:         40
        .size:           8
        .value_kind:     global_buffer
      - .offset:         48
        .size:           4
        .value_kind:     by_value
      - .actual_access:  read_only
        .address_space:  global
        .offset:         56
        .size:           8
        .value_kind:     global_buffer
      - .actual_access:  read_only
        .address_space:  global
        .offset:         64
        .size:           8
        .value_kind:     global_buffer
      - .actual_access:  read_only
        .address_space:  global
        .offset:         72
        .size:           8
        .value_kind:     global_buffer
      - .address_space:  global
        .offset:         80
        .size:           8
        .value_kind:     global_buffer
      - .address_space:  global
        .offset:         88
        .size:           8
        .value_kind:     global_buffer
      - .offset:         96
        .size:           4
        .value_kind:     by_value
      - .actual_access:  read_only
        .address_space:  global
        .offset:         104
        .size:           8
        .value_kind:     global_buffer
      - .actual_access:  read_only
        .address_space:  global
        .offset:         112
        .size:           8
        .value_kind:     global_buffer
      - .actual_access:  read_only
        .address_space:  global
        .offset:         120
        .size:           8
        .value_kind:     global_buffer
      - .address_space:  global
        .offset:         128
        .size:           8
        .value_kind:     global_buffer
      - .address_space:  global
        .offset:         136
        .size:           8
        .value_kind:     global_buffer
      - .offset:         144
        .size:           4
        .value_kind:     by_value
      - .address_space:  global
        .offset:         152
        .size:           8
        .value_kind:     global_buffer
      - .address_space:  global
        .offset:         160
        .size:           8
        .value_kind:     global_buffer
    .group_segment_fixed_size: 0
    .kernarg_segment_align: 8
    .kernarg_segment_size: 168
    .language:       OpenCL C
    .language_version:
      - 2
      - 0
    .max_flat_workgroup_size: 1024
    .name:           _ZN9rocsparseL14kernel_freerunILi1024ELi64EfiiEEvT3_S1_T2_PKS2_S4_PKS1_PKT1_21rocsparse_index_base_S4_S4_S6_PS7_SB_SA_S4_S4_S6_SB_SB_SA_SB_SB_
    .private_segment_fixed_size: 0
    .sgpr_count:     59
    .sgpr_spill_count: 0
    .symbol:         _ZN9rocsparseL14kernel_freerunILi1024ELi64EfiiEEvT3_S1_T2_PKS2_S4_PKS1_PKT1_21rocsparse_index_base_S4_S4_S6_PS7_SB_SA_S4_S4_S6_SB_SB_SA_SB_SB_.kd
    .uniform_work_group_size: 1
    .uses_dynamic_stack: false
    .vgpr_count:     37
    .vgpr_spill_count: 0
    .wavefront_size: 32
    .workgroup_processor_mode: 1
  - .args:
      - .offset:         0
        .size:           1
        .value_kind:     by_value
      - .offset:         1
        .size:           1
        .value_kind:     by_value
      - .offset:         2
        .size:           1
        .value_kind:     by_value
      - .offset:         4
        .size:           4
        .value_kind:     by_value
      - .address_space:  global
        .offset:         8
        .size:           8
        .value_kind:     global_buffer
      - .offset:         16
        .size:           4
        .value_kind:     by_value
      - .offset:         20
        .size:           4
        .value_kind:     by_value
      - .offset:         24
        .size:           4
        .value_kind:     by_value
      - .actual_access:  read_only
        .address_space:  global
        .offset:         32
        .size:           8
        .value_kind:     global_buffer
      - .actual_access:  read_only
        .address_space:  global
        .offset:         40
        .size:           8
        .value_kind:     global_buffer
      - .actual_access:  read_only
        .address_space:  global
        .offset:         48
        .size:           8
        .value_kind:     global_buffer
      - .actual_access:  read_only
        .address_space:  global
        .offset:         56
        .size:           8
        .value_kind:     global_buffer
      - .offset:         64
        .size:           4
        .value_kind:     by_value
      - .actual_access:  read_only
        .address_space:  global
        .offset:         72
        .size:           8
        .value_kind:     global_buffer
      - .actual_access:  read_only
        .address_space:  global
        .offset:         80
        .size:           8
        .value_kind:     global_buffer
      - .actual_access:  read_only
        .address_space:  global
        .offset:         88
        .size:           8
        .value_kind:     global_buffer
      - .address_space:  global
        .offset:         96
        .size:           8
        .value_kind:     global_buffer
      - .address_space:  global
        .offset:         104
        .size:           8
        .value_kind:     global_buffer
      - .offset:         112
        .size:           4
        .value_kind:     by_value
      - .actual_access:  read_only
        .address_space:  global
        .offset:         120
        .size:           8
        .value_kind:     global_buffer
      - .actual_access:  read_only
        .address_space:  global
        .offset:         128
        .size:           8
        .value_kind:     global_buffer
      - .actual_access:  read_only
        .address_space:  global
        .offset:         136
        .size:           8
        .value_kind:     global_buffer
      - .address_space:  global
        .offset:         144
        .size:           8
        .value_kind:     global_buffer
      - .address_space:  global
        .offset:         152
        .size:           8
        .value_kind:     global_buffer
      - .offset:         160
        .size:           4
        .value_kind:     by_value
      - .address_space:  global
        .offset:         168
        .size:           8
        .value_kind:     global_buffer
      - .address_space:  global
        .offset:         176
        .size:           8
        .value_kind:     global_buffer
      - .address_space:  global
        .offset:         184
        .size:           8
        .value_kind:     global_buffer
      - .address_space:  global
        .offset:         192
        .size:           8
        .value_kind:     global_buffer
      - .actual_access:  read_only
        .address_space:  global
        .offset:         200
        .size:           8
        .value_kind:     global_buffer
    .group_segment_fixed_size: 8192
    .kernarg_segment_align: 8
    .kernarg_segment_size: 208
    .language:       OpenCL C
    .language_version:
      - 2
      - 0
    .max_flat_workgroup_size: 1024
    .name:           _ZN9rocsparseL6kernelILi1024ELi1EfiiEEvbbbT3_PS1_NS_15floating_traitsIT1_E6data_tES1_T2_PKS7_S9_PKS1_PKS4_21rocsparse_index_base_S9_S9_SB_PS4_SF_SE_S9_S9_SB_SF_SF_SE_SF_SF_PS6_SG_PKS6_
    .private_segment_fixed_size: 0
    .sgpr_count:     80
    .sgpr_spill_count: 0
    .symbol:         _ZN9rocsparseL6kernelILi1024ELi1EfiiEEvbbbT3_PS1_NS_15floating_traitsIT1_E6data_tES1_T2_PKS7_S9_PKS1_PKS4_21rocsparse_index_base_S9_S9_SB_PS4_SF_SE_S9_S9_SB_SF_SF_SE_SF_SF_PS6_SG_PKS6_.kd
    .uniform_work_group_size: 1
    .uses_dynamic_stack: false
    .vgpr_count:     39
    .vgpr_spill_count: 0
    .wavefront_size: 32
    .workgroup_processor_mode: 1
  - .args:
      - .offset:         0
        .size:           1
        .value_kind:     by_value
      - .offset:         1
        .size:           1
        .value_kind:     by_value
      - .offset:         2
        .size:           1
        .value_kind:     by_value
      - .offset:         4
        .size:           4
        .value_kind:     by_value
      - .address_space:  global
        .offset:         8
        .size:           8
        .value_kind:     global_buffer
      - .offset:         16
        .size:           4
        .value_kind:     by_value
      - .offset:         20
        .size:           4
        .value_kind:     by_value
      - .offset:         24
        .size:           4
        .value_kind:     by_value
      - .actual_access:  read_only
        .address_space:  global
        .offset:         32
        .size:           8
        .value_kind:     global_buffer
      - .actual_access:  read_only
        .address_space:  global
        .offset:         40
        .size:           8
        .value_kind:     global_buffer
      - .actual_access:  read_only
        .address_space:  global
        .offset:         48
        .size:           8
        .value_kind:     global_buffer
      - .actual_access:  read_only
        .address_space:  global
        .offset:         56
        .size:           8
        .value_kind:     global_buffer
      - .offset:         64
        .size:           4
        .value_kind:     by_value
      - .actual_access:  read_only
        .address_space:  global
        .offset:         72
        .size:           8
        .value_kind:     global_buffer
      - .actual_access:  read_only
        .address_space:  global
        .offset:         80
        .size:           8
        .value_kind:     global_buffer
      - .actual_access:  read_only
        .address_space:  global
        .offset:         88
        .size:           8
        .value_kind:     global_buffer
      - .address_space:  global
        .offset:         96
        .size:           8
        .value_kind:     global_buffer
      - .address_space:  global
        .offset:         104
        .size:           8
        .value_kind:     global_buffer
      - .offset:         112
        .size:           4
        .value_kind:     by_value
      - .actual_access:  read_only
        .address_space:  global
        .offset:         120
        .size:           8
        .value_kind:     global_buffer
      - .actual_access:  read_only
        .address_space:  global
        .offset:         128
        .size:           8
        .value_kind:     global_buffer
      - .actual_access:  read_only
        .address_space:  global
        .offset:         136
        .size:           8
        .value_kind:     global_buffer
      - .address_space:  global
        .offset:         144
        .size:           8
        .value_kind:     global_buffer
      - .address_space:  global
        .offset:         152
        .size:           8
        .value_kind:     global_buffer
      - .offset:         160
        .size:           4
        .value_kind:     by_value
      - .address_space:  global
        .offset:         168
        .size:           8
        .value_kind:     global_buffer
      - .address_space:  global
        .offset:         176
        .size:           8
        .value_kind:     global_buffer
      - .address_space:  global
        .offset:         184
        .size:           8
        .value_kind:     global_buffer
      - .address_space:  global
        .offset:         192
        .size:           8
        .value_kind:     global_buffer
      - .actual_access:  read_only
        .address_space:  global
        .offset:         200
        .size:           8
        .value_kind:     global_buffer
    .group_segment_fixed_size: 4096
    .kernarg_segment_align: 8
    .kernarg_segment_size: 208
    .language:       OpenCL C
    .language_version:
      - 2
      - 0
    .max_flat_workgroup_size: 1024
    .name:           _ZN9rocsparseL6kernelILi1024ELi2EfiiEEvbbbT3_PS1_NS_15floating_traitsIT1_E6data_tES1_T2_PKS7_S9_PKS1_PKS4_21rocsparse_index_base_S9_S9_SB_PS4_SF_SE_S9_S9_SB_SF_SF_SE_SF_SF_PS6_SG_PKS6_
    .private_segment_fixed_size: 0
    .sgpr_count:     86
    .sgpr_spill_count: 0
    .symbol:         _ZN9rocsparseL6kernelILi1024ELi2EfiiEEvbbbT3_PS1_NS_15floating_traitsIT1_E6data_tES1_T2_PKS7_S9_PKS1_PKS4_21rocsparse_index_base_S9_S9_SB_PS4_SF_SE_S9_S9_SB_SF_SF_SE_SF_SF_PS6_SG_PKS6_.kd
    .uniform_work_group_size: 1
    .uses_dynamic_stack: false
    .vgpr_count:     46
    .vgpr_spill_count: 0
    .wavefront_size: 32
    .workgroup_processor_mode: 1
  - .args:
      - .offset:         0
        .size:           1
        .value_kind:     by_value
      - .offset:         1
        .size:           1
        .value_kind:     by_value
      - .offset:         2
        .size:           1
        .value_kind:     by_value
      - .offset:         4
        .size:           4
        .value_kind:     by_value
      - .address_space:  global
        .offset:         8
        .size:           8
        .value_kind:     global_buffer
      - .offset:         16
        .size:           4
        .value_kind:     by_value
      - .offset:         20
        .size:           4
        .value_kind:     by_value
      - .offset:         24
        .size:           4
        .value_kind:     by_value
      - .actual_access:  read_only
        .address_space:  global
        .offset:         32
        .size:           8
        .value_kind:     global_buffer
      - .actual_access:  read_only
        .address_space:  global
        .offset:         40
        .size:           8
        .value_kind:     global_buffer
      - .actual_access:  read_only
        .address_space:  global
        .offset:         48
        .size:           8
        .value_kind:     global_buffer
      - .actual_access:  read_only
        .address_space:  global
        .offset:         56
        .size:           8
        .value_kind:     global_buffer
      - .offset:         64
        .size:           4
        .value_kind:     by_value
      - .actual_access:  read_only
        .address_space:  global
        .offset:         72
        .size:           8
        .value_kind:     global_buffer
      - .actual_access:  read_only
        .address_space:  global
        .offset:         80
        .size:           8
        .value_kind:     global_buffer
      - .actual_access:  read_only
        .address_space:  global
        .offset:         88
        .size:           8
        .value_kind:     global_buffer
      - .address_space:  global
        .offset:         96
        .size:           8
        .value_kind:     global_buffer
      - .address_space:  global
        .offset:         104
        .size:           8
        .value_kind:     global_buffer
      - .offset:         112
        .size:           4
        .value_kind:     by_value
      - .actual_access:  read_only
        .address_space:  global
        .offset:         120
        .size:           8
        .value_kind:     global_buffer
      - .actual_access:  read_only
        .address_space:  global
        .offset:         128
        .size:           8
        .value_kind:     global_buffer
      - .actual_access:  read_only
        .address_space:  global
        .offset:         136
        .size:           8
        .value_kind:     global_buffer
      - .address_space:  global
        .offset:         144
        .size:           8
        .value_kind:     global_buffer
      - .address_space:  global
        .offset:         152
        .size:           8
        .value_kind:     global_buffer
      - .offset:         160
        .size:           4
        .value_kind:     by_value
      - .address_space:  global
        .offset:         168
        .size:           8
        .value_kind:     global_buffer
      - .address_space:  global
        .offset:         176
        .size:           8
        .value_kind:     global_buffer
      - .address_space:  global
        .offset:         184
        .size:           8
        .value_kind:     global_buffer
      - .address_space:  global
        .offset:         192
        .size:           8
        .value_kind:     global_buffer
      - .actual_access:  read_only
        .address_space:  global
        .offset:         200
        .size:           8
        .value_kind:     global_buffer
    .group_segment_fixed_size: 2048
    .kernarg_segment_align: 8
    .kernarg_segment_size: 208
    .language:       OpenCL C
    .language_version:
      - 2
      - 0
    .max_flat_workgroup_size: 1024
    .name:           _ZN9rocsparseL6kernelILi1024ELi4EfiiEEvbbbT3_PS1_NS_15floating_traitsIT1_E6data_tES1_T2_PKS7_S9_PKS1_PKS4_21rocsparse_index_base_S9_S9_SB_PS4_SF_SE_S9_S9_SB_SF_SF_SE_SF_SF_PS6_SG_PKS6_
    .private_segment_fixed_size: 0
    .sgpr_count:     85
    .sgpr_spill_count: 0
    .symbol:         _ZN9rocsparseL6kernelILi1024ELi4EfiiEEvbbbT3_PS1_NS_15floating_traitsIT1_E6data_tES1_T2_PKS7_S9_PKS1_PKS4_21rocsparse_index_base_S9_S9_SB_PS4_SF_SE_S9_S9_SB_SF_SF_SE_SF_SF_PS6_SG_PKS6_.kd
    .uniform_work_group_size: 1
    .uses_dynamic_stack: false
    .vgpr_count:     46
    .vgpr_spill_count: 0
    .wavefront_size: 32
    .workgroup_processor_mode: 1
  - .args:
      - .offset:         0
        .size:           1
        .value_kind:     by_value
      - .offset:         1
        .size:           1
        .value_kind:     by_value
      - .offset:         2
        .size:           1
        .value_kind:     by_value
      - .offset:         4
        .size:           4
        .value_kind:     by_value
      - .address_space:  global
        .offset:         8
        .size:           8
        .value_kind:     global_buffer
      - .offset:         16
        .size:           4
        .value_kind:     by_value
      - .offset:         20
        .size:           4
        .value_kind:     by_value
      - .offset:         24
        .size:           4
        .value_kind:     by_value
      - .actual_access:  read_only
        .address_space:  global
        .offset:         32
        .size:           8
        .value_kind:     global_buffer
      - .actual_access:  read_only
        .address_space:  global
        .offset:         40
        .size:           8
        .value_kind:     global_buffer
      - .actual_access:  read_only
        .address_space:  global
        .offset:         48
        .size:           8
        .value_kind:     global_buffer
      - .actual_access:  read_only
        .address_space:  global
        .offset:         56
        .size:           8
        .value_kind:     global_buffer
      - .offset:         64
        .size:           4
        .value_kind:     by_value
      - .actual_access:  read_only
        .address_space:  global
        .offset:         72
        .size:           8
        .value_kind:     global_buffer
      - .actual_access:  read_only
        .address_space:  global
        .offset:         80
        .size:           8
        .value_kind:     global_buffer
      - .actual_access:  read_only
        .address_space:  global
        .offset:         88
        .size:           8
        .value_kind:     global_buffer
      - .address_space:  global
        .offset:         96
        .size:           8
        .value_kind:     global_buffer
      - .address_space:  global
        .offset:         104
        .size:           8
        .value_kind:     global_buffer
      - .offset:         112
        .size:           4
        .value_kind:     by_value
      - .actual_access:  read_only
        .address_space:  global
        .offset:         120
        .size:           8
        .value_kind:     global_buffer
      - .actual_access:  read_only
        .address_space:  global
        .offset:         128
        .size:           8
        .value_kind:     global_buffer
      - .actual_access:  read_only
        .address_space:  global
        .offset:         136
        .size:           8
        .value_kind:     global_buffer
      - .address_space:  global
        .offset:         144
        .size:           8
        .value_kind:     global_buffer
      - .address_space:  global
        .offset:         152
        .size:           8
        .value_kind:     global_buffer
      - .offset:         160
        .size:           4
        .value_kind:     by_value
      - .address_space:  global
        .offset:         168
        .size:           8
        .value_kind:     global_buffer
      - .address_space:  global
        .offset:         176
        .size:           8
        .value_kind:     global_buffer
      - .address_space:  global
        .offset:         184
        .size:           8
        .value_kind:     global_buffer
      - .address_space:  global
        .offset:         192
        .size:           8
        .value_kind:     global_buffer
      - .actual_access:  read_only
        .address_space:  global
        .offset:         200
        .size:           8
        .value_kind:     global_buffer
    .group_segment_fixed_size: 1024
    .kernarg_segment_align: 8
    .kernarg_segment_size: 208
    .language:       OpenCL C
    .language_version:
      - 2
      - 0
    .max_flat_workgroup_size: 1024
    .name:           _ZN9rocsparseL6kernelILi1024ELi8EfiiEEvbbbT3_PS1_NS_15floating_traitsIT1_E6data_tES1_T2_PKS7_S9_PKS1_PKS4_21rocsparse_index_base_S9_S9_SB_PS4_SF_SE_S9_S9_SB_SF_SF_SE_SF_SF_PS6_SG_PKS6_
    .private_segment_fixed_size: 0
    .sgpr_count:     84
    .sgpr_spill_count: 0
    .symbol:         _ZN9rocsparseL6kernelILi1024ELi8EfiiEEvbbbT3_PS1_NS_15floating_traitsIT1_E6data_tES1_T2_PKS7_S9_PKS1_PKS4_21rocsparse_index_base_S9_S9_SB_PS4_SF_SE_S9_S9_SB_SF_SF_SE_SF_SF_PS6_SG_PKS6_.kd
    .uniform_work_group_size: 1
    .uses_dynamic_stack: false
    .vgpr_count:     46
    .vgpr_spill_count: 0
    .wavefront_size: 32
    .workgroup_processor_mode: 1
  - .args:
      - .offset:         0
        .size:           1
        .value_kind:     by_value
      - .offset:         1
        .size:           1
        .value_kind:     by_value
      - .offset:         2
        .size:           1
        .value_kind:     by_value
      - .offset:         4
        .size:           4
        .value_kind:     by_value
      - .address_space:  global
        .offset:         8
        .size:           8
        .value_kind:     global_buffer
      - .offset:         16
        .size:           4
        .value_kind:     by_value
      - .offset:         20
        .size:           4
        .value_kind:     by_value
      - .offset:         24
        .size:           4
        .value_kind:     by_value
      - .actual_access:  read_only
        .address_space:  global
        .offset:         32
        .size:           8
        .value_kind:     global_buffer
      - .actual_access:  read_only
        .address_space:  global
        .offset:         40
        .size:           8
        .value_kind:     global_buffer
      - .actual_access:  read_only
        .address_space:  global
        .offset:         48
        .size:           8
        .value_kind:     global_buffer
      - .actual_access:  read_only
        .address_space:  global
        .offset:         56
        .size:           8
        .value_kind:     global_buffer
      - .offset:         64
        .size:           4
        .value_kind:     by_value
      - .actual_access:  read_only
        .address_space:  global
        .offset:         72
        .size:           8
        .value_kind:     global_buffer
      - .actual_access:  read_only
        .address_space:  global
        .offset:         80
        .size:           8
        .value_kind:     global_buffer
      - .actual_access:  read_only
        .address_space:  global
        .offset:         88
        .size:           8
        .value_kind:     global_buffer
      - .address_space:  global
        .offset:         96
        .size:           8
        .value_kind:     global_buffer
      - .address_space:  global
        .offset:         104
        .size:           8
        .value_kind:     global_buffer
      - .offset:         112
        .size:           4
        .value_kind:     by_value
      - .actual_access:  read_only
        .address_space:  global
        .offset:         120
        .size:           8
        .value_kind:     global_buffer
      - .actual_access:  read_only
        .address_space:  global
        .offset:         128
        .size:           8
        .value_kind:     global_buffer
      - .actual_access:  read_only
        .address_space:  global
        .offset:         136
        .size:           8
        .value_kind:     global_buffer
      - .address_space:  global
        .offset:         144
        .size:           8
        .value_kind:     global_buffer
      - .address_space:  global
        .offset:         152
        .size:           8
        .value_kind:     global_buffer
      - .offset:         160
        .size:           4
        .value_kind:     by_value
      - .address_space:  global
        .offset:         168
        .size:           8
        .value_kind:     global_buffer
      - .address_space:  global
        .offset:         176
        .size:           8
        .value_kind:     global_buffer
      - .address_space:  global
        .offset:         184
        .size:           8
        .value_kind:     global_buffer
      - .address_space:  global
        .offset:         192
        .size:           8
        .value_kind:     global_buffer
      - .actual_access:  read_only
        .address_space:  global
        .offset:         200
        .size:           8
        .value_kind:     global_buffer
    .group_segment_fixed_size: 512
    .kernarg_segment_align: 8
    .kernarg_segment_size: 208
    .language:       OpenCL C
    .language_version:
      - 2
      - 0
    .max_flat_workgroup_size: 1024
    .name:           _ZN9rocsparseL6kernelILi1024ELi16EfiiEEvbbbT3_PS1_NS_15floating_traitsIT1_E6data_tES1_T2_PKS7_S9_PKS1_PKS4_21rocsparse_index_base_S9_S9_SB_PS4_SF_SE_S9_S9_SB_SF_SF_SE_SF_SF_PS6_SG_PKS6_
    .private_segment_fixed_size: 0
    .sgpr_count:     83
    .sgpr_spill_count: 0
    .symbol:         _ZN9rocsparseL6kernelILi1024ELi16EfiiEEvbbbT3_PS1_NS_15floating_traitsIT1_E6data_tES1_T2_PKS7_S9_PKS1_PKS4_21rocsparse_index_base_S9_S9_SB_PS4_SF_SE_S9_S9_SB_SF_SF_SE_SF_SF_PS6_SG_PKS6_.kd
    .uniform_work_group_size: 1
    .uses_dynamic_stack: false
    .vgpr_count:     46
    .vgpr_spill_count: 0
    .wavefront_size: 32
    .workgroup_processor_mode: 1
  - .args:
      - .offset:         0
        .size:           1
        .value_kind:     by_value
      - .offset:         1
        .size:           1
        .value_kind:     by_value
      - .offset:         2
        .size:           1
        .value_kind:     by_value
      - .offset:         4
        .size:           4
        .value_kind:     by_value
      - .address_space:  global
        .offset:         8
        .size:           8
        .value_kind:     global_buffer
      - .offset:         16
        .size:           4
        .value_kind:     by_value
      - .offset:         20
        .size:           4
        .value_kind:     by_value
      - .offset:         24
        .size:           4
        .value_kind:     by_value
      - .actual_access:  read_only
        .address_space:  global
        .offset:         32
        .size:           8
        .value_kind:     global_buffer
      - .actual_access:  read_only
        .address_space:  global
        .offset:         40
        .size:           8
        .value_kind:     global_buffer
      - .actual_access:  read_only
        .address_space:  global
        .offset:         48
        .size:           8
        .value_kind:     global_buffer
      - .actual_access:  read_only
        .address_space:  global
        .offset:         56
        .size:           8
        .value_kind:     global_buffer
      - .offset:         64
        .size:           4
        .value_kind:     by_value
      - .actual_access:  read_only
        .address_space:  global
        .offset:         72
        .size:           8
        .value_kind:     global_buffer
      - .actual_access:  read_only
        .address_space:  global
        .offset:         80
        .size:           8
        .value_kind:     global_buffer
      - .actual_access:  read_only
        .address_space:  global
        .offset:         88
        .size:           8
        .value_kind:     global_buffer
      - .address_space:  global
        .offset:         96
        .size:           8
        .value_kind:     global_buffer
      - .address_space:  global
        .offset:         104
        .size:           8
        .value_kind:     global_buffer
      - .offset:         112
        .size:           4
        .value_kind:     by_value
      - .actual_access:  read_only
        .address_space:  global
        .offset:         120
        .size:           8
        .value_kind:     global_buffer
      - .actual_access:  read_only
        .address_space:  global
        .offset:         128
        .size:           8
        .value_kind:     global_buffer
      - .actual_access:  read_only
        .address_space:  global
        .offset:         136
        .size:           8
        .value_kind:     global_buffer
      - .address_space:  global
        .offset:         144
        .size:           8
        .value_kind:     global_buffer
      - .address_space:  global
        .offset:         152
        .size:           8
        .value_kind:     global_buffer
      - .offset:         160
        .size:           4
        .value_kind:     by_value
      - .address_space:  global
        .offset:         168
        .size:           8
        .value_kind:     global_buffer
      - .address_space:  global
        .offset:         176
        .size:           8
        .value_kind:     global_buffer
      - .address_space:  global
        .offset:         184
        .size:           8
        .value_kind:     global_buffer
      - .address_space:  global
        .offset:         192
        .size:           8
        .value_kind:     global_buffer
      - .actual_access:  read_only
        .address_space:  global
        .offset:         200
        .size:           8
        .value_kind:     global_buffer
    .group_segment_fixed_size: 256
    .kernarg_segment_align: 8
    .kernarg_segment_size: 208
    .language:       OpenCL C
    .language_version:
      - 2
      - 0
    .max_flat_workgroup_size: 1024
    .name:           _ZN9rocsparseL6kernelILi1024ELi32EfiiEEvbbbT3_PS1_NS_15floating_traitsIT1_E6data_tES1_T2_PKS7_S9_PKS1_PKS4_21rocsparse_index_base_S9_S9_SB_PS4_SF_SE_S9_S9_SB_SF_SF_SE_SF_SF_PS6_SG_PKS6_
    .private_segment_fixed_size: 0
    .sgpr_count:     82
    .sgpr_spill_count: 0
    .symbol:         _ZN9rocsparseL6kernelILi1024ELi32EfiiEEvbbbT3_PS1_NS_15floating_traitsIT1_E6data_tES1_T2_PKS7_S9_PKS1_PKS4_21rocsparse_index_base_S9_S9_SB_PS4_SF_SE_S9_S9_SB_SF_SF_SE_SF_SF_PS6_SG_PKS6_.kd
    .uniform_work_group_size: 1
    .uses_dynamic_stack: false
    .vgpr_count:     46
    .vgpr_spill_count: 0
    .wavefront_size: 32
    .workgroup_processor_mode: 1
  - .args:
      - .offset:         0
        .size:           1
        .value_kind:     by_value
      - .offset:         1
        .size:           1
        .value_kind:     by_value
      - .offset:         2
        .size:           1
        .value_kind:     by_value
      - .offset:         4
        .size:           4
        .value_kind:     by_value
      - .address_space:  global
        .offset:         8
        .size:           8
        .value_kind:     global_buffer
      - .offset:         16
        .size:           4
        .value_kind:     by_value
      - .offset:         20
        .size:           4
        .value_kind:     by_value
      - .offset:         24
        .size:           4
        .value_kind:     by_value
      - .actual_access:  read_only
        .address_space:  global
        .offset:         32
        .size:           8
        .value_kind:     global_buffer
      - .actual_access:  read_only
        .address_space:  global
        .offset:         40
        .size:           8
        .value_kind:     global_buffer
      - .actual_access:  read_only
        .address_space:  global
        .offset:         48
        .size:           8
        .value_kind:     global_buffer
      - .actual_access:  read_only
        .address_space:  global
        .offset:         56
        .size:           8
        .value_kind:     global_buffer
      - .offset:         64
        .size:           4
        .value_kind:     by_value
      - .actual_access:  read_only
        .address_space:  global
        .offset:         72
        .size:           8
        .value_kind:     global_buffer
      - .actual_access:  read_only
        .address_space:  global
        .offset:         80
        .size:           8
        .value_kind:     global_buffer
      - .actual_access:  read_only
        .address_space:  global
        .offset:         88
        .size:           8
        .value_kind:     global_buffer
      - .address_space:  global
        .offset:         96
        .size:           8
        .value_kind:     global_buffer
      - .address_space:  global
        .offset:         104
        .size:           8
        .value_kind:     global_buffer
      - .offset:         112
        .size:           4
        .value_kind:     by_value
      - .actual_access:  read_only
        .address_space:  global
        .offset:         120
        .size:           8
        .value_kind:     global_buffer
      - .actual_access:  read_only
        .address_space:  global
        .offset:         128
        .size:           8
        .value_kind:     global_buffer
      - .actual_access:  read_only
        .address_space:  global
        .offset:         136
        .size:           8
        .value_kind:     global_buffer
      - .address_space:  global
        .offset:         144
        .size:           8
        .value_kind:     global_buffer
      - .address_space:  global
        .offset:         152
        .size:           8
        .value_kind:     global_buffer
      - .offset:         160
        .size:           4
        .value_kind:     by_value
      - .address_space:  global
        .offset:         168
        .size:           8
        .value_kind:     global_buffer
      - .address_space:  global
        .offset:         176
        .size:           8
        .value_kind:     global_buffer
      - .address_space:  global
        .offset:         184
        .size:           8
        .value_kind:     global_buffer
      - .address_space:  global
        .offset:         192
        .size:           8
        .value_kind:     global_buffer
      - .actual_access:  read_only
        .address_space:  global
        .offset:         200
        .size:           8
        .value_kind:     global_buffer
    .group_segment_fixed_size: 128
    .kernarg_segment_align: 8
    .kernarg_segment_size: 208
    .language:       OpenCL C
    .language_version:
      - 2
      - 0
    .max_flat_workgroup_size: 1024
    .name:           _ZN9rocsparseL6kernelILi1024ELi64EfiiEEvbbbT3_PS1_NS_15floating_traitsIT1_E6data_tES1_T2_PKS7_S9_PKS1_PKS4_21rocsparse_index_base_S9_S9_SB_PS4_SF_SE_S9_S9_SB_SF_SF_SE_SF_SF_PS6_SG_PKS6_
    .private_segment_fixed_size: 0
    .sgpr_count:     81
    .sgpr_spill_count: 0
    .symbol:         _ZN9rocsparseL6kernelILi1024ELi64EfiiEEvbbbT3_PS1_NS_15floating_traitsIT1_E6data_tES1_T2_PKS7_S9_PKS1_PKS4_21rocsparse_index_base_S9_S9_SB_PS4_SF_SE_S9_S9_SB_SF_SF_SE_SF_SF_PS6_SG_PKS6_.kd
    .uniform_work_group_size: 1
    .uses_dynamic_stack: false
    .vgpr_count:     46
    .vgpr_spill_count: 0
    .wavefront_size: 32
    .workgroup_processor_mode: 1
  - .args:
      - .offset:         0
        .size:           4
        .value_kind:     by_value
      - .offset:         4
        .size:           4
        .value_kind:     by_value
      - .offset:         8
        .size:           4
        .value_kind:     by_value
      - .actual_access:  read_only
        .address_space:  global
        .offset:         16
        .size:           8
        .value_kind:     global_buffer
      - .actual_access:  read_only
        .address_space:  global
        .offset:         24
        .size:           8
        .value_kind:     global_buffer
      - .actual_access:  read_only
        .address_space:  global
        .offset:         32
        .size:           8
        .value_kind:     global_buffer
      - .actual_access:  read_only
        .address_space:  global
        .offset:         40
        .size:           8
        .value_kind:     global_buffer
      - .offset:         48
        .size:           4
        .value_kind:     by_value
      - .actual_access:  read_only
        .address_space:  global
        .offset:         56
        .size:           8
        .value_kind:     global_buffer
      - .actual_access:  read_only
        .address_space:  global
        .offset:         64
        .size:           8
        .value_kind:     global_buffer
      - .actual_access:  read_only
        .address_space:  global
        .offset:         72
        .size:           8
        .value_kind:     global_buffer
      - .address_space:  global
        .offset:         80
        .size:           8
        .value_kind:     global_buffer
      - .address_space:  global
        .offset:         88
        .size:           8
        .value_kind:     global_buffer
      - .offset:         96
        .size:           4
        .value_kind:     by_value
      - .actual_access:  read_only
        .address_space:  global
        .offset:         104
        .size:           8
        .value_kind:     global_buffer
      - .actual_access:  read_only
        .address_space:  global
        .offset:         112
        .size:           8
        .value_kind:     global_buffer
      - .actual_access:  read_only
        .address_space:  global
        .offset:         120
        .size:           8
        .value_kind:     global_buffer
      - .address_space:  global
        .offset:         128
        .size:           8
        .value_kind:     global_buffer
      - .address_space:  global
        .offset:         136
        .size:           8
        .value_kind:     global_buffer
      - .offset:         144
        .size:           4
        .value_kind:     by_value
      - .address_space:  global
        .offset:         152
        .size:           8
        .value_kind:     global_buffer
      - .address_space:  global
        .offset:         160
        .size:           8
        .value_kind:     global_buffer
    .group_segment_fixed_size: 0
    .kernarg_segment_align: 8
    .kernarg_segment_size: 168
    .language:       OpenCL C
    .language_version:
      - 2
      - 0
    .max_flat_workgroup_size: 1024
    .name:           _ZN9rocsparseL14kernel_freerunILi1024ELi1EdiiEEvT3_S1_T2_PKS2_S4_PKS1_PKT1_21rocsparse_index_base_S4_S4_S6_PS7_SB_SA_S4_S4_S6_SB_SB_SA_SB_SB_
    .private_segment_fixed_size: 0
    .sgpr_count:     54
    .sgpr_spill_count: 0
    .symbol:         _ZN9rocsparseL14kernel_freerunILi1024ELi1EdiiEEvT3_S1_T2_PKS2_S4_PKS1_PKT1_21rocsparse_index_base_S4_S4_S6_PS7_SB_SA_S4_S4_S6_SB_SB_SA_SB_SB_.kd
    .uniform_work_group_size: 1
    .uses_dynamic_stack: false
    .vgpr_count:     31
    .vgpr_spill_count: 0
    .wavefront_size: 32
    .workgroup_processor_mode: 1
  - .args:
      - .offset:         0
        .size:           4
        .value_kind:     by_value
      - .offset:         4
        .size:           4
        .value_kind:     by_value
      - .offset:         8
        .size:           4
        .value_kind:     by_value
      - .actual_access:  read_only
        .address_space:  global
        .offset:         16
        .size:           8
        .value_kind:     global_buffer
      - .actual_access:  read_only
        .address_space:  global
        .offset:         24
        .size:           8
        .value_kind:     global_buffer
      - .actual_access:  read_only
        .address_space:  global
        .offset:         32
        .size:           8
        .value_kind:     global_buffer
      - .actual_access:  read_only
        .address_space:  global
        .offset:         40
        .size:           8
        .value_kind:     global_buffer
      - .offset:         48
        .size:           4
        .value_kind:     by_value
      - .actual_access:  read_only
        .address_space:  global
        .offset:         56
        .size:           8
        .value_kind:     global_buffer
      - .actual_access:  read_only
        .address_space:  global
        .offset:         64
        .size:           8
        .value_kind:     global_buffer
      - .actual_access:  read_only
        .address_space:  global
        .offset:         72
        .size:           8
        .value_kind:     global_buffer
      - .address_space:  global
        .offset:         80
        .size:           8
        .value_kind:     global_buffer
      - .address_space:  global
        .offset:         88
        .size:           8
        .value_kind:     global_buffer
      - .offset:         96
        .size:           4
        .value_kind:     by_value
      - .actual_access:  read_only
        .address_space:  global
        .offset:         104
        .size:           8
        .value_kind:     global_buffer
      - .actual_access:  read_only
        .address_space:  global
        .offset:         112
        .size:           8
        .value_kind:     global_buffer
      - .actual_access:  read_only
        .address_space:  global
        .offset:         120
        .size:           8
        .value_kind:     global_buffer
      - .address_space:  global
        .offset:         128
        .size:           8
        .value_kind:     global_buffer
      - .address_space:  global
        .offset:         136
        .size:           8
        .value_kind:     global_buffer
      - .offset:         144
        .size:           4
        .value_kind:     by_value
      - .address_space:  global
        .offset:         152
        .size:           8
        .value_kind:     global_buffer
      - .address_space:  global
        .offset:         160
        .size:           8
        .value_kind:     global_buffer
    .group_segment_fixed_size: 0
    .kernarg_segment_align: 8
    .kernarg_segment_size: 168
    .language:       OpenCL C
    .language_version:
      - 2
      - 0
    .max_flat_workgroup_size: 1024
    .name:           _ZN9rocsparseL14kernel_freerunILi1024ELi2EdiiEEvT3_S1_T2_PKS2_S4_PKS1_PKT1_21rocsparse_index_base_S4_S4_S6_PS7_SB_SA_S4_S4_S6_SB_SB_SA_SB_SB_
    .private_segment_fixed_size: 0
    .sgpr_count:     57
    .sgpr_spill_count: 0
    .symbol:         _ZN9rocsparseL14kernel_freerunILi1024ELi2EdiiEEvT3_S1_T2_PKS2_S4_PKS1_PKT1_21rocsparse_index_base_S4_S4_S6_PS7_SB_SA_S4_S4_S6_SB_SB_SA_SB_SB_.kd
    .uniform_work_group_size: 1
    .uses_dynamic_stack: false
    .vgpr_count:     50
    .vgpr_spill_count: 0
    .wavefront_size: 32
    .workgroup_processor_mode: 1
  - .args:
      - .offset:         0
        .size:           4
        .value_kind:     by_value
      - .offset:         4
        .size:           4
        .value_kind:     by_value
      - .offset:         8
        .size:           4
        .value_kind:     by_value
      - .actual_access:  read_only
        .address_space:  global
        .offset:         16
        .size:           8
        .value_kind:     global_buffer
      - .actual_access:  read_only
        .address_space:  global
        .offset:         24
        .size:           8
        .value_kind:     global_buffer
      - .actual_access:  read_only
        .address_space:  global
        .offset:         32
        .size:           8
        .value_kind:     global_buffer
      - .actual_access:  read_only
        .address_space:  global
        .offset:         40
        .size:           8
        .value_kind:     global_buffer
      - .offset:         48
        .size:           4
        .value_kind:     by_value
      - .actual_access:  read_only
        .address_space:  global
        .offset:         56
        .size:           8
        .value_kind:     global_buffer
      - .actual_access:  read_only
        .address_space:  global
        .offset:         64
        .size:           8
        .value_kind:     global_buffer
      - .actual_access:  read_only
        .address_space:  global
        .offset:         72
        .size:           8
        .value_kind:     global_buffer
      - .address_space:  global
        .offset:         80
        .size:           8
        .value_kind:     global_buffer
      - .address_space:  global
        .offset:         88
        .size:           8
        .value_kind:     global_buffer
      - .offset:         96
        .size:           4
        .value_kind:     by_value
      - .actual_access:  read_only
        .address_space:  global
        .offset:         104
        .size:           8
        .value_kind:     global_buffer
      - .actual_access:  read_only
        .address_space:  global
        .offset:         112
        .size:           8
        .value_kind:     global_buffer
      - .actual_access:  read_only
        .address_space:  global
        .offset:         120
        .size:           8
        .value_kind:     global_buffer
      - .address_space:  global
        .offset:         128
        .size:           8
        .value_kind:     global_buffer
      - .address_space:  global
        .offset:         136
        .size:           8
        .value_kind:     global_buffer
      - .offset:         144
        .size:           4
        .value_kind:     by_value
      - .address_space:  global
        .offset:         152
        .size:           8
        .value_kind:     global_buffer
      - .address_space:  global
        .offset:         160
        .size:           8
        .value_kind:     global_buffer
    .group_segment_fixed_size: 0
    .kernarg_segment_align: 8
    .kernarg_segment_size: 168
    .language:       OpenCL C
    .language_version:
      - 2
      - 0
    .max_flat_workgroup_size: 1024
    .name:           _ZN9rocsparseL14kernel_freerunILi1024ELi4EdiiEEvT3_S1_T2_PKS2_S4_PKS1_PKT1_21rocsparse_index_base_S4_S4_S6_PS7_SB_SA_S4_S4_S6_SB_SB_SA_SB_SB_
    .private_segment_fixed_size: 0
    .sgpr_count:     59
    .sgpr_spill_count: 0
    .symbol:         _ZN9rocsparseL14kernel_freerunILi1024ELi4EdiiEEvT3_S1_T2_PKS2_S4_PKS1_PKT1_21rocsparse_index_base_S4_S4_S6_PS7_SB_SA_S4_S4_S6_SB_SB_SA_SB_SB_.kd
    .uniform_work_group_size: 1
    .uses_dynamic_stack: false
    .vgpr_count:     34
    .vgpr_spill_count: 0
    .wavefront_size: 32
    .workgroup_processor_mode: 1
  - .args:
      - .offset:         0
        .size:           4
        .value_kind:     by_value
      - .offset:         4
        .size:           4
        .value_kind:     by_value
      - .offset:         8
        .size:           4
        .value_kind:     by_value
      - .actual_access:  read_only
        .address_space:  global
        .offset:         16
        .size:           8
        .value_kind:     global_buffer
      - .actual_access:  read_only
        .address_space:  global
        .offset:         24
        .size:           8
        .value_kind:     global_buffer
      - .actual_access:  read_only
        .address_space:  global
        .offset:         32
        .size:           8
        .value_kind:     global_buffer
      - .actual_access:  read_only
        .address_space:  global
        .offset:         40
        .size:           8
        .value_kind:     global_buffer
      - .offset:         48
        .size:           4
        .value_kind:     by_value
      - .actual_access:  read_only
        .address_space:  global
        .offset:         56
        .size:           8
        .value_kind:     global_buffer
      - .actual_access:  read_only
        .address_space:  global
        .offset:         64
        .size:           8
        .value_kind:     global_buffer
      - .actual_access:  read_only
        .address_space:  global
        .offset:         72
        .size:           8
        .value_kind:     global_buffer
      - .address_space:  global
        .offset:         80
        .size:           8
        .value_kind:     global_buffer
      - .address_space:  global
        .offset:         88
        .size:           8
        .value_kind:     global_buffer
      - .offset:         96
        .size:           4
        .value_kind:     by_value
      - .actual_access:  read_only
        .address_space:  global
        .offset:         104
        .size:           8
        .value_kind:     global_buffer
      - .actual_access:  read_only
        .address_space:  global
        .offset:         112
        .size:           8
        .value_kind:     global_buffer
      - .actual_access:  read_only
        .address_space:  global
        .offset:         120
        .size:           8
        .value_kind:     global_buffer
      - .address_space:  global
        .offset:         128
        .size:           8
        .value_kind:     global_buffer
      - .address_space:  global
        .offset:         136
        .size:           8
        .value_kind:     global_buffer
      - .offset:         144
        .size:           4
        .value_kind:     by_value
      - .address_space:  global
        .offset:         152
        .size:           8
        .value_kind:     global_buffer
      - .address_space:  global
        .offset:         160
        .size:           8
        .value_kind:     global_buffer
    .group_segment_fixed_size: 0
    .kernarg_segment_align: 8
    .kernarg_segment_size: 168
    .language:       OpenCL C
    .language_version:
      - 2
      - 0
    .max_flat_workgroup_size: 1024
    .name:           _ZN9rocsparseL14kernel_freerunILi1024ELi8EdiiEEvT3_S1_T2_PKS2_S4_PKS1_PKT1_21rocsparse_index_base_S4_S4_S6_PS7_SB_SA_S4_S4_S6_SB_SB_SA_SB_SB_
    .private_segment_fixed_size: 0
    .sgpr_count:     59
    .sgpr_spill_count: 0
    .symbol:         _ZN9rocsparseL14kernel_freerunILi1024ELi8EdiiEEvT3_S1_T2_PKS2_S4_PKS1_PKT1_21rocsparse_index_base_S4_S4_S6_PS7_SB_SA_S4_S4_S6_SB_SB_SA_SB_SB_.kd
    .uniform_work_group_size: 1
    .uses_dynamic_stack: false
    .vgpr_count:     34
    .vgpr_spill_count: 0
    .wavefront_size: 32
    .workgroup_processor_mode: 1
  - .args:
      - .offset:         0
        .size:           4
        .value_kind:     by_value
      - .offset:         4
        .size:           4
        .value_kind:     by_value
      - .offset:         8
        .size:           4
        .value_kind:     by_value
      - .actual_access:  read_only
        .address_space:  global
        .offset:         16
        .size:           8
        .value_kind:     global_buffer
      - .actual_access:  read_only
        .address_space:  global
        .offset:         24
        .size:           8
        .value_kind:     global_buffer
      - .actual_access:  read_only
        .address_space:  global
        .offset:         32
        .size:           8
        .value_kind:     global_buffer
      - .actual_access:  read_only
        .address_space:  global
        .offset:         40
        .size:           8
        .value_kind:     global_buffer
      - .offset:         48
        .size:           4
        .value_kind:     by_value
      - .actual_access:  read_only
        .address_space:  global
        .offset:         56
        .size:           8
        .value_kind:     global_buffer
      - .actual_access:  read_only
        .address_space:  global
        .offset:         64
        .size:           8
        .value_kind:     global_buffer
      - .actual_access:  read_only
        .address_space:  global
        .offset:         72
        .size:           8
        .value_kind:     global_buffer
      - .address_space:  global
        .offset:         80
        .size:           8
        .value_kind:     global_buffer
      - .address_space:  global
        .offset:         88
        .size:           8
        .value_kind:     global_buffer
      - .offset:         96
        .size:           4
        .value_kind:     by_value
      - .actual_access:  read_only
        .address_space:  global
        .offset:         104
        .size:           8
        .value_kind:     global_buffer
      - .actual_access:  read_only
        .address_space:  global
        .offset:         112
        .size:           8
        .value_kind:     global_buffer
      - .actual_access:  read_only
        .address_space:  global
        .offset:         120
        .size:           8
        .value_kind:     global_buffer
      - .address_space:  global
        .offset:         128
        .size:           8
        .value_kind:     global_buffer
      - .address_space:  global
        .offset:         136
        .size:           8
        .value_kind:     global_buffer
      - .offset:         144
        .size:           4
        .value_kind:     by_value
      - .address_space:  global
        .offset:         152
        .size:           8
        .value_kind:     global_buffer
      - .address_space:  global
        .offset:         160
        .size:           8
        .value_kind:     global_buffer
    .group_segment_fixed_size: 0
    .kernarg_segment_align: 8
    .kernarg_segment_size: 168
    .language:       OpenCL C
    .language_version:
      - 2
      - 0
    .max_flat_workgroup_size: 1024
    .name:           _ZN9rocsparseL14kernel_freerunILi1024ELi16EdiiEEvT3_S1_T2_PKS2_S4_PKS1_PKT1_21rocsparse_index_base_S4_S4_S6_PS7_SB_SA_S4_S4_S6_SB_SB_SA_SB_SB_
    .private_segment_fixed_size: 0
    .sgpr_count:     59
    .sgpr_spill_count: 0
    .symbol:         _ZN9rocsparseL14kernel_freerunILi1024ELi16EdiiEEvT3_S1_T2_PKS2_S4_PKS1_PKT1_21rocsparse_index_base_S4_S4_S6_PS7_SB_SA_S4_S4_S6_SB_SB_SA_SB_SB_.kd
    .uniform_work_group_size: 1
    .uses_dynamic_stack: false
    .vgpr_count:     34
    .vgpr_spill_count: 0
    .wavefront_size: 32
    .workgroup_processor_mode: 1
  - .args:
      - .offset:         0
        .size:           4
        .value_kind:     by_value
      - .offset:         4
        .size:           4
        .value_kind:     by_value
      - .offset:         8
        .size:           4
        .value_kind:     by_value
      - .actual_access:  read_only
        .address_space:  global
        .offset:         16
        .size:           8
        .value_kind:     global_buffer
      - .actual_access:  read_only
        .address_space:  global
        .offset:         24
        .size:           8
        .value_kind:     global_buffer
      - .actual_access:  read_only
        .address_space:  global
        .offset:         32
        .size:           8
        .value_kind:     global_buffer
      - .actual_access:  read_only
        .address_space:  global
        .offset:         40
        .size:           8
        .value_kind:     global_buffer
      - .offset:         48
        .size:           4
        .value_kind:     by_value
      - .actual_access:  read_only
        .address_space:  global
        .offset:         56
        .size:           8
        .value_kind:     global_buffer
      - .actual_access:  read_only
        .address_space:  global
        .offset:         64
        .size:           8
        .value_kind:     global_buffer
      - .actual_access:  read_only
        .address_space:  global
        .offset:         72
        .size:           8
        .value_kind:     global_buffer
      - .address_space:  global
        .offset:         80
        .size:           8
        .value_kind:     global_buffer
      - .address_space:  global
        .offset:         88
        .size:           8
        .value_kind:     global_buffer
      - .offset:         96
        .size:           4
        .value_kind:     by_value
      - .actual_access:  read_only
        .address_space:  global
        .offset:         104
        .size:           8
        .value_kind:     global_buffer
      - .actual_access:  read_only
        .address_space:  global
        .offset:         112
        .size:           8
        .value_kind:     global_buffer
      - .actual_access:  read_only
        .address_space:  global
        .offset:         120
        .size:           8
        .value_kind:     global_buffer
      - .address_space:  global
        .offset:         128
        .size:           8
        .value_kind:     global_buffer
      - .address_space:  global
        .offset:         136
        .size:           8
        .value_kind:     global_buffer
      - .offset:         144
        .size:           4
        .value_kind:     by_value
      - .address_space:  global
        .offset:         152
        .size:           8
        .value_kind:     global_buffer
      - .address_space:  global
        .offset:         160
        .size:           8
        .value_kind:     global_buffer
    .group_segment_fixed_size: 0
    .kernarg_segment_align: 8
    .kernarg_segment_size: 168
    .language:       OpenCL C
    .language_version:
      - 2
      - 0
    .max_flat_workgroup_size: 1024
    .name:           _ZN9rocsparseL14kernel_freerunILi1024ELi32EdiiEEvT3_S1_T2_PKS2_S4_PKS1_PKT1_21rocsparse_index_base_S4_S4_S6_PS7_SB_SA_S4_S4_S6_SB_SB_SA_SB_SB_
    .private_segment_fixed_size: 0
    .sgpr_count:     59
    .sgpr_spill_count: 0
    .symbol:         _ZN9rocsparseL14kernel_freerunILi1024ELi32EdiiEEvT3_S1_T2_PKS2_S4_PKS1_PKT1_21rocsparse_index_base_S4_S4_S6_PS7_SB_SA_S4_S4_S6_SB_SB_SA_SB_SB_.kd
    .uniform_work_group_size: 1
    .uses_dynamic_stack: false
    .vgpr_count:     34
    .vgpr_spill_count: 0
    .wavefront_size: 32
    .workgroup_processor_mode: 1
  - .args:
      - .offset:         0
        .size:           4
        .value_kind:     by_value
      - .offset:         4
        .size:           4
        .value_kind:     by_value
      - .offset:         8
        .size:           4
        .value_kind:     by_value
      - .actual_access:  read_only
        .address_space:  global
        .offset:         16
        .size:           8
        .value_kind:     global_buffer
      - .actual_access:  read_only
        .address_space:  global
        .offset:         24
        .size:           8
        .value_kind:     global_buffer
      - .actual_access:  read_only
        .address_space:  global
        .offset:         32
        .size:           8
        .value_kind:     global_buffer
      - .actual_access:  read_only
        .address_space:  global
        .offset:         40
        .size:           8
        .value_kind:     global_buffer
      - .offset:         48
        .size:           4
        .value_kind:     by_value
      - .actual_access:  read_only
        .address_space:  global
        .offset:         56
        .size:           8
        .value_kind:     global_buffer
      - .actual_access:  read_only
        .address_space:  global
        .offset:         64
        .size:           8
        .value_kind:     global_buffer
      - .actual_access:  read_only
        .address_space:  global
        .offset:         72
        .size:           8
        .value_kind:     global_buffer
      - .address_space:  global
        .offset:         80
        .size:           8
        .value_kind:     global_buffer
      - .address_space:  global
        .offset:         88
        .size:           8
        .value_kind:     global_buffer
      - .offset:         96
        .size:           4
        .value_kind:     by_value
      - .actual_access:  read_only
        .address_space:  global
        .offset:         104
        .size:           8
        .value_kind:     global_buffer
      - .actual_access:  read_only
        .address_space:  global
        .offset:         112
        .size:           8
        .value_kind:     global_buffer
      - .actual_access:  read_only
        .address_space:  global
        .offset:         120
        .size:           8
        .value_kind:     global_buffer
      - .address_space:  global
        .offset:         128
        .size:           8
        .value_kind:     global_buffer
      - .address_space:  global
        .offset:         136
        .size:           8
        .value_kind:     global_buffer
      - .offset:         144
        .size:           4
        .value_kind:     by_value
      - .address_space:  global
        .offset:         152
        .size:           8
        .value_kind:     global_buffer
      - .address_space:  global
        .offset:         160
        .size:           8
        .value_kind:     global_buffer
    .group_segment_fixed_size: 0
    .kernarg_segment_align: 8
    .kernarg_segment_size: 168
    .language:       OpenCL C
    .language_version:
      - 2
      - 0
    .max_flat_workgroup_size: 1024
    .name:           _ZN9rocsparseL14kernel_freerunILi1024ELi64EdiiEEvT3_S1_T2_PKS2_S4_PKS1_PKT1_21rocsparse_index_base_S4_S4_S6_PS7_SB_SA_S4_S4_S6_SB_SB_SA_SB_SB_
    .private_segment_fixed_size: 0
    .sgpr_count:     59
    .sgpr_spill_count: 0
    .symbol:         _ZN9rocsparseL14kernel_freerunILi1024ELi64EdiiEEvT3_S1_T2_PKS2_S4_PKS1_PKT1_21rocsparse_index_base_S4_S4_S6_PS7_SB_SA_S4_S4_S6_SB_SB_SA_SB_SB_.kd
    .uniform_work_group_size: 1
    .uses_dynamic_stack: false
    .vgpr_count:     34
    .vgpr_spill_count: 0
    .wavefront_size: 32
    .workgroup_processor_mode: 1
  - .args:
      - .offset:         0
        .size:           1
        .value_kind:     by_value
      - .offset:         1
        .size:           1
        .value_kind:     by_value
      - .offset:         2
        .size:           1
        .value_kind:     by_value
      - .offset:         4
        .size:           4
        .value_kind:     by_value
      - .address_space:  global
        .offset:         8
        .size:           8
        .value_kind:     global_buffer
      - .offset:         16
        .size:           8
        .value_kind:     by_value
      - .offset:         24
        .size:           4
        .value_kind:     by_value
      - .offset:         28
        .size:           4
        .value_kind:     by_value
      - .actual_access:  read_only
        .address_space:  global
        .offset:         32
        .size:           8
        .value_kind:     global_buffer
      - .actual_access:  read_only
        .address_space:  global
        .offset:         40
        .size:           8
        .value_kind:     global_buffer
      - .actual_access:  read_only
        .address_space:  global
        .offset:         48
        .size:           8
        .value_kind:     global_buffer
      - .actual_access:  read_only
        .address_space:  global
        .offset:         56
        .size:           8
        .value_kind:     global_buffer
      - .offset:         64
        .size:           4
        .value_kind:     by_value
      - .actual_access:  read_only
        .address_space:  global
        .offset:         72
        .size:           8
        .value_kind:     global_buffer
      - .actual_access:  read_only
        .address_space:  global
        .offset:         80
        .size:           8
        .value_kind:     global_buffer
      - .actual_access:  read_only
        .address_space:  global
        .offset:         88
        .size:           8
        .value_kind:     global_buffer
      - .address_space:  global
        .offset:         96
        .size:           8
        .value_kind:     global_buffer
      - .address_space:  global
        .offset:         104
        .size:           8
        .value_kind:     global_buffer
      - .offset:         112
        .size:           4
        .value_kind:     by_value
      - .actual_access:  read_only
        .address_space:  global
        .offset:         120
        .size:           8
        .value_kind:     global_buffer
      - .actual_access:  read_only
        .address_space:  global
        .offset:         128
        .size:           8
        .value_kind:     global_buffer
      - .actual_access:  read_only
        .address_space:  global
        .offset:         136
        .size:           8
        .value_kind:     global_buffer
      - .address_space:  global
        .offset:         144
        .size:           8
        .value_kind:     global_buffer
      - .address_space:  global
        .offset:         152
        .size:           8
        .value_kind:     global_buffer
      - .offset:         160
        .size:           4
        .value_kind:     by_value
      - .address_space:  global
        .offset:         168
        .size:           8
        .value_kind:     global_buffer
      - .address_space:  global
        .offset:         176
        .size:           8
        .value_kind:     global_buffer
      - .address_space:  global
        .offset:         184
        .size:           8
        .value_kind:     global_buffer
      - .address_space:  global
        .offset:         192
        .size:           8
        .value_kind:     global_buffer
      - .actual_access:  read_only
        .address_space:  global
        .offset:         200
        .size:           8
        .value_kind:     global_buffer
    .group_segment_fixed_size: 12288
    .kernarg_segment_align: 8
    .kernarg_segment_size: 208
    .language:       OpenCL C
    .language_version:
      - 2
      - 0
    .max_flat_workgroup_size: 1024
    .name:           _ZN9rocsparseL6kernelILi1024ELi1EdiiEEvbbbT3_PS1_NS_15floating_traitsIT1_E6data_tES1_T2_PKS7_S9_PKS1_PKS4_21rocsparse_index_base_S9_S9_SB_PS4_SF_SE_S9_S9_SB_SF_SF_SE_SF_SF_PS6_SG_PKS6_
    .private_segment_fixed_size: 0
    .sgpr_count:     81
    .sgpr_spill_count: 0
    .symbol:         _ZN9rocsparseL6kernelILi1024ELi1EdiiEEvbbbT3_PS1_NS_15floating_traitsIT1_E6data_tES1_T2_PKS7_S9_PKS1_PKS4_21rocsparse_index_base_S9_S9_SB_PS4_SF_SE_S9_S9_SB_SF_SF_SE_SF_SF_PS6_SG_PKS6_.kd
    .uniform_work_group_size: 1
    .uses_dynamic_stack: false
    .vgpr_count:     40
    .vgpr_spill_count: 0
    .wavefront_size: 32
    .workgroup_processor_mode: 1
  - .args:
      - .offset:         0
        .size:           1
        .value_kind:     by_value
      - .offset:         1
        .size:           1
        .value_kind:     by_value
      - .offset:         2
        .size:           1
        .value_kind:     by_value
      - .offset:         4
        .size:           4
        .value_kind:     by_value
      - .address_space:  global
        .offset:         8
        .size:           8
        .value_kind:     global_buffer
      - .offset:         16
        .size:           8
        .value_kind:     by_value
      - .offset:         24
        .size:           4
        .value_kind:     by_value
      - .offset:         28
        .size:           4
        .value_kind:     by_value
      - .actual_access:  read_only
        .address_space:  global
        .offset:         32
        .size:           8
        .value_kind:     global_buffer
      - .actual_access:  read_only
        .address_space:  global
        .offset:         40
        .size:           8
        .value_kind:     global_buffer
      - .actual_access:  read_only
        .address_space:  global
        .offset:         48
        .size:           8
        .value_kind:     global_buffer
      - .actual_access:  read_only
        .address_space:  global
        .offset:         56
        .size:           8
        .value_kind:     global_buffer
      - .offset:         64
        .size:           4
        .value_kind:     by_value
      - .actual_access:  read_only
        .address_space:  global
        .offset:         72
        .size:           8
        .value_kind:     global_buffer
      - .actual_access:  read_only
        .address_space:  global
        .offset:         80
        .size:           8
        .value_kind:     global_buffer
      - .actual_access:  read_only
        .address_space:  global
        .offset:         88
        .size:           8
        .value_kind:     global_buffer
      - .address_space:  global
        .offset:         96
        .size:           8
        .value_kind:     global_buffer
      - .address_space:  global
        .offset:         104
        .size:           8
        .value_kind:     global_buffer
      - .offset:         112
        .size:           4
        .value_kind:     by_value
      - .actual_access:  read_only
        .address_space:  global
        .offset:         120
        .size:           8
        .value_kind:     global_buffer
      - .actual_access:  read_only
        .address_space:  global
        .offset:         128
        .size:           8
        .value_kind:     global_buffer
      - .actual_access:  read_only
        .address_space:  global
        .offset:         136
        .size:           8
        .value_kind:     global_buffer
      - .address_space:  global
        .offset:         144
        .size:           8
        .value_kind:     global_buffer
      - .address_space:  global
        .offset:         152
        .size:           8
        .value_kind:     global_buffer
      - .offset:         160
        .size:           4
        .value_kind:     by_value
      - .address_space:  global
        .offset:         168
        .size:           8
        .value_kind:     global_buffer
      - .address_space:  global
        .offset:         176
        .size:           8
        .value_kind:     global_buffer
      - .address_space:  global
        .offset:         184
        .size:           8
        .value_kind:     global_buffer
      - .address_space:  global
        .offset:         192
        .size:           8
        .value_kind:     global_buffer
      - .actual_access:  read_only
        .address_space:  global
        .offset:         200
        .size:           8
        .value_kind:     global_buffer
    .group_segment_fixed_size: 6144
    .kernarg_segment_align: 8
    .kernarg_segment_size: 208
    .language:       OpenCL C
    .language_version:
      - 2
      - 0
    .max_flat_workgroup_size: 1024
    .name:           _ZN9rocsparseL6kernelILi1024ELi2EdiiEEvbbbT3_PS1_NS_15floating_traitsIT1_E6data_tES1_T2_PKS7_S9_PKS1_PKS4_21rocsparse_index_base_S9_S9_SB_PS4_SF_SE_S9_S9_SB_SF_SF_SE_SF_SF_PS6_SG_PKS6_
    .private_segment_fixed_size: 0
    .sgpr_count:     87
    .sgpr_spill_count: 0
    .symbol:         _ZN9rocsparseL6kernelILi1024ELi2EdiiEEvbbbT3_PS1_NS_15floating_traitsIT1_E6data_tES1_T2_PKS7_S9_PKS1_PKS4_21rocsparse_index_base_S9_S9_SB_PS4_SF_SE_S9_S9_SB_SF_SF_SE_SF_SF_PS6_SG_PKS6_.kd
    .uniform_work_group_size: 1
    .uses_dynamic_stack: false
    .vgpr_count:     47
    .vgpr_spill_count: 0
    .wavefront_size: 32
    .workgroup_processor_mode: 1
  - .args:
      - .offset:         0
        .size:           1
        .value_kind:     by_value
      - .offset:         1
        .size:           1
        .value_kind:     by_value
      - .offset:         2
        .size:           1
        .value_kind:     by_value
      - .offset:         4
        .size:           4
        .value_kind:     by_value
      - .address_space:  global
        .offset:         8
        .size:           8
        .value_kind:     global_buffer
      - .offset:         16
        .size:           8
        .value_kind:     by_value
      - .offset:         24
        .size:           4
        .value_kind:     by_value
      - .offset:         28
        .size:           4
        .value_kind:     by_value
      - .actual_access:  read_only
        .address_space:  global
        .offset:         32
        .size:           8
        .value_kind:     global_buffer
      - .actual_access:  read_only
        .address_space:  global
        .offset:         40
        .size:           8
        .value_kind:     global_buffer
      - .actual_access:  read_only
        .address_space:  global
        .offset:         48
        .size:           8
        .value_kind:     global_buffer
      - .actual_access:  read_only
        .address_space:  global
        .offset:         56
        .size:           8
        .value_kind:     global_buffer
      - .offset:         64
        .size:           4
        .value_kind:     by_value
      - .actual_access:  read_only
        .address_space:  global
        .offset:         72
        .size:           8
        .value_kind:     global_buffer
      - .actual_access:  read_only
        .address_space:  global
        .offset:         80
        .size:           8
        .value_kind:     global_buffer
      - .actual_access:  read_only
        .address_space:  global
        .offset:         88
        .size:           8
        .value_kind:     global_buffer
      - .address_space:  global
        .offset:         96
        .size:           8
        .value_kind:     global_buffer
      - .address_space:  global
        .offset:         104
        .size:           8
        .value_kind:     global_buffer
      - .offset:         112
        .size:           4
        .value_kind:     by_value
      - .actual_access:  read_only
        .address_space:  global
        .offset:         120
        .size:           8
        .value_kind:     global_buffer
      - .actual_access:  read_only
        .address_space:  global
        .offset:         128
        .size:           8
        .value_kind:     global_buffer
      - .actual_access:  read_only
        .address_space:  global
        .offset:         136
        .size:           8
        .value_kind:     global_buffer
      - .address_space:  global
        .offset:         144
        .size:           8
        .value_kind:     global_buffer
      - .address_space:  global
        .offset:         152
        .size:           8
        .value_kind:     global_buffer
      - .offset:         160
        .size:           4
        .value_kind:     by_value
      - .address_space:  global
        .offset:         168
        .size:           8
        .value_kind:     global_buffer
      - .address_space:  global
        .offset:         176
        .size:           8
        .value_kind:     global_buffer
      - .address_space:  global
        .offset:         184
        .size:           8
        .value_kind:     global_buffer
      - .address_space:  global
        .offset:         192
        .size:           8
        .value_kind:     global_buffer
      - .actual_access:  read_only
        .address_space:  global
        .offset:         200
        .size:           8
        .value_kind:     global_buffer
    .group_segment_fixed_size: 3072
    .kernarg_segment_align: 8
    .kernarg_segment_size: 208
    .language:       OpenCL C
    .language_version:
      - 2
      - 0
    .max_flat_workgroup_size: 1024
    .name:           _ZN9rocsparseL6kernelILi1024ELi4EdiiEEvbbbT3_PS1_NS_15floating_traitsIT1_E6data_tES1_T2_PKS7_S9_PKS1_PKS4_21rocsparse_index_base_S9_S9_SB_PS4_SF_SE_S9_S9_SB_SF_SF_SE_SF_SF_PS6_SG_PKS6_
    .private_segment_fixed_size: 0
    .sgpr_count:     86
    .sgpr_spill_count: 0
    .symbol:         _ZN9rocsparseL6kernelILi1024ELi4EdiiEEvbbbT3_PS1_NS_15floating_traitsIT1_E6data_tES1_T2_PKS7_S9_PKS1_PKS4_21rocsparse_index_base_S9_S9_SB_PS4_SF_SE_S9_S9_SB_SF_SF_SE_SF_SF_PS6_SG_PKS6_.kd
    .uniform_work_group_size: 1
    .uses_dynamic_stack: false
    .vgpr_count:     47
    .vgpr_spill_count: 0
    .wavefront_size: 32
    .workgroup_processor_mode: 1
  - .args:
      - .offset:         0
        .size:           1
        .value_kind:     by_value
      - .offset:         1
        .size:           1
        .value_kind:     by_value
      - .offset:         2
        .size:           1
        .value_kind:     by_value
      - .offset:         4
        .size:           4
        .value_kind:     by_value
      - .address_space:  global
        .offset:         8
        .size:           8
        .value_kind:     global_buffer
      - .offset:         16
        .size:           8
        .value_kind:     by_value
      - .offset:         24
        .size:           4
        .value_kind:     by_value
      - .offset:         28
        .size:           4
        .value_kind:     by_value
      - .actual_access:  read_only
        .address_space:  global
        .offset:         32
        .size:           8
        .value_kind:     global_buffer
      - .actual_access:  read_only
        .address_space:  global
        .offset:         40
        .size:           8
        .value_kind:     global_buffer
      - .actual_access:  read_only
        .address_space:  global
        .offset:         48
        .size:           8
        .value_kind:     global_buffer
      - .actual_access:  read_only
        .address_space:  global
        .offset:         56
        .size:           8
        .value_kind:     global_buffer
      - .offset:         64
        .size:           4
        .value_kind:     by_value
      - .actual_access:  read_only
        .address_space:  global
        .offset:         72
        .size:           8
        .value_kind:     global_buffer
      - .actual_access:  read_only
        .address_space:  global
        .offset:         80
        .size:           8
        .value_kind:     global_buffer
      - .actual_access:  read_only
        .address_space:  global
        .offset:         88
        .size:           8
        .value_kind:     global_buffer
      - .address_space:  global
        .offset:         96
        .size:           8
        .value_kind:     global_buffer
      - .address_space:  global
        .offset:         104
        .size:           8
        .value_kind:     global_buffer
      - .offset:         112
        .size:           4
        .value_kind:     by_value
      - .actual_access:  read_only
        .address_space:  global
        .offset:         120
        .size:           8
        .value_kind:     global_buffer
      - .actual_access:  read_only
        .address_space:  global
        .offset:         128
        .size:           8
        .value_kind:     global_buffer
      - .actual_access:  read_only
        .address_space:  global
        .offset:         136
        .size:           8
        .value_kind:     global_buffer
      - .address_space:  global
        .offset:         144
        .size:           8
        .value_kind:     global_buffer
      - .address_space:  global
        .offset:         152
        .size:           8
        .value_kind:     global_buffer
      - .offset:         160
        .size:           4
        .value_kind:     by_value
      - .address_space:  global
        .offset:         168
        .size:           8
        .value_kind:     global_buffer
      - .address_space:  global
        .offset:         176
        .size:           8
        .value_kind:     global_buffer
      - .address_space:  global
        .offset:         184
        .size:           8
        .value_kind:     global_buffer
      - .address_space:  global
        .offset:         192
        .size:           8
        .value_kind:     global_buffer
      - .actual_access:  read_only
        .address_space:  global
        .offset:         200
        .size:           8
        .value_kind:     global_buffer
    .group_segment_fixed_size: 1536
    .kernarg_segment_align: 8
    .kernarg_segment_size: 208
    .language:       OpenCL C
    .language_version:
      - 2
      - 0
    .max_flat_workgroup_size: 1024
    .name:           _ZN9rocsparseL6kernelILi1024ELi8EdiiEEvbbbT3_PS1_NS_15floating_traitsIT1_E6data_tES1_T2_PKS7_S9_PKS1_PKS4_21rocsparse_index_base_S9_S9_SB_PS4_SF_SE_S9_S9_SB_SF_SF_SE_SF_SF_PS6_SG_PKS6_
    .private_segment_fixed_size: 0
    .sgpr_count:     85
    .sgpr_spill_count: 0
    .symbol:         _ZN9rocsparseL6kernelILi1024ELi8EdiiEEvbbbT3_PS1_NS_15floating_traitsIT1_E6data_tES1_T2_PKS7_S9_PKS1_PKS4_21rocsparse_index_base_S9_S9_SB_PS4_SF_SE_S9_S9_SB_SF_SF_SE_SF_SF_PS6_SG_PKS6_.kd
    .uniform_work_group_size: 1
    .uses_dynamic_stack: false
    .vgpr_count:     47
    .vgpr_spill_count: 0
    .wavefront_size: 32
    .workgroup_processor_mode: 1
  - .args:
      - .offset:         0
        .size:           1
        .value_kind:     by_value
      - .offset:         1
        .size:           1
        .value_kind:     by_value
      - .offset:         2
        .size:           1
        .value_kind:     by_value
      - .offset:         4
        .size:           4
        .value_kind:     by_value
      - .address_space:  global
        .offset:         8
        .size:           8
        .value_kind:     global_buffer
      - .offset:         16
        .size:           8
        .value_kind:     by_value
      - .offset:         24
        .size:           4
        .value_kind:     by_value
      - .offset:         28
        .size:           4
        .value_kind:     by_value
      - .actual_access:  read_only
        .address_space:  global
        .offset:         32
        .size:           8
        .value_kind:     global_buffer
      - .actual_access:  read_only
        .address_space:  global
        .offset:         40
        .size:           8
        .value_kind:     global_buffer
      - .actual_access:  read_only
        .address_space:  global
        .offset:         48
        .size:           8
        .value_kind:     global_buffer
      - .actual_access:  read_only
        .address_space:  global
        .offset:         56
        .size:           8
        .value_kind:     global_buffer
      - .offset:         64
        .size:           4
        .value_kind:     by_value
      - .actual_access:  read_only
        .address_space:  global
        .offset:         72
        .size:           8
        .value_kind:     global_buffer
      - .actual_access:  read_only
        .address_space:  global
        .offset:         80
        .size:           8
        .value_kind:     global_buffer
      - .actual_access:  read_only
        .address_space:  global
        .offset:         88
        .size:           8
        .value_kind:     global_buffer
      - .address_space:  global
        .offset:         96
        .size:           8
        .value_kind:     global_buffer
      - .address_space:  global
        .offset:         104
        .size:           8
        .value_kind:     global_buffer
      - .offset:         112
        .size:           4
        .value_kind:     by_value
      - .actual_access:  read_only
        .address_space:  global
        .offset:         120
        .size:           8
        .value_kind:     global_buffer
      - .actual_access:  read_only
        .address_space:  global
        .offset:         128
        .size:           8
        .value_kind:     global_buffer
      - .actual_access:  read_only
        .address_space:  global
        .offset:         136
        .size:           8
        .value_kind:     global_buffer
      - .address_space:  global
        .offset:         144
        .size:           8
        .value_kind:     global_buffer
      - .address_space:  global
        .offset:         152
        .size:           8
        .value_kind:     global_buffer
      - .offset:         160
        .size:           4
        .value_kind:     by_value
      - .address_space:  global
        .offset:         168
        .size:           8
        .value_kind:     global_buffer
      - .address_space:  global
        .offset:         176
        .size:           8
        .value_kind:     global_buffer
      - .address_space:  global
        .offset:         184
        .size:           8
        .value_kind:     global_buffer
      - .address_space:  global
        .offset:         192
        .size:           8
        .value_kind:     global_buffer
      - .actual_access:  read_only
        .address_space:  global
        .offset:         200
        .size:           8
        .value_kind:     global_buffer
    .group_segment_fixed_size: 768
    .kernarg_segment_align: 8
    .kernarg_segment_size: 208
    .language:       OpenCL C
    .language_version:
      - 2
      - 0
    .max_flat_workgroup_size: 1024
    .name:           _ZN9rocsparseL6kernelILi1024ELi16EdiiEEvbbbT3_PS1_NS_15floating_traitsIT1_E6data_tES1_T2_PKS7_S9_PKS1_PKS4_21rocsparse_index_base_S9_S9_SB_PS4_SF_SE_S9_S9_SB_SF_SF_SE_SF_SF_PS6_SG_PKS6_
    .private_segment_fixed_size: 0
    .sgpr_count:     84
    .sgpr_spill_count: 0
    .symbol:         _ZN9rocsparseL6kernelILi1024ELi16EdiiEEvbbbT3_PS1_NS_15floating_traitsIT1_E6data_tES1_T2_PKS7_S9_PKS1_PKS4_21rocsparse_index_base_S9_S9_SB_PS4_SF_SE_S9_S9_SB_SF_SF_SE_SF_SF_PS6_SG_PKS6_.kd
    .uniform_work_group_size: 1
    .uses_dynamic_stack: false
    .vgpr_count:     47
    .vgpr_spill_count: 0
    .wavefront_size: 32
    .workgroup_processor_mode: 1
  - .args:
      - .offset:         0
        .size:           1
        .value_kind:     by_value
      - .offset:         1
        .size:           1
        .value_kind:     by_value
      - .offset:         2
        .size:           1
        .value_kind:     by_value
      - .offset:         4
        .size:           4
        .value_kind:     by_value
      - .address_space:  global
        .offset:         8
        .size:           8
        .value_kind:     global_buffer
      - .offset:         16
        .size:           8
        .value_kind:     by_value
      - .offset:         24
        .size:           4
        .value_kind:     by_value
      - .offset:         28
        .size:           4
        .value_kind:     by_value
      - .actual_access:  read_only
        .address_space:  global
        .offset:         32
        .size:           8
        .value_kind:     global_buffer
      - .actual_access:  read_only
        .address_space:  global
        .offset:         40
        .size:           8
        .value_kind:     global_buffer
      - .actual_access:  read_only
        .address_space:  global
        .offset:         48
        .size:           8
        .value_kind:     global_buffer
      - .actual_access:  read_only
        .address_space:  global
        .offset:         56
        .size:           8
        .value_kind:     global_buffer
      - .offset:         64
        .size:           4
        .value_kind:     by_value
      - .actual_access:  read_only
        .address_space:  global
        .offset:         72
        .size:           8
        .value_kind:     global_buffer
      - .actual_access:  read_only
        .address_space:  global
        .offset:         80
        .size:           8
        .value_kind:     global_buffer
      - .actual_access:  read_only
        .address_space:  global
        .offset:         88
        .size:           8
        .value_kind:     global_buffer
      - .address_space:  global
        .offset:         96
        .size:           8
        .value_kind:     global_buffer
      - .address_space:  global
        .offset:         104
        .size:           8
        .value_kind:     global_buffer
      - .offset:         112
        .size:           4
        .value_kind:     by_value
      - .actual_access:  read_only
        .address_space:  global
        .offset:         120
        .size:           8
        .value_kind:     global_buffer
      - .actual_access:  read_only
        .address_space:  global
        .offset:         128
        .size:           8
        .value_kind:     global_buffer
      - .actual_access:  read_only
        .address_space:  global
        .offset:         136
        .size:           8
        .value_kind:     global_buffer
      - .address_space:  global
        .offset:         144
        .size:           8
        .value_kind:     global_buffer
      - .address_space:  global
        .offset:         152
        .size:           8
        .value_kind:     global_buffer
      - .offset:         160
        .size:           4
        .value_kind:     by_value
      - .address_space:  global
        .offset:         168
        .size:           8
        .value_kind:     global_buffer
      - .address_space:  global
        .offset:         176
        .size:           8
        .value_kind:     global_buffer
      - .address_space:  global
        .offset:         184
        .size:           8
        .value_kind:     global_buffer
      - .address_space:  global
        .offset:         192
        .size:           8
        .value_kind:     global_buffer
      - .actual_access:  read_only
        .address_space:  global
        .offset:         200
        .size:           8
        .value_kind:     global_buffer
    .group_segment_fixed_size: 384
    .kernarg_segment_align: 8
    .kernarg_segment_size: 208
    .language:       OpenCL C
    .language_version:
      - 2
      - 0
    .max_flat_workgroup_size: 1024
    .name:           _ZN9rocsparseL6kernelILi1024ELi32EdiiEEvbbbT3_PS1_NS_15floating_traitsIT1_E6data_tES1_T2_PKS7_S9_PKS1_PKS4_21rocsparse_index_base_S9_S9_SB_PS4_SF_SE_S9_S9_SB_SF_SF_SE_SF_SF_PS6_SG_PKS6_
    .private_segment_fixed_size: 0
    .sgpr_count:     83
    .sgpr_spill_count: 0
    .symbol:         _ZN9rocsparseL6kernelILi1024ELi32EdiiEEvbbbT3_PS1_NS_15floating_traitsIT1_E6data_tES1_T2_PKS7_S9_PKS1_PKS4_21rocsparse_index_base_S9_S9_SB_PS4_SF_SE_S9_S9_SB_SF_SF_SE_SF_SF_PS6_SG_PKS6_.kd
    .uniform_work_group_size: 1
    .uses_dynamic_stack: false
    .vgpr_count:     47
    .vgpr_spill_count: 0
    .wavefront_size: 32
    .workgroup_processor_mode: 1
  - .args:
      - .offset:         0
        .size:           1
        .value_kind:     by_value
      - .offset:         1
        .size:           1
        .value_kind:     by_value
      - .offset:         2
        .size:           1
        .value_kind:     by_value
      - .offset:         4
        .size:           4
        .value_kind:     by_value
      - .address_space:  global
        .offset:         8
        .size:           8
        .value_kind:     global_buffer
      - .offset:         16
        .size:           8
        .value_kind:     by_value
      - .offset:         24
        .size:           4
        .value_kind:     by_value
      - .offset:         28
        .size:           4
        .value_kind:     by_value
      - .actual_access:  read_only
        .address_space:  global
        .offset:         32
        .size:           8
        .value_kind:     global_buffer
      - .actual_access:  read_only
        .address_space:  global
        .offset:         40
        .size:           8
        .value_kind:     global_buffer
      - .actual_access:  read_only
        .address_space:  global
        .offset:         48
        .size:           8
        .value_kind:     global_buffer
      - .actual_access:  read_only
        .address_space:  global
        .offset:         56
        .size:           8
        .value_kind:     global_buffer
      - .offset:         64
        .size:           4
        .value_kind:     by_value
      - .actual_access:  read_only
        .address_space:  global
        .offset:         72
        .size:           8
        .value_kind:     global_buffer
      - .actual_access:  read_only
        .address_space:  global
        .offset:         80
        .size:           8
        .value_kind:     global_buffer
      - .actual_access:  read_only
        .address_space:  global
        .offset:         88
        .size:           8
        .value_kind:     global_buffer
      - .address_space:  global
        .offset:         96
        .size:           8
        .value_kind:     global_buffer
      - .address_space:  global
        .offset:         104
        .size:           8
        .value_kind:     global_buffer
      - .offset:         112
        .size:           4
        .value_kind:     by_value
      - .actual_access:  read_only
        .address_space:  global
        .offset:         120
        .size:           8
        .value_kind:     global_buffer
      - .actual_access:  read_only
        .address_space:  global
        .offset:         128
        .size:           8
        .value_kind:     global_buffer
      - .actual_access:  read_only
        .address_space:  global
        .offset:         136
        .size:           8
        .value_kind:     global_buffer
      - .address_space:  global
        .offset:         144
        .size:           8
        .value_kind:     global_buffer
      - .address_space:  global
        .offset:         152
        .size:           8
        .value_kind:     global_buffer
      - .offset:         160
        .size:           4
        .value_kind:     by_value
      - .address_space:  global
        .offset:         168
        .size:           8
        .value_kind:     global_buffer
      - .address_space:  global
        .offset:         176
        .size:           8
        .value_kind:     global_buffer
      - .address_space:  global
        .offset:         184
        .size:           8
        .value_kind:     global_buffer
      - .address_space:  global
        .offset:         192
        .size:           8
        .value_kind:     global_buffer
      - .actual_access:  read_only
        .address_space:  global
        .offset:         200
        .size:           8
        .value_kind:     global_buffer
    .group_segment_fixed_size: 192
    .kernarg_segment_align: 8
    .kernarg_segment_size: 208
    .language:       OpenCL C
    .language_version:
      - 2
      - 0
    .max_flat_workgroup_size: 1024
    .name:           _ZN9rocsparseL6kernelILi1024ELi64EdiiEEvbbbT3_PS1_NS_15floating_traitsIT1_E6data_tES1_T2_PKS7_S9_PKS1_PKS4_21rocsparse_index_base_S9_S9_SB_PS4_SF_SE_S9_S9_SB_SF_SF_SE_SF_SF_PS6_SG_PKS6_
    .private_segment_fixed_size: 0
    .sgpr_count:     82
    .sgpr_spill_count: 0
    .symbol:         _ZN9rocsparseL6kernelILi1024ELi64EdiiEEvbbbT3_PS1_NS_15floating_traitsIT1_E6data_tES1_T2_PKS7_S9_PKS1_PKS4_21rocsparse_index_base_S9_S9_SB_PS4_SF_SE_S9_S9_SB_SF_SF_SE_SF_SF_PS6_SG_PKS6_.kd
    .uniform_work_group_size: 1
    .uses_dynamic_stack: false
    .vgpr_count:     47
    .vgpr_spill_count: 0
    .wavefront_size: 32
    .workgroup_processor_mode: 1
  - .args:
      - .offset:         0
        .size:           4
        .value_kind:     by_value
      - .offset:         4
        .size:           4
        .value_kind:     by_value
      - .offset:         8
        .size:           4
        .value_kind:     by_value
      - .actual_access:  read_only
        .address_space:  global
        .offset:         16
        .size:           8
        .value_kind:     global_buffer
      - .actual_access:  read_only
        .address_space:  global
        .offset:         24
        .size:           8
        .value_kind:     global_buffer
      - .actual_access:  read_only
        .address_space:  global
        .offset:         32
        .size:           8
        .value_kind:     global_buffer
      - .actual_access:  read_only
        .address_space:  global
        .offset:         40
        .size:           8
        .value_kind:     global_buffer
      - .offset:         48
        .size:           4
        .value_kind:     by_value
      - .actual_access:  read_only
        .address_space:  global
        .offset:         56
        .size:           8
        .value_kind:     global_buffer
      - .actual_access:  read_only
        .address_space:  global
        .offset:         64
        .size:           8
        .value_kind:     global_buffer
      - .actual_access:  read_only
        .address_space:  global
        .offset:         72
        .size:           8
        .value_kind:     global_buffer
      - .address_space:  global
        .offset:         80
        .size:           8
        .value_kind:     global_buffer
      - .address_space:  global
        .offset:         88
        .size:           8
        .value_kind:     global_buffer
      - .offset:         96
        .size:           4
        .value_kind:     by_value
      - .actual_access:  read_only
        .address_space:  global
        .offset:         104
        .size:           8
        .value_kind:     global_buffer
      - .actual_access:  read_only
        .address_space:  global
        .offset:         112
        .size:           8
        .value_kind:     global_buffer
      - .actual_access:  read_only
        .address_space:  global
        .offset:         120
        .size:           8
        .value_kind:     global_buffer
      - .address_space:  global
        .offset:         128
        .size:           8
        .value_kind:     global_buffer
      - .address_space:  global
        .offset:         136
        .size:           8
        .value_kind:     global_buffer
      - .offset:         144
        .size:           4
        .value_kind:     by_value
      - .address_space:  global
        .offset:         152
        .size:           8
        .value_kind:     global_buffer
      - .address_space:  global
        .offset:         160
        .size:           8
        .value_kind:     global_buffer
    .group_segment_fixed_size: 0
    .kernarg_segment_align: 8
    .kernarg_segment_size: 168
    .language:       OpenCL C
    .language_version:
      - 2
      - 0
    .max_flat_workgroup_size: 1024
    .name:           _ZN9rocsparseL14kernel_freerunILi1024ELi1E21rocsparse_complex_numIfEiiEEvT3_S3_T2_PKS4_S6_PKS3_PKT1_21rocsparse_index_base_S6_S6_S8_PS9_SD_SC_S6_S6_S8_SD_SD_SC_SD_SD_
    .private_segment_fixed_size: 0
    .sgpr_count:     54
    .sgpr_spill_count: 0
    .symbol:         _ZN9rocsparseL14kernel_freerunILi1024ELi1E21rocsparse_complex_numIfEiiEEvT3_S3_T2_PKS4_S6_PKS3_PKT1_21rocsparse_index_base_S6_S6_S8_PS9_SD_SC_S6_S6_S8_SD_SD_SC_SD_SD_.kd
    .uniform_work_group_size: 1
    .uses_dynamic_stack: false
    .vgpr_count:     31
    .vgpr_spill_count: 0
    .wavefront_size: 32
    .workgroup_processor_mode: 1
  - .args:
      - .offset:         0
        .size:           4
        .value_kind:     by_value
      - .offset:         4
        .size:           4
        .value_kind:     by_value
      - .offset:         8
        .size:           4
        .value_kind:     by_value
      - .actual_access:  read_only
        .address_space:  global
        .offset:         16
        .size:           8
        .value_kind:     global_buffer
      - .actual_access:  read_only
        .address_space:  global
        .offset:         24
        .size:           8
        .value_kind:     global_buffer
      - .actual_access:  read_only
        .address_space:  global
        .offset:         32
        .size:           8
        .value_kind:     global_buffer
      - .actual_access:  read_only
        .address_space:  global
        .offset:         40
        .size:           8
        .value_kind:     global_buffer
      - .offset:         48
        .size:           4
        .value_kind:     by_value
      - .actual_access:  read_only
        .address_space:  global
        .offset:         56
        .size:           8
        .value_kind:     global_buffer
      - .actual_access:  read_only
        .address_space:  global
        .offset:         64
        .size:           8
        .value_kind:     global_buffer
      - .actual_access:  read_only
        .address_space:  global
        .offset:         72
        .size:           8
        .value_kind:     global_buffer
      - .address_space:  global
        .offset:         80
        .size:           8
        .value_kind:     global_buffer
      - .address_space:  global
        .offset:         88
        .size:           8
        .value_kind:     global_buffer
      - .offset:         96
        .size:           4
        .value_kind:     by_value
      - .actual_access:  read_only
        .address_space:  global
        .offset:         104
        .size:           8
        .value_kind:     global_buffer
      - .actual_access:  read_only
        .address_space:  global
        .offset:         112
        .size:           8
        .value_kind:     global_buffer
      - .actual_access:  read_only
        .address_space:  global
        .offset:         120
        .size:           8
        .value_kind:     global_buffer
      - .address_space:  global
        .offset:         128
        .size:           8
        .value_kind:     global_buffer
      - .address_space:  global
        .offset:         136
        .size:           8
        .value_kind:     global_buffer
      - .offset:         144
        .size:           4
        .value_kind:     by_value
      - .address_space:  global
        .offset:         152
        .size:           8
        .value_kind:     global_buffer
      - .address_space:  global
        .offset:         160
        .size:           8
        .value_kind:     global_buffer
    .group_segment_fixed_size: 0
    .kernarg_segment_align: 8
    .kernarg_segment_size: 168
    .language:       OpenCL C
    .language_version:
      - 2
      - 0
    .max_flat_workgroup_size: 1024
    .name:           _ZN9rocsparseL14kernel_freerunILi1024ELi2E21rocsparse_complex_numIfEiiEEvT3_S3_T2_PKS4_S6_PKS3_PKT1_21rocsparse_index_base_S6_S6_S8_PS9_SD_SC_S6_S6_S8_SD_SD_SC_SD_SD_
    .private_segment_fixed_size: 0
    .sgpr_count:     59
    .sgpr_spill_count: 0
    .symbol:         _ZN9rocsparseL14kernel_freerunILi1024ELi2E21rocsparse_complex_numIfEiiEEvT3_S3_T2_PKS4_S6_PKS3_PKT1_21rocsparse_index_base_S6_S6_S8_PS9_SD_SC_S6_S6_S8_SD_SD_SC_SD_SD_.kd
    .uniform_work_group_size: 1
    .uses_dynamic_stack: false
    .vgpr_count:     34
    .vgpr_spill_count: 0
    .wavefront_size: 32
    .workgroup_processor_mode: 1
  - .args:
      - .offset:         0
        .size:           4
        .value_kind:     by_value
      - .offset:         4
        .size:           4
        .value_kind:     by_value
      - .offset:         8
        .size:           4
        .value_kind:     by_value
      - .actual_access:  read_only
        .address_space:  global
        .offset:         16
        .size:           8
        .value_kind:     global_buffer
      - .actual_access:  read_only
        .address_space:  global
        .offset:         24
        .size:           8
        .value_kind:     global_buffer
      - .actual_access:  read_only
        .address_space:  global
        .offset:         32
        .size:           8
        .value_kind:     global_buffer
      - .actual_access:  read_only
        .address_space:  global
        .offset:         40
        .size:           8
        .value_kind:     global_buffer
      - .offset:         48
        .size:           4
        .value_kind:     by_value
      - .actual_access:  read_only
        .address_space:  global
        .offset:         56
        .size:           8
        .value_kind:     global_buffer
      - .actual_access:  read_only
        .address_space:  global
        .offset:         64
        .size:           8
        .value_kind:     global_buffer
      - .actual_access:  read_only
        .address_space:  global
        .offset:         72
        .size:           8
        .value_kind:     global_buffer
      - .address_space:  global
        .offset:         80
        .size:           8
        .value_kind:     global_buffer
      - .address_space:  global
        .offset:         88
        .size:           8
        .value_kind:     global_buffer
      - .offset:         96
        .size:           4
        .value_kind:     by_value
      - .actual_access:  read_only
        .address_space:  global
        .offset:         104
        .size:           8
        .value_kind:     global_buffer
      - .actual_access:  read_only
        .address_space:  global
        .offset:         112
        .size:           8
        .value_kind:     global_buffer
      - .actual_access:  read_only
        .address_space:  global
        .offset:         120
        .size:           8
        .value_kind:     global_buffer
      - .address_space:  global
        .offset:         128
        .size:           8
        .value_kind:     global_buffer
      - .address_space:  global
        .offset:         136
        .size:           8
        .value_kind:     global_buffer
      - .offset:         144
        .size:           4
        .value_kind:     by_value
      - .address_space:  global
        .offset:         152
        .size:           8
        .value_kind:     global_buffer
      - .address_space:  global
        .offset:         160
        .size:           8
        .value_kind:     global_buffer
    .group_segment_fixed_size: 0
    .kernarg_segment_align: 8
    .kernarg_segment_size: 168
    .language:       OpenCL C
    .language_version:
      - 2
      - 0
    .max_flat_workgroup_size: 1024
    .name:           _ZN9rocsparseL14kernel_freerunILi1024ELi4E21rocsparse_complex_numIfEiiEEvT3_S3_T2_PKS4_S6_PKS3_PKT1_21rocsparse_index_base_S6_S6_S8_PS9_SD_SC_S6_S6_S8_SD_SD_SC_SD_SD_
    .private_segment_fixed_size: 0
    .sgpr_count:     59
    .sgpr_spill_count: 0
    .symbol:         _ZN9rocsparseL14kernel_freerunILi1024ELi4E21rocsparse_complex_numIfEiiEEvT3_S3_T2_PKS4_S6_PKS3_PKT1_21rocsparse_index_base_S6_S6_S8_PS9_SD_SC_S6_S6_S8_SD_SD_SC_SD_SD_.kd
    .uniform_work_group_size: 1
    .uses_dynamic_stack: false
    .vgpr_count:     34
    .vgpr_spill_count: 0
    .wavefront_size: 32
    .workgroup_processor_mode: 1
  - .args:
      - .offset:         0
        .size:           4
        .value_kind:     by_value
      - .offset:         4
        .size:           4
        .value_kind:     by_value
      - .offset:         8
        .size:           4
        .value_kind:     by_value
      - .actual_access:  read_only
        .address_space:  global
        .offset:         16
        .size:           8
        .value_kind:     global_buffer
      - .actual_access:  read_only
        .address_space:  global
        .offset:         24
        .size:           8
        .value_kind:     global_buffer
      - .actual_access:  read_only
        .address_space:  global
        .offset:         32
        .size:           8
        .value_kind:     global_buffer
      - .actual_access:  read_only
        .address_space:  global
        .offset:         40
        .size:           8
        .value_kind:     global_buffer
      - .offset:         48
        .size:           4
        .value_kind:     by_value
      - .actual_access:  read_only
        .address_space:  global
        .offset:         56
        .size:           8
        .value_kind:     global_buffer
      - .actual_access:  read_only
        .address_space:  global
        .offset:         64
        .size:           8
        .value_kind:     global_buffer
      - .actual_access:  read_only
        .address_space:  global
        .offset:         72
        .size:           8
        .value_kind:     global_buffer
      - .address_space:  global
        .offset:         80
        .size:           8
        .value_kind:     global_buffer
      - .address_space:  global
        .offset:         88
        .size:           8
        .value_kind:     global_buffer
      - .offset:         96
        .size:           4
        .value_kind:     by_value
      - .actual_access:  read_only
        .address_space:  global
        .offset:         104
        .size:           8
        .value_kind:     global_buffer
      - .actual_access:  read_only
        .address_space:  global
        .offset:         112
        .size:           8
        .value_kind:     global_buffer
      - .actual_access:  read_only
        .address_space:  global
        .offset:         120
        .size:           8
        .value_kind:     global_buffer
      - .address_space:  global
        .offset:         128
        .size:           8
        .value_kind:     global_buffer
      - .address_space:  global
        .offset:         136
        .size:           8
        .value_kind:     global_buffer
      - .offset:         144
        .size:           4
        .value_kind:     by_value
      - .address_space:  global
        .offset:         152
        .size:           8
        .value_kind:     global_buffer
      - .address_space:  global
        .offset:         160
        .size:           8
        .value_kind:     global_buffer
    .group_segment_fixed_size: 0
    .kernarg_segment_align: 8
    .kernarg_segment_size: 168
    .language:       OpenCL C
    .language_version:
      - 2
      - 0
    .max_flat_workgroup_size: 1024
    .name:           _ZN9rocsparseL14kernel_freerunILi1024ELi8E21rocsparse_complex_numIfEiiEEvT3_S3_T2_PKS4_S6_PKS3_PKT1_21rocsparse_index_base_S6_S6_S8_PS9_SD_SC_S6_S6_S8_SD_SD_SC_SD_SD_
    .private_segment_fixed_size: 0
    .sgpr_count:     59
    .sgpr_spill_count: 0
    .symbol:         _ZN9rocsparseL14kernel_freerunILi1024ELi8E21rocsparse_complex_numIfEiiEEvT3_S3_T2_PKS4_S6_PKS3_PKT1_21rocsparse_index_base_S6_S6_S8_PS9_SD_SC_S6_S6_S8_SD_SD_SC_SD_SD_.kd
    .uniform_work_group_size: 1
    .uses_dynamic_stack: false
    .vgpr_count:     34
    .vgpr_spill_count: 0
    .wavefront_size: 32
    .workgroup_processor_mode: 1
  - .args:
      - .offset:         0
        .size:           4
        .value_kind:     by_value
      - .offset:         4
        .size:           4
        .value_kind:     by_value
      - .offset:         8
        .size:           4
        .value_kind:     by_value
      - .actual_access:  read_only
        .address_space:  global
        .offset:         16
        .size:           8
        .value_kind:     global_buffer
      - .actual_access:  read_only
        .address_space:  global
        .offset:         24
        .size:           8
        .value_kind:     global_buffer
      - .actual_access:  read_only
        .address_space:  global
        .offset:         32
        .size:           8
        .value_kind:     global_buffer
      - .actual_access:  read_only
        .address_space:  global
        .offset:         40
        .size:           8
        .value_kind:     global_buffer
      - .offset:         48
        .size:           4
        .value_kind:     by_value
      - .actual_access:  read_only
        .address_space:  global
        .offset:         56
        .size:           8
        .value_kind:     global_buffer
      - .actual_access:  read_only
        .address_space:  global
        .offset:         64
        .size:           8
        .value_kind:     global_buffer
      - .actual_access:  read_only
        .address_space:  global
        .offset:         72
        .size:           8
        .value_kind:     global_buffer
      - .address_space:  global
        .offset:         80
        .size:           8
        .value_kind:     global_buffer
      - .address_space:  global
        .offset:         88
        .size:           8
        .value_kind:     global_buffer
      - .offset:         96
        .size:           4
        .value_kind:     by_value
      - .actual_access:  read_only
        .address_space:  global
        .offset:         104
        .size:           8
        .value_kind:     global_buffer
      - .actual_access:  read_only
        .address_space:  global
        .offset:         112
        .size:           8
        .value_kind:     global_buffer
      - .actual_access:  read_only
        .address_space:  global
        .offset:         120
        .size:           8
        .value_kind:     global_buffer
      - .address_space:  global
        .offset:         128
        .size:           8
        .value_kind:     global_buffer
      - .address_space:  global
        .offset:         136
        .size:           8
        .value_kind:     global_buffer
      - .offset:         144
        .size:           4
        .value_kind:     by_value
      - .address_space:  global
        .offset:         152
        .size:           8
        .value_kind:     global_buffer
      - .address_space:  global
        .offset:         160
        .size:           8
        .value_kind:     global_buffer
    .group_segment_fixed_size: 0
    .kernarg_segment_align: 8
    .kernarg_segment_size: 168
    .language:       OpenCL C
    .language_version:
      - 2
      - 0
    .max_flat_workgroup_size: 1024
    .name:           _ZN9rocsparseL14kernel_freerunILi1024ELi16E21rocsparse_complex_numIfEiiEEvT3_S3_T2_PKS4_S6_PKS3_PKT1_21rocsparse_index_base_S6_S6_S8_PS9_SD_SC_S6_S6_S8_SD_SD_SC_SD_SD_
    .private_segment_fixed_size: 0
    .sgpr_count:     59
    .sgpr_spill_count: 0
    .symbol:         _ZN9rocsparseL14kernel_freerunILi1024ELi16E21rocsparse_complex_numIfEiiEEvT3_S3_T2_PKS4_S6_PKS3_PKT1_21rocsparse_index_base_S6_S6_S8_PS9_SD_SC_S6_S6_S8_SD_SD_SC_SD_SD_.kd
    .uniform_work_group_size: 1
    .uses_dynamic_stack: false
    .vgpr_count:     34
    .vgpr_spill_count: 0
    .wavefront_size: 32
    .workgroup_processor_mode: 1
  - .args:
      - .offset:         0
        .size:           4
        .value_kind:     by_value
      - .offset:         4
        .size:           4
        .value_kind:     by_value
      - .offset:         8
        .size:           4
        .value_kind:     by_value
      - .actual_access:  read_only
        .address_space:  global
        .offset:         16
        .size:           8
        .value_kind:     global_buffer
      - .actual_access:  read_only
        .address_space:  global
        .offset:         24
        .size:           8
        .value_kind:     global_buffer
      - .actual_access:  read_only
        .address_space:  global
        .offset:         32
        .size:           8
        .value_kind:     global_buffer
      - .actual_access:  read_only
        .address_space:  global
        .offset:         40
        .size:           8
        .value_kind:     global_buffer
      - .offset:         48
        .size:           4
        .value_kind:     by_value
      - .actual_access:  read_only
        .address_space:  global
        .offset:         56
        .size:           8
        .value_kind:     global_buffer
      - .actual_access:  read_only
        .address_space:  global
        .offset:         64
        .size:           8
        .value_kind:     global_buffer
      - .actual_access:  read_only
        .address_space:  global
        .offset:         72
        .size:           8
        .value_kind:     global_buffer
      - .address_space:  global
        .offset:         80
        .size:           8
        .value_kind:     global_buffer
      - .address_space:  global
        .offset:         88
        .size:           8
        .value_kind:     global_buffer
      - .offset:         96
        .size:           4
        .value_kind:     by_value
      - .actual_access:  read_only
        .address_space:  global
        .offset:         104
        .size:           8
        .value_kind:     global_buffer
      - .actual_access:  read_only
        .address_space:  global
        .offset:         112
        .size:           8
        .value_kind:     global_buffer
      - .actual_access:  read_only
        .address_space:  global
        .offset:         120
        .size:           8
        .value_kind:     global_buffer
      - .address_space:  global
        .offset:         128
        .size:           8
        .value_kind:     global_buffer
      - .address_space:  global
        .offset:         136
        .size:           8
        .value_kind:     global_buffer
      - .offset:         144
        .size:           4
        .value_kind:     by_value
      - .address_space:  global
        .offset:         152
        .size:           8
        .value_kind:     global_buffer
      - .address_space:  global
        .offset:         160
        .size:           8
        .value_kind:     global_buffer
    .group_segment_fixed_size: 0
    .kernarg_segment_align: 8
    .kernarg_segment_size: 168
    .language:       OpenCL C
    .language_version:
      - 2
      - 0
    .max_flat_workgroup_size: 1024
    .name:           _ZN9rocsparseL14kernel_freerunILi1024ELi32E21rocsparse_complex_numIfEiiEEvT3_S3_T2_PKS4_S6_PKS3_PKT1_21rocsparse_index_base_S6_S6_S8_PS9_SD_SC_S6_S6_S8_SD_SD_SC_SD_SD_
    .private_segment_fixed_size: 0
    .sgpr_count:     59
    .sgpr_spill_count: 0
    .symbol:         _ZN9rocsparseL14kernel_freerunILi1024ELi32E21rocsparse_complex_numIfEiiEEvT3_S3_T2_PKS4_S6_PKS3_PKT1_21rocsparse_index_base_S6_S6_S8_PS9_SD_SC_S6_S6_S8_SD_SD_SC_SD_SD_.kd
    .uniform_work_group_size: 1
    .uses_dynamic_stack: false
    .vgpr_count:     34
    .vgpr_spill_count: 0
    .wavefront_size: 32
    .workgroup_processor_mode: 1
  - .args:
      - .offset:         0
        .size:           4
        .value_kind:     by_value
      - .offset:         4
        .size:           4
        .value_kind:     by_value
      - .offset:         8
        .size:           4
        .value_kind:     by_value
      - .actual_access:  read_only
        .address_space:  global
        .offset:         16
        .size:           8
        .value_kind:     global_buffer
      - .actual_access:  read_only
        .address_space:  global
        .offset:         24
        .size:           8
        .value_kind:     global_buffer
      - .actual_access:  read_only
        .address_space:  global
        .offset:         32
        .size:           8
        .value_kind:     global_buffer
      - .actual_access:  read_only
        .address_space:  global
        .offset:         40
        .size:           8
        .value_kind:     global_buffer
      - .offset:         48
        .size:           4
        .value_kind:     by_value
      - .actual_access:  read_only
        .address_space:  global
        .offset:         56
        .size:           8
        .value_kind:     global_buffer
      - .actual_access:  read_only
        .address_space:  global
        .offset:         64
        .size:           8
        .value_kind:     global_buffer
      - .actual_access:  read_only
        .address_space:  global
        .offset:         72
        .size:           8
        .value_kind:     global_buffer
      - .address_space:  global
        .offset:         80
        .size:           8
        .value_kind:     global_buffer
      - .address_space:  global
        .offset:         88
        .size:           8
        .value_kind:     global_buffer
      - .offset:         96
        .size:           4
        .value_kind:     by_value
      - .actual_access:  read_only
        .address_space:  global
        .offset:         104
        .size:           8
        .value_kind:     global_buffer
      - .actual_access:  read_only
        .address_space:  global
        .offset:         112
        .size:           8
        .value_kind:     global_buffer
      - .actual_access:  read_only
        .address_space:  global
        .offset:         120
        .size:           8
        .value_kind:     global_buffer
      - .address_space:  global
        .offset:         128
        .size:           8
        .value_kind:     global_buffer
      - .address_space:  global
        .offset:         136
        .size:           8
        .value_kind:     global_buffer
      - .offset:         144
        .size:           4
        .value_kind:     by_value
      - .address_space:  global
        .offset:         152
        .size:           8
        .value_kind:     global_buffer
      - .address_space:  global
        .offset:         160
        .size:           8
        .value_kind:     global_buffer
    .group_segment_fixed_size: 0
    .kernarg_segment_align: 8
    .kernarg_segment_size: 168
    .language:       OpenCL C
    .language_version:
      - 2
      - 0
    .max_flat_workgroup_size: 1024
    .name:           _ZN9rocsparseL14kernel_freerunILi1024ELi64E21rocsparse_complex_numIfEiiEEvT3_S3_T2_PKS4_S6_PKS3_PKT1_21rocsparse_index_base_S6_S6_S8_PS9_SD_SC_S6_S6_S8_SD_SD_SC_SD_SD_
    .private_segment_fixed_size: 0
    .sgpr_count:     59
    .sgpr_spill_count: 0
    .symbol:         _ZN9rocsparseL14kernel_freerunILi1024ELi64E21rocsparse_complex_numIfEiiEEvT3_S3_T2_PKS4_S6_PKS3_PKT1_21rocsparse_index_base_S6_S6_S8_PS9_SD_SC_S6_S6_S8_SD_SD_SC_SD_SD_.kd
    .uniform_work_group_size: 1
    .uses_dynamic_stack: false
    .vgpr_count:     34
    .vgpr_spill_count: 0
    .wavefront_size: 32
    .workgroup_processor_mode: 1
  - .args:
      - .offset:         0
        .size:           1
        .value_kind:     by_value
      - .offset:         1
        .size:           1
        .value_kind:     by_value
      - .offset:         2
        .size:           1
        .value_kind:     by_value
      - .offset:         4
        .size:           4
        .value_kind:     by_value
      - .address_space:  global
        .offset:         8
        .size:           8
        .value_kind:     global_buffer
      - .offset:         16
        .size:           4
        .value_kind:     by_value
      - .offset:         20
        .size:           4
        .value_kind:     by_value
      - .offset:         24
        .size:           4
        .value_kind:     by_value
      - .actual_access:  read_only
        .address_space:  global
        .offset:         32
        .size:           8
        .value_kind:     global_buffer
      - .actual_access:  read_only
        .address_space:  global
        .offset:         40
        .size:           8
        .value_kind:     global_buffer
      - .actual_access:  read_only
        .address_space:  global
        .offset:         48
        .size:           8
        .value_kind:     global_buffer
      - .actual_access:  read_only
        .address_space:  global
        .offset:         56
        .size:           8
        .value_kind:     global_buffer
      - .offset:         64
        .size:           4
        .value_kind:     by_value
      - .actual_access:  read_only
        .address_space:  global
        .offset:         72
        .size:           8
        .value_kind:     global_buffer
      - .actual_access:  read_only
        .address_space:  global
        .offset:         80
        .size:           8
        .value_kind:     global_buffer
      - .actual_access:  read_only
        .address_space:  global
        .offset:         88
        .size:           8
        .value_kind:     global_buffer
      - .address_space:  global
        .offset:         96
        .size:           8
        .value_kind:     global_buffer
      - .address_space:  global
        .offset:         104
        .size:           8
        .value_kind:     global_buffer
      - .offset:         112
        .size:           4
        .value_kind:     by_value
      - .actual_access:  read_only
        .address_space:  global
        .offset:         120
        .size:           8
        .value_kind:     global_buffer
      - .actual_access:  read_only
        .address_space:  global
        .offset:         128
        .size:           8
        .value_kind:     global_buffer
      - .actual_access:  read_only
        .address_space:  global
        .offset:         136
        .size:           8
        .value_kind:     global_buffer
      - .address_space:  global
        .offset:         144
        .size:           8
        .value_kind:     global_buffer
      - .address_space:  global
        .offset:         152
        .size:           8
        .value_kind:     global_buffer
      - .offset:         160
        .size:           4
        .value_kind:     by_value
      - .address_space:  global
        .offset:         168
        .size:           8
        .value_kind:     global_buffer
      - .address_space:  global
        .offset:         176
        .size:           8
        .value_kind:     global_buffer
      - .address_space:  global
        .offset:         184
        .size:           8
        .value_kind:     global_buffer
      - .address_space:  global
        .offset:         192
        .size:           8
        .value_kind:     global_buffer
      - .actual_access:  read_only
        .address_space:  global
        .offset:         200
        .size:           8
        .value_kind:     global_buffer
    .group_segment_fixed_size: 8192
    .kernarg_segment_align: 8
    .kernarg_segment_size: 208
    .language:       OpenCL C
    .language_version:
      - 2
      - 0
    .max_flat_workgroup_size: 1024
    .name:           _ZN9rocsparseL6kernelILi1024ELi1E21rocsparse_complex_numIfEiiEEvbbbT3_PS3_NS_15floating_traitsIT1_E6data_tES3_T2_PKS9_SB_PKS3_PKS6_21rocsparse_index_base_SB_SB_SD_PS6_SH_SG_SB_SB_SD_SH_SH_SG_SH_SH_PS8_SI_PKS8_
    .private_segment_fixed_size: 0
    .sgpr_count:     80
    .sgpr_spill_count: 0
    .symbol:         _ZN9rocsparseL6kernelILi1024ELi1E21rocsparse_complex_numIfEiiEEvbbbT3_PS3_NS_15floating_traitsIT1_E6data_tES3_T2_PKS9_SB_PKS3_PKS6_21rocsparse_index_base_SB_SB_SD_PS6_SH_SG_SB_SB_SD_SH_SH_SG_SH_SH_PS8_SI_PKS8_.kd
    .uniform_work_group_size: 1
    .uses_dynamic_stack: false
    .vgpr_count:     37
    .vgpr_spill_count: 0
    .wavefront_size: 32
    .workgroup_processor_mode: 1
  - .args:
      - .offset:         0
        .size:           1
        .value_kind:     by_value
      - .offset:         1
        .size:           1
        .value_kind:     by_value
      - .offset:         2
        .size:           1
        .value_kind:     by_value
      - .offset:         4
        .size:           4
        .value_kind:     by_value
      - .address_space:  global
        .offset:         8
        .size:           8
        .value_kind:     global_buffer
      - .offset:         16
        .size:           4
        .value_kind:     by_value
      - .offset:         20
        .size:           4
        .value_kind:     by_value
      - .offset:         24
        .size:           4
        .value_kind:     by_value
      - .actual_access:  read_only
        .address_space:  global
        .offset:         32
        .size:           8
        .value_kind:     global_buffer
      - .actual_access:  read_only
        .address_space:  global
        .offset:         40
        .size:           8
        .value_kind:     global_buffer
      - .actual_access:  read_only
        .address_space:  global
        .offset:         48
        .size:           8
        .value_kind:     global_buffer
      - .actual_access:  read_only
        .address_space:  global
        .offset:         56
        .size:           8
        .value_kind:     global_buffer
      - .offset:         64
        .size:           4
        .value_kind:     by_value
      - .actual_access:  read_only
        .address_space:  global
        .offset:         72
        .size:           8
        .value_kind:     global_buffer
      - .actual_access:  read_only
        .address_space:  global
        .offset:         80
        .size:           8
        .value_kind:     global_buffer
      - .actual_access:  read_only
        .address_space:  global
        .offset:         88
        .size:           8
        .value_kind:     global_buffer
      - .address_space:  global
        .offset:         96
        .size:           8
        .value_kind:     global_buffer
      - .address_space:  global
        .offset:         104
        .size:           8
        .value_kind:     global_buffer
      - .offset:         112
        .size:           4
        .value_kind:     by_value
      - .actual_access:  read_only
        .address_space:  global
        .offset:         120
        .size:           8
        .value_kind:     global_buffer
      - .actual_access:  read_only
        .address_space:  global
        .offset:         128
        .size:           8
        .value_kind:     global_buffer
      - .actual_access:  read_only
        .address_space:  global
        .offset:         136
        .size:           8
        .value_kind:     global_buffer
      - .address_space:  global
        .offset:         144
        .size:           8
        .value_kind:     global_buffer
      - .address_space:  global
        .offset:         152
        .size:           8
        .value_kind:     global_buffer
      - .offset:         160
        .size:           4
        .value_kind:     by_value
      - .address_space:  global
        .offset:         168
        .size:           8
        .value_kind:     global_buffer
      - .address_space:  global
        .offset:         176
        .size:           8
        .value_kind:     global_buffer
      - .address_space:  global
        .offset:         184
        .size:           8
        .value_kind:     global_buffer
      - .address_space:  global
        .offset:         192
        .size:           8
        .value_kind:     global_buffer
      - .actual_access:  read_only
        .address_space:  global
        .offset:         200
        .size:           8
        .value_kind:     global_buffer
    .group_segment_fixed_size: 4096
    .kernarg_segment_align: 8
    .kernarg_segment_size: 208
    .language:       OpenCL C
    .language_version:
      - 2
      - 0
    .max_flat_workgroup_size: 1024
    .name:           _ZN9rocsparseL6kernelILi1024ELi2E21rocsparse_complex_numIfEiiEEvbbbT3_PS3_NS_15floating_traitsIT1_E6data_tES3_T2_PKS9_SB_PKS3_PKS6_21rocsparse_index_base_SB_SB_SD_PS6_SH_SG_SB_SB_SD_SH_SH_SG_SH_SH_PS8_SI_PKS8_
    .private_segment_fixed_size: 0
    .sgpr_count:     86
    .sgpr_spill_count: 0
    .symbol:         _ZN9rocsparseL6kernelILi1024ELi2E21rocsparse_complex_numIfEiiEEvbbbT3_PS3_NS_15floating_traitsIT1_E6data_tES3_T2_PKS9_SB_PKS3_PKS6_21rocsparse_index_base_SB_SB_SD_PS6_SH_SG_SB_SB_SD_SH_SH_SG_SH_SH_PS8_SI_PKS8_.kd
    .uniform_work_group_size: 1
    .uses_dynamic_stack: false
    .vgpr_count:     44
    .vgpr_spill_count: 0
    .wavefront_size: 32
    .workgroup_processor_mode: 1
  - .args:
      - .offset:         0
        .size:           1
        .value_kind:     by_value
      - .offset:         1
        .size:           1
        .value_kind:     by_value
      - .offset:         2
        .size:           1
        .value_kind:     by_value
      - .offset:         4
        .size:           4
        .value_kind:     by_value
      - .address_space:  global
        .offset:         8
        .size:           8
        .value_kind:     global_buffer
      - .offset:         16
        .size:           4
        .value_kind:     by_value
      - .offset:         20
        .size:           4
        .value_kind:     by_value
      - .offset:         24
        .size:           4
        .value_kind:     by_value
      - .actual_access:  read_only
        .address_space:  global
        .offset:         32
        .size:           8
        .value_kind:     global_buffer
      - .actual_access:  read_only
        .address_space:  global
        .offset:         40
        .size:           8
        .value_kind:     global_buffer
      - .actual_access:  read_only
        .address_space:  global
        .offset:         48
        .size:           8
        .value_kind:     global_buffer
      - .actual_access:  read_only
        .address_space:  global
        .offset:         56
        .size:           8
        .value_kind:     global_buffer
      - .offset:         64
        .size:           4
        .value_kind:     by_value
      - .actual_access:  read_only
        .address_space:  global
        .offset:         72
        .size:           8
        .value_kind:     global_buffer
      - .actual_access:  read_only
        .address_space:  global
        .offset:         80
        .size:           8
        .value_kind:     global_buffer
      - .actual_access:  read_only
        .address_space:  global
        .offset:         88
        .size:           8
        .value_kind:     global_buffer
      - .address_space:  global
        .offset:         96
        .size:           8
        .value_kind:     global_buffer
      - .address_space:  global
        .offset:         104
        .size:           8
        .value_kind:     global_buffer
      - .offset:         112
        .size:           4
        .value_kind:     by_value
      - .actual_access:  read_only
        .address_space:  global
        .offset:         120
        .size:           8
        .value_kind:     global_buffer
      - .actual_access:  read_only
        .address_space:  global
        .offset:         128
        .size:           8
        .value_kind:     global_buffer
      - .actual_access:  read_only
        .address_space:  global
        .offset:         136
        .size:           8
        .value_kind:     global_buffer
      - .address_space:  global
        .offset:         144
        .size:           8
        .value_kind:     global_buffer
      - .address_space:  global
        .offset:         152
        .size:           8
        .value_kind:     global_buffer
      - .offset:         160
        .size:           4
        .value_kind:     by_value
      - .address_space:  global
        .offset:         168
        .size:           8
        .value_kind:     global_buffer
      - .address_space:  global
        .offset:         176
        .size:           8
        .value_kind:     global_buffer
      - .address_space:  global
        .offset:         184
        .size:           8
        .value_kind:     global_buffer
      - .address_space:  global
        .offset:         192
        .size:           8
        .value_kind:     global_buffer
      - .actual_access:  read_only
        .address_space:  global
        .offset:         200
        .size:           8
        .value_kind:     global_buffer
    .group_segment_fixed_size: 2048
    .kernarg_segment_align: 8
    .kernarg_segment_size: 208
    .language:       OpenCL C
    .language_version:
      - 2
      - 0
    .max_flat_workgroup_size: 1024
    .name:           _ZN9rocsparseL6kernelILi1024ELi4E21rocsparse_complex_numIfEiiEEvbbbT3_PS3_NS_15floating_traitsIT1_E6data_tES3_T2_PKS9_SB_PKS3_PKS6_21rocsparse_index_base_SB_SB_SD_PS6_SH_SG_SB_SB_SD_SH_SH_SG_SH_SH_PS8_SI_PKS8_
    .private_segment_fixed_size: 0
    .sgpr_count:     85
    .sgpr_spill_count: 0
    .symbol:         _ZN9rocsparseL6kernelILi1024ELi4E21rocsparse_complex_numIfEiiEEvbbbT3_PS3_NS_15floating_traitsIT1_E6data_tES3_T2_PKS9_SB_PKS3_PKS6_21rocsparse_index_base_SB_SB_SD_PS6_SH_SG_SB_SB_SD_SH_SH_SG_SH_SH_PS8_SI_PKS8_.kd
    .uniform_work_group_size: 1
    .uses_dynamic_stack: false
    .vgpr_count:     44
    .vgpr_spill_count: 0
    .wavefront_size: 32
    .workgroup_processor_mode: 1
  - .args:
      - .offset:         0
        .size:           1
        .value_kind:     by_value
      - .offset:         1
        .size:           1
        .value_kind:     by_value
      - .offset:         2
        .size:           1
        .value_kind:     by_value
      - .offset:         4
        .size:           4
        .value_kind:     by_value
      - .address_space:  global
        .offset:         8
        .size:           8
        .value_kind:     global_buffer
      - .offset:         16
        .size:           4
        .value_kind:     by_value
      - .offset:         20
        .size:           4
        .value_kind:     by_value
      - .offset:         24
        .size:           4
        .value_kind:     by_value
      - .actual_access:  read_only
        .address_space:  global
        .offset:         32
        .size:           8
        .value_kind:     global_buffer
      - .actual_access:  read_only
        .address_space:  global
        .offset:         40
        .size:           8
        .value_kind:     global_buffer
      - .actual_access:  read_only
        .address_space:  global
        .offset:         48
        .size:           8
        .value_kind:     global_buffer
      - .actual_access:  read_only
        .address_space:  global
        .offset:         56
        .size:           8
        .value_kind:     global_buffer
      - .offset:         64
        .size:           4
        .value_kind:     by_value
      - .actual_access:  read_only
        .address_space:  global
        .offset:         72
        .size:           8
        .value_kind:     global_buffer
      - .actual_access:  read_only
        .address_space:  global
        .offset:         80
        .size:           8
        .value_kind:     global_buffer
      - .actual_access:  read_only
        .address_space:  global
        .offset:         88
        .size:           8
        .value_kind:     global_buffer
      - .address_space:  global
        .offset:         96
        .size:           8
        .value_kind:     global_buffer
      - .address_space:  global
        .offset:         104
        .size:           8
        .value_kind:     global_buffer
      - .offset:         112
        .size:           4
        .value_kind:     by_value
      - .actual_access:  read_only
        .address_space:  global
        .offset:         120
        .size:           8
        .value_kind:     global_buffer
      - .actual_access:  read_only
        .address_space:  global
        .offset:         128
        .size:           8
        .value_kind:     global_buffer
      - .actual_access:  read_only
        .address_space:  global
        .offset:         136
        .size:           8
        .value_kind:     global_buffer
      - .address_space:  global
        .offset:         144
        .size:           8
        .value_kind:     global_buffer
      - .address_space:  global
        .offset:         152
        .size:           8
        .value_kind:     global_buffer
      - .offset:         160
        .size:           4
        .value_kind:     by_value
      - .address_space:  global
        .offset:         168
        .size:           8
        .value_kind:     global_buffer
      - .address_space:  global
        .offset:         176
        .size:           8
        .value_kind:     global_buffer
      - .address_space:  global
        .offset:         184
        .size:           8
        .value_kind:     global_buffer
      - .address_space:  global
        .offset:         192
        .size:           8
        .value_kind:     global_buffer
      - .actual_access:  read_only
        .address_space:  global
        .offset:         200
        .size:           8
        .value_kind:     global_buffer
    .group_segment_fixed_size: 1024
    .kernarg_segment_align: 8
    .kernarg_segment_size: 208
    .language:       OpenCL C
    .language_version:
      - 2
      - 0
    .max_flat_workgroup_size: 1024
    .name:           _ZN9rocsparseL6kernelILi1024ELi8E21rocsparse_complex_numIfEiiEEvbbbT3_PS3_NS_15floating_traitsIT1_E6data_tES3_T2_PKS9_SB_PKS3_PKS6_21rocsparse_index_base_SB_SB_SD_PS6_SH_SG_SB_SB_SD_SH_SH_SG_SH_SH_PS8_SI_PKS8_
    .private_segment_fixed_size: 0
    .sgpr_count:     84
    .sgpr_spill_count: 0
    .symbol:         _ZN9rocsparseL6kernelILi1024ELi8E21rocsparse_complex_numIfEiiEEvbbbT3_PS3_NS_15floating_traitsIT1_E6data_tES3_T2_PKS9_SB_PKS3_PKS6_21rocsparse_index_base_SB_SB_SD_PS6_SH_SG_SB_SB_SD_SH_SH_SG_SH_SH_PS8_SI_PKS8_.kd
    .uniform_work_group_size: 1
    .uses_dynamic_stack: false
    .vgpr_count:     44
    .vgpr_spill_count: 0
    .wavefront_size: 32
    .workgroup_processor_mode: 1
  - .args:
      - .offset:         0
        .size:           1
        .value_kind:     by_value
      - .offset:         1
        .size:           1
        .value_kind:     by_value
      - .offset:         2
        .size:           1
        .value_kind:     by_value
      - .offset:         4
        .size:           4
        .value_kind:     by_value
      - .address_space:  global
        .offset:         8
        .size:           8
        .value_kind:     global_buffer
      - .offset:         16
        .size:           4
        .value_kind:     by_value
      - .offset:         20
        .size:           4
        .value_kind:     by_value
      - .offset:         24
        .size:           4
        .value_kind:     by_value
      - .actual_access:  read_only
        .address_space:  global
        .offset:         32
        .size:           8
        .value_kind:     global_buffer
      - .actual_access:  read_only
        .address_space:  global
        .offset:         40
        .size:           8
        .value_kind:     global_buffer
      - .actual_access:  read_only
        .address_space:  global
        .offset:         48
        .size:           8
        .value_kind:     global_buffer
      - .actual_access:  read_only
        .address_space:  global
        .offset:         56
        .size:           8
        .value_kind:     global_buffer
      - .offset:         64
        .size:           4
        .value_kind:     by_value
      - .actual_access:  read_only
        .address_space:  global
        .offset:         72
        .size:           8
        .value_kind:     global_buffer
      - .actual_access:  read_only
        .address_space:  global
        .offset:         80
        .size:           8
        .value_kind:     global_buffer
      - .actual_access:  read_only
        .address_space:  global
        .offset:         88
        .size:           8
        .value_kind:     global_buffer
      - .address_space:  global
        .offset:         96
        .size:           8
        .value_kind:     global_buffer
      - .address_space:  global
        .offset:         104
        .size:           8
        .value_kind:     global_buffer
      - .offset:         112
        .size:           4
        .value_kind:     by_value
      - .actual_access:  read_only
        .address_space:  global
        .offset:         120
        .size:           8
        .value_kind:     global_buffer
      - .actual_access:  read_only
        .address_space:  global
        .offset:         128
        .size:           8
        .value_kind:     global_buffer
      - .actual_access:  read_only
        .address_space:  global
        .offset:         136
        .size:           8
        .value_kind:     global_buffer
      - .address_space:  global
        .offset:         144
        .size:           8
        .value_kind:     global_buffer
      - .address_space:  global
        .offset:         152
        .size:           8
        .value_kind:     global_buffer
      - .offset:         160
        .size:           4
        .value_kind:     by_value
      - .address_space:  global
        .offset:         168
        .size:           8
        .value_kind:     global_buffer
      - .address_space:  global
        .offset:         176
        .size:           8
        .value_kind:     global_buffer
      - .address_space:  global
        .offset:         184
        .size:           8
        .value_kind:     global_buffer
      - .address_space:  global
        .offset:         192
        .size:           8
        .value_kind:     global_buffer
      - .actual_access:  read_only
        .address_space:  global
        .offset:         200
        .size:           8
        .value_kind:     global_buffer
    .group_segment_fixed_size: 512
    .kernarg_segment_align: 8
    .kernarg_segment_size: 208
    .language:       OpenCL C
    .language_version:
      - 2
      - 0
    .max_flat_workgroup_size: 1024
    .name:           _ZN9rocsparseL6kernelILi1024ELi16E21rocsparse_complex_numIfEiiEEvbbbT3_PS3_NS_15floating_traitsIT1_E6data_tES3_T2_PKS9_SB_PKS3_PKS6_21rocsparse_index_base_SB_SB_SD_PS6_SH_SG_SB_SB_SD_SH_SH_SG_SH_SH_PS8_SI_PKS8_
    .private_segment_fixed_size: 0
    .sgpr_count:     83
    .sgpr_spill_count: 0
    .symbol:         _ZN9rocsparseL6kernelILi1024ELi16E21rocsparse_complex_numIfEiiEEvbbbT3_PS3_NS_15floating_traitsIT1_E6data_tES3_T2_PKS9_SB_PKS3_PKS6_21rocsparse_index_base_SB_SB_SD_PS6_SH_SG_SB_SB_SD_SH_SH_SG_SH_SH_PS8_SI_PKS8_.kd
    .uniform_work_group_size: 1
    .uses_dynamic_stack: false
    .vgpr_count:     44
    .vgpr_spill_count: 0
    .wavefront_size: 32
    .workgroup_processor_mode: 1
  - .args:
      - .offset:         0
        .size:           1
        .value_kind:     by_value
      - .offset:         1
        .size:           1
        .value_kind:     by_value
      - .offset:         2
        .size:           1
        .value_kind:     by_value
      - .offset:         4
        .size:           4
        .value_kind:     by_value
      - .address_space:  global
        .offset:         8
        .size:           8
        .value_kind:     global_buffer
      - .offset:         16
        .size:           4
        .value_kind:     by_value
      - .offset:         20
        .size:           4
        .value_kind:     by_value
      - .offset:         24
        .size:           4
        .value_kind:     by_value
      - .actual_access:  read_only
        .address_space:  global
        .offset:         32
        .size:           8
        .value_kind:     global_buffer
      - .actual_access:  read_only
        .address_space:  global
        .offset:         40
        .size:           8
        .value_kind:     global_buffer
      - .actual_access:  read_only
        .address_space:  global
        .offset:         48
        .size:           8
        .value_kind:     global_buffer
      - .actual_access:  read_only
        .address_space:  global
        .offset:         56
        .size:           8
        .value_kind:     global_buffer
      - .offset:         64
        .size:           4
        .value_kind:     by_value
      - .actual_access:  read_only
        .address_space:  global
        .offset:         72
        .size:           8
        .value_kind:     global_buffer
      - .actual_access:  read_only
        .address_space:  global
        .offset:         80
        .size:           8
        .value_kind:     global_buffer
      - .actual_access:  read_only
        .address_space:  global
        .offset:         88
        .size:           8
        .value_kind:     global_buffer
      - .address_space:  global
        .offset:         96
        .size:           8
        .value_kind:     global_buffer
      - .address_space:  global
        .offset:         104
        .size:           8
        .value_kind:     global_buffer
      - .offset:         112
        .size:           4
        .value_kind:     by_value
      - .actual_access:  read_only
        .address_space:  global
        .offset:         120
        .size:           8
        .value_kind:     global_buffer
      - .actual_access:  read_only
        .address_space:  global
        .offset:         128
        .size:           8
        .value_kind:     global_buffer
      - .actual_access:  read_only
        .address_space:  global
        .offset:         136
        .size:           8
        .value_kind:     global_buffer
      - .address_space:  global
        .offset:         144
        .size:           8
        .value_kind:     global_buffer
      - .address_space:  global
        .offset:         152
        .size:           8
        .value_kind:     global_buffer
      - .offset:         160
        .size:           4
        .value_kind:     by_value
      - .address_space:  global
        .offset:         168
        .size:           8
        .value_kind:     global_buffer
      - .address_space:  global
        .offset:         176
        .size:           8
        .value_kind:     global_buffer
      - .address_space:  global
        .offset:         184
        .size:           8
        .value_kind:     global_buffer
      - .address_space:  global
        .offset:         192
        .size:           8
        .value_kind:     global_buffer
      - .actual_access:  read_only
        .address_space:  global
        .offset:         200
        .size:           8
        .value_kind:     global_buffer
    .group_segment_fixed_size: 256
    .kernarg_segment_align: 8
    .kernarg_segment_size: 208
    .language:       OpenCL C
    .language_version:
      - 2
      - 0
    .max_flat_workgroup_size: 1024
    .name:           _ZN9rocsparseL6kernelILi1024ELi32E21rocsparse_complex_numIfEiiEEvbbbT3_PS3_NS_15floating_traitsIT1_E6data_tES3_T2_PKS9_SB_PKS3_PKS6_21rocsparse_index_base_SB_SB_SD_PS6_SH_SG_SB_SB_SD_SH_SH_SG_SH_SH_PS8_SI_PKS8_
    .private_segment_fixed_size: 0
    .sgpr_count:     82
    .sgpr_spill_count: 0
    .symbol:         _ZN9rocsparseL6kernelILi1024ELi32E21rocsparse_complex_numIfEiiEEvbbbT3_PS3_NS_15floating_traitsIT1_E6data_tES3_T2_PKS9_SB_PKS3_PKS6_21rocsparse_index_base_SB_SB_SD_PS6_SH_SG_SB_SB_SD_SH_SH_SG_SH_SH_PS8_SI_PKS8_.kd
    .uniform_work_group_size: 1
    .uses_dynamic_stack: false
    .vgpr_count:     44
    .vgpr_spill_count: 0
    .wavefront_size: 32
    .workgroup_processor_mode: 1
  - .args:
      - .offset:         0
        .size:           1
        .value_kind:     by_value
      - .offset:         1
        .size:           1
        .value_kind:     by_value
      - .offset:         2
        .size:           1
        .value_kind:     by_value
      - .offset:         4
        .size:           4
        .value_kind:     by_value
      - .address_space:  global
        .offset:         8
        .size:           8
        .value_kind:     global_buffer
      - .offset:         16
        .size:           4
        .value_kind:     by_value
      - .offset:         20
        .size:           4
        .value_kind:     by_value
      - .offset:         24
        .size:           4
        .value_kind:     by_value
      - .actual_access:  read_only
        .address_space:  global
        .offset:         32
        .size:           8
        .value_kind:     global_buffer
      - .actual_access:  read_only
        .address_space:  global
        .offset:         40
        .size:           8
        .value_kind:     global_buffer
      - .actual_access:  read_only
        .address_space:  global
        .offset:         48
        .size:           8
        .value_kind:     global_buffer
      - .actual_access:  read_only
        .address_space:  global
        .offset:         56
        .size:           8
        .value_kind:     global_buffer
      - .offset:         64
        .size:           4
        .value_kind:     by_value
      - .actual_access:  read_only
        .address_space:  global
        .offset:         72
        .size:           8
        .value_kind:     global_buffer
      - .actual_access:  read_only
        .address_space:  global
        .offset:         80
        .size:           8
        .value_kind:     global_buffer
      - .actual_access:  read_only
        .address_space:  global
        .offset:         88
        .size:           8
        .value_kind:     global_buffer
      - .address_space:  global
        .offset:         96
        .size:           8
        .value_kind:     global_buffer
      - .address_space:  global
        .offset:         104
        .size:           8
        .value_kind:     global_buffer
      - .offset:         112
        .size:           4
        .value_kind:     by_value
      - .actual_access:  read_only
        .address_space:  global
        .offset:         120
        .size:           8
        .value_kind:     global_buffer
      - .actual_access:  read_only
        .address_space:  global
        .offset:         128
        .size:           8
        .value_kind:     global_buffer
      - .actual_access:  read_only
        .address_space:  global
        .offset:         136
        .size:           8
        .value_kind:     global_buffer
      - .address_space:  global
        .offset:         144
        .size:           8
        .value_kind:     global_buffer
      - .address_space:  global
        .offset:         152
        .size:           8
        .value_kind:     global_buffer
      - .offset:         160
        .size:           4
        .value_kind:     by_value
      - .address_space:  global
        .offset:         168
        .size:           8
        .value_kind:     global_buffer
      - .address_space:  global
        .offset:         176
        .size:           8
        .value_kind:     global_buffer
      - .address_space:  global
        .offset:         184
        .size:           8
        .value_kind:     global_buffer
      - .address_space:  global
        .offset:         192
        .size:           8
        .value_kind:     global_buffer
      - .actual_access:  read_only
        .address_space:  global
        .offset:         200
        .size:           8
        .value_kind:     global_buffer
    .group_segment_fixed_size: 128
    .kernarg_segment_align: 8
    .kernarg_segment_size: 208
    .language:       OpenCL C
    .language_version:
      - 2
      - 0
    .max_flat_workgroup_size: 1024
    .name:           _ZN9rocsparseL6kernelILi1024ELi64E21rocsparse_complex_numIfEiiEEvbbbT3_PS3_NS_15floating_traitsIT1_E6data_tES3_T2_PKS9_SB_PKS3_PKS6_21rocsparse_index_base_SB_SB_SD_PS6_SH_SG_SB_SB_SD_SH_SH_SG_SH_SH_PS8_SI_PKS8_
    .private_segment_fixed_size: 0
    .sgpr_count:     81
    .sgpr_spill_count: 0
    .symbol:         _ZN9rocsparseL6kernelILi1024ELi64E21rocsparse_complex_numIfEiiEEvbbbT3_PS3_NS_15floating_traitsIT1_E6data_tES3_T2_PKS9_SB_PKS3_PKS6_21rocsparse_index_base_SB_SB_SD_PS6_SH_SG_SB_SB_SD_SH_SH_SG_SH_SH_PS8_SI_PKS8_.kd
    .uniform_work_group_size: 1
    .uses_dynamic_stack: false
    .vgpr_count:     44
    .vgpr_spill_count: 0
    .wavefront_size: 32
    .workgroup_processor_mode: 1
  - .args:
      - .offset:         0
        .size:           4
        .value_kind:     by_value
      - .offset:         4
        .size:           4
        .value_kind:     by_value
      - .offset:         8
        .size:           4
        .value_kind:     by_value
      - .actual_access:  read_only
        .address_space:  global
        .offset:         16
        .size:           8
        .value_kind:     global_buffer
      - .actual_access:  read_only
        .address_space:  global
        .offset:         24
        .size:           8
        .value_kind:     global_buffer
      - .actual_access:  read_only
        .address_space:  global
        .offset:         32
        .size:           8
        .value_kind:     global_buffer
      - .actual_access:  read_only
        .address_space:  global
        .offset:         40
        .size:           8
        .value_kind:     global_buffer
      - .offset:         48
        .size:           4
        .value_kind:     by_value
      - .actual_access:  read_only
        .address_space:  global
        .offset:         56
        .size:           8
        .value_kind:     global_buffer
      - .actual_access:  read_only
        .address_space:  global
        .offset:         64
        .size:           8
        .value_kind:     global_buffer
      - .actual_access:  read_only
        .address_space:  global
        .offset:         72
        .size:           8
        .value_kind:     global_buffer
      - .address_space:  global
        .offset:         80
        .size:           8
        .value_kind:     global_buffer
      - .address_space:  global
        .offset:         88
        .size:           8
        .value_kind:     global_buffer
      - .offset:         96
        .size:           4
        .value_kind:     by_value
      - .actual_access:  read_only
        .address_space:  global
        .offset:         104
        .size:           8
        .value_kind:     global_buffer
      - .actual_access:  read_only
        .address_space:  global
        .offset:         112
        .size:           8
        .value_kind:     global_buffer
      - .actual_access:  read_only
        .address_space:  global
        .offset:         120
        .size:           8
        .value_kind:     global_buffer
      - .address_space:  global
        .offset:         128
        .size:           8
        .value_kind:     global_buffer
      - .address_space:  global
        .offset:         136
        .size:           8
        .value_kind:     global_buffer
      - .offset:         144
        .size:           4
        .value_kind:     by_value
      - .address_space:  global
        .offset:         152
        .size:           8
        .value_kind:     global_buffer
      - .address_space:  global
        .offset:         160
        .size:           8
        .value_kind:     global_buffer
    .group_segment_fixed_size: 0
    .kernarg_segment_align: 8
    .kernarg_segment_size: 168
    .language:       OpenCL C
    .language_version:
      - 2
      - 0
    .max_flat_workgroup_size: 1024
    .name:           _ZN9rocsparseL14kernel_freerunILi1024ELi1E21rocsparse_complex_numIdEiiEEvT3_S3_T2_PKS4_S6_PKS3_PKT1_21rocsparse_index_base_S6_S6_S8_PS9_SD_SC_S6_S6_S8_SD_SD_SC_SD_SD_
    .private_segment_fixed_size: 0
    .sgpr_count:     54
    .sgpr_spill_count: 0
    .symbol:         _ZN9rocsparseL14kernel_freerunILi1024ELi1E21rocsparse_complex_numIdEiiEEvT3_S3_T2_PKS4_S6_PKS3_PKT1_21rocsparse_index_base_S6_S6_S8_PS9_SD_SC_S6_S6_S8_SD_SD_SC_SD_SD_.kd
    .uniform_work_group_size: 1
    .uses_dynamic_stack: false
    .vgpr_count:     39
    .vgpr_spill_count: 0
    .wavefront_size: 32
    .workgroup_processor_mode: 1
  - .args:
      - .offset:         0
        .size:           4
        .value_kind:     by_value
      - .offset:         4
        .size:           4
        .value_kind:     by_value
      - .offset:         8
        .size:           4
        .value_kind:     by_value
      - .actual_access:  read_only
        .address_space:  global
        .offset:         16
        .size:           8
        .value_kind:     global_buffer
      - .actual_access:  read_only
        .address_space:  global
        .offset:         24
        .size:           8
        .value_kind:     global_buffer
      - .actual_access:  read_only
        .address_space:  global
        .offset:         32
        .size:           8
        .value_kind:     global_buffer
      - .actual_access:  read_only
        .address_space:  global
        .offset:         40
        .size:           8
        .value_kind:     global_buffer
      - .offset:         48
        .size:           4
        .value_kind:     by_value
      - .actual_access:  read_only
        .address_space:  global
        .offset:         56
        .size:           8
        .value_kind:     global_buffer
      - .actual_access:  read_only
        .address_space:  global
        .offset:         64
        .size:           8
        .value_kind:     global_buffer
      - .actual_access:  read_only
        .address_space:  global
        .offset:         72
        .size:           8
        .value_kind:     global_buffer
      - .address_space:  global
        .offset:         80
        .size:           8
        .value_kind:     global_buffer
      - .address_space:  global
        .offset:         88
        .size:           8
        .value_kind:     global_buffer
      - .offset:         96
        .size:           4
        .value_kind:     by_value
      - .actual_access:  read_only
        .address_space:  global
        .offset:         104
        .size:           8
        .value_kind:     global_buffer
      - .actual_access:  read_only
        .address_space:  global
        .offset:         112
        .size:           8
        .value_kind:     global_buffer
      - .actual_access:  read_only
        .address_space:  global
        .offset:         120
        .size:           8
        .value_kind:     global_buffer
      - .address_space:  global
        .offset:         128
        .size:           8
        .value_kind:     global_buffer
      - .address_space:  global
        .offset:         136
        .size:           8
        .value_kind:     global_buffer
      - .offset:         144
        .size:           4
        .value_kind:     by_value
      - .address_space:  global
        .offset:         152
        .size:           8
        .value_kind:     global_buffer
      - .address_space:  global
        .offset:         160
        .size:           8
        .value_kind:     global_buffer
    .group_segment_fixed_size: 0
    .kernarg_segment_align: 8
    .kernarg_segment_size: 168
    .language:       OpenCL C
    .language_version:
      - 2
      - 0
    .max_flat_workgroup_size: 1024
    .name:           _ZN9rocsparseL14kernel_freerunILi1024ELi2E21rocsparse_complex_numIdEiiEEvT3_S3_T2_PKS4_S6_PKS3_PKT1_21rocsparse_index_base_S6_S6_S8_PS9_SD_SC_S6_S6_S8_SD_SD_SC_SD_SD_
    .private_segment_fixed_size: 0
    .sgpr_count:     59
    .sgpr_spill_count: 0
    .symbol:         _ZN9rocsparseL14kernel_freerunILi1024ELi2E21rocsparse_complex_numIdEiiEEvT3_S3_T2_PKS4_S6_PKS3_PKT1_21rocsparse_index_base_S6_S6_S8_PS9_SD_SC_S6_S6_S8_SD_SD_SC_SD_SD_.kd
    .uniform_work_group_size: 1
    .uses_dynamic_stack: false
    .vgpr_count:     42
    .vgpr_spill_count: 0
    .wavefront_size: 32
    .workgroup_processor_mode: 1
  - .args:
      - .offset:         0
        .size:           4
        .value_kind:     by_value
      - .offset:         4
        .size:           4
        .value_kind:     by_value
      - .offset:         8
        .size:           4
        .value_kind:     by_value
      - .actual_access:  read_only
        .address_space:  global
        .offset:         16
        .size:           8
        .value_kind:     global_buffer
      - .actual_access:  read_only
        .address_space:  global
        .offset:         24
        .size:           8
        .value_kind:     global_buffer
      - .actual_access:  read_only
        .address_space:  global
        .offset:         32
        .size:           8
        .value_kind:     global_buffer
      - .actual_access:  read_only
        .address_space:  global
        .offset:         40
        .size:           8
        .value_kind:     global_buffer
      - .offset:         48
        .size:           4
        .value_kind:     by_value
      - .actual_access:  read_only
        .address_space:  global
        .offset:         56
        .size:           8
        .value_kind:     global_buffer
      - .actual_access:  read_only
        .address_space:  global
        .offset:         64
        .size:           8
        .value_kind:     global_buffer
      - .actual_access:  read_only
        .address_space:  global
        .offset:         72
        .size:           8
        .value_kind:     global_buffer
      - .address_space:  global
        .offset:         80
        .size:           8
        .value_kind:     global_buffer
      - .address_space:  global
        .offset:         88
        .size:           8
        .value_kind:     global_buffer
      - .offset:         96
        .size:           4
        .value_kind:     by_value
      - .actual_access:  read_only
        .address_space:  global
        .offset:         104
        .size:           8
        .value_kind:     global_buffer
      - .actual_access:  read_only
        .address_space:  global
        .offset:         112
        .size:           8
        .value_kind:     global_buffer
      - .actual_access:  read_only
        .address_space:  global
        .offset:         120
        .size:           8
        .value_kind:     global_buffer
      - .address_space:  global
        .offset:         128
        .size:           8
        .value_kind:     global_buffer
      - .address_space:  global
        .offset:         136
        .size:           8
        .value_kind:     global_buffer
      - .offset:         144
        .size:           4
        .value_kind:     by_value
      - .address_space:  global
        .offset:         152
        .size:           8
        .value_kind:     global_buffer
      - .address_space:  global
        .offset:         160
        .size:           8
        .value_kind:     global_buffer
    .group_segment_fixed_size: 0
    .kernarg_segment_align: 8
    .kernarg_segment_size: 168
    .language:       OpenCL C
    .language_version:
      - 2
      - 0
    .max_flat_workgroup_size: 1024
    .name:           _ZN9rocsparseL14kernel_freerunILi1024ELi4E21rocsparse_complex_numIdEiiEEvT3_S3_T2_PKS4_S6_PKS3_PKT1_21rocsparse_index_base_S6_S6_S8_PS9_SD_SC_S6_S6_S8_SD_SD_SC_SD_SD_
    .private_segment_fixed_size: 0
    .sgpr_count:     59
    .sgpr_spill_count: 0
    .symbol:         _ZN9rocsparseL14kernel_freerunILi1024ELi4E21rocsparse_complex_numIdEiiEEvT3_S3_T2_PKS4_S6_PKS3_PKT1_21rocsparse_index_base_S6_S6_S8_PS9_SD_SC_S6_S6_S8_SD_SD_SC_SD_SD_.kd
    .uniform_work_group_size: 1
    .uses_dynamic_stack: false
    .vgpr_count:     42
    .vgpr_spill_count: 0
    .wavefront_size: 32
    .workgroup_processor_mode: 1
  - .args:
      - .offset:         0
        .size:           4
        .value_kind:     by_value
      - .offset:         4
        .size:           4
        .value_kind:     by_value
      - .offset:         8
        .size:           4
        .value_kind:     by_value
      - .actual_access:  read_only
        .address_space:  global
        .offset:         16
        .size:           8
        .value_kind:     global_buffer
      - .actual_access:  read_only
        .address_space:  global
        .offset:         24
        .size:           8
        .value_kind:     global_buffer
      - .actual_access:  read_only
        .address_space:  global
        .offset:         32
        .size:           8
        .value_kind:     global_buffer
      - .actual_access:  read_only
        .address_space:  global
        .offset:         40
        .size:           8
        .value_kind:     global_buffer
      - .offset:         48
        .size:           4
        .value_kind:     by_value
      - .actual_access:  read_only
        .address_space:  global
        .offset:         56
        .size:           8
        .value_kind:     global_buffer
      - .actual_access:  read_only
        .address_space:  global
        .offset:         64
        .size:           8
        .value_kind:     global_buffer
      - .actual_access:  read_only
        .address_space:  global
        .offset:         72
        .size:           8
        .value_kind:     global_buffer
      - .address_space:  global
        .offset:         80
        .size:           8
        .value_kind:     global_buffer
      - .address_space:  global
        .offset:         88
        .size:           8
        .value_kind:     global_buffer
      - .offset:         96
        .size:           4
        .value_kind:     by_value
      - .actual_access:  read_only
        .address_space:  global
        .offset:         104
        .size:           8
        .value_kind:     global_buffer
      - .actual_access:  read_only
        .address_space:  global
        .offset:         112
        .size:           8
        .value_kind:     global_buffer
      - .actual_access:  read_only
        .address_space:  global
        .offset:         120
        .size:           8
        .value_kind:     global_buffer
      - .address_space:  global
        .offset:         128
        .size:           8
        .value_kind:     global_buffer
      - .address_space:  global
        .offset:         136
        .size:           8
        .value_kind:     global_buffer
      - .offset:         144
        .size:           4
        .value_kind:     by_value
      - .address_space:  global
        .offset:         152
        .size:           8
        .value_kind:     global_buffer
      - .address_space:  global
        .offset:         160
        .size:           8
        .value_kind:     global_buffer
    .group_segment_fixed_size: 0
    .kernarg_segment_align: 8
    .kernarg_segment_size: 168
    .language:       OpenCL C
    .language_version:
      - 2
      - 0
    .max_flat_workgroup_size: 1024
    .name:           _ZN9rocsparseL14kernel_freerunILi1024ELi8E21rocsparse_complex_numIdEiiEEvT3_S3_T2_PKS4_S6_PKS3_PKT1_21rocsparse_index_base_S6_S6_S8_PS9_SD_SC_S6_S6_S8_SD_SD_SC_SD_SD_
    .private_segment_fixed_size: 0
    .sgpr_count:     59
    .sgpr_spill_count: 0
    .symbol:         _ZN9rocsparseL14kernel_freerunILi1024ELi8E21rocsparse_complex_numIdEiiEEvT3_S3_T2_PKS4_S6_PKS3_PKT1_21rocsparse_index_base_S6_S6_S8_PS9_SD_SC_S6_S6_S8_SD_SD_SC_SD_SD_.kd
    .uniform_work_group_size: 1
    .uses_dynamic_stack: false
    .vgpr_count:     42
    .vgpr_spill_count: 0
    .wavefront_size: 32
    .workgroup_processor_mode: 1
  - .args:
      - .offset:         0
        .size:           4
        .value_kind:     by_value
      - .offset:         4
        .size:           4
        .value_kind:     by_value
      - .offset:         8
        .size:           4
        .value_kind:     by_value
      - .actual_access:  read_only
        .address_space:  global
        .offset:         16
        .size:           8
        .value_kind:     global_buffer
      - .actual_access:  read_only
        .address_space:  global
        .offset:         24
        .size:           8
        .value_kind:     global_buffer
      - .actual_access:  read_only
        .address_space:  global
        .offset:         32
        .size:           8
        .value_kind:     global_buffer
      - .actual_access:  read_only
        .address_space:  global
        .offset:         40
        .size:           8
        .value_kind:     global_buffer
      - .offset:         48
        .size:           4
        .value_kind:     by_value
      - .actual_access:  read_only
        .address_space:  global
        .offset:         56
        .size:           8
        .value_kind:     global_buffer
      - .actual_access:  read_only
        .address_space:  global
        .offset:         64
        .size:           8
        .value_kind:     global_buffer
      - .actual_access:  read_only
        .address_space:  global
        .offset:         72
        .size:           8
        .value_kind:     global_buffer
      - .address_space:  global
        .offset:         80
        .size:           8
        .value_kind:     global_buffer
      - .address_space:  global
        .offset:         88
        .size:           8
        .value_kind:     global_buffer
      - .offset:         96
        .size:           4
        .value_kind:     by_value
      - .actual_access:  read_only
        .address_space:  global
        .offset:         104
        .size:           8
        .value_kind:     global_buffer
      - .actual_access:  read_only
        .address_space:  global
        .offset:         112
        .size:           8
        .value_kind:     global_buffer
      - .actual_access:  read_only
        .address_space:  global
        .offset:         120
        .size:           8
        .value_kind:     global_buffer
      - .address_space:  global
        .offset:         128
        .size:           8
        .value_kind:     global_buffer
      - .address_space:  global
        .offset:         136
        .size:           8
        .value_kind:     global_buffer
      - .offset:         144
        .size:           4
        .value_kind:     by_value
      - .address_space:  global
        .offset:         152
        .size:           8
        .value_kind:     global_buffer
      - .address_space:  global
        .offset:         160
        .size:           8
        .value_kind:     global_buffer
    .group_segment_fixed_size: 0
    .kernarg_segment_align: 8
    .kernarg_segment_size: 168
    .language:       OpenCL C
    .language_version:
      - 2
      - 0
    .max_flat_workgroup_size: 1024
    .name:           _ZN9rocsparseL14kernel_freerunILi1024ELi16E21rocsparse_complex_numIdEiiEEvT3_S3_T2_PKS4_S6_PKS3_PKT1_21rocsparse_index_base_S6_S6_S8_PS9_SD_SC_S6_S6_S8_SD_SD_SC_SD_SD_
    .private_segment_fixed_size: 0
    .sgpr_count:     59
    .sgpr_spill_count: 0
    .symbol:         _ZN9rocsparseL14kernel_freerunILi1024ELi16E21rocsparse_complex_numIdEiiEEvT3_S3_T2_PKS4_S6_PKS3_PKT1_21rocsparse_index_base_S6_S6_S8_PS9_SD_SC_S6_S6_S8_SD_SD_SC_SD_SD_.kd
    .uniform_work_group_size: 1
    .uses_dynamic_stack: false
    .vgpr_count:     42
    .vgpr_spill_count: 0
    .wavefront_size: 32
    .workgroup_processor_mode: 1
  - .args:
      - .offset:         0
        .size:           4
        .value_kind:     by_value
      - .offset:         4
        .size:           4
        .value_kind:     by_value
      - .offset:         8
        .size:           4
        .value_kind:     by_value
      - .actual_access:  read_only
        .address_space:  global
        .offset:         16
        .size:           8
        .value_kind:     global_buffer
      - .actual_access:  read_only
        .address_space:  global
        .offset:         24
        .size:           8
        .value_kind:     global_buffer
      - .actual_access:  read_only
        .address_space:  global
        .offset:         32
        .size:           8
        .value_kind:     global_buffer
      - .actual_access:  read_only
        .address_space:  global
        .offset:         40
        .size:           8
        .value_kind:     global_buffer
      - .offset:         48
        .size:           4
        .value_kind:     by_value
      - .actual_access:  read_only
        .address_space:  global
        .offset:         56
        .size:           8
        .value_kind:     global_buffer
      - .actual_access:  read_only
        .address_space:  global
        .offset:         64
        .size:           8
        .value_kind:     global_buffer
      - .actual_access:  read_only
        .address_space:  global
        .offset:         72
        .size:           8
        .value_kind:     global_buffer
      - .address_space:  global
        .offset:         80
        .size:           8
        .value_kind:     global_buffer
      - .address_space:  global
        .offset:         88
        .size:           8
        .value_kind:     global_buffer
      - .offset:         96
        .size:           4
        .value_kind:     by_value
      - .actual_access:  read_only
        .address_space:  global
        .offset:         104
        .size:           8
        .value_kind:     global_buffer
      - .actual_access:  read_only
        .address_space:  global
        .offset:         112
        .size:           8
        .value_kind:     global_buffer
      - .actual_access:  read_only
        .address_space:  global
        .offset:         120
        .size:           8
        .value_kind:     global_buffer
      - .address_space:  global
        .offset:         128
        .size:           8
        .value_kind:     global_buffer
      - .address_space:  global
        .offset:         136
        .size:           8
        .value_kind:     global_buffer
      - .offset:         144
        .size:           4
        .value_kind:     by_value
      - .address_space:  global
        .offset:         152
        .size:           8
        .value_kind:     global_buffer
      - .address_space:  global
        .offset:         160
        .size:           8
        .value_kind:     global_buffer
    .group_segment_fixed_size: 0
    .kernarg_segment_align: 8
    .kernarg_segment_size: 168
    .language:       OpenCL C
    .language_version:
      - 2
      - 0
    .max_flat_workgroup_size: 1024
    .name:           _ZN9rocsparseL14kernel_freerunILi1024ELi32E21rocsparse_complex_numIdEiiEEvT3_S3_T2_PKS4_S6_PKS3_PKT1_21rocsparse_index_base_S6_S6_S8_PS9_SD_SC_S6_S6_S8_SD_SD_SC_SD_SD_
    .private_segment_fixed_size: 0
    .sgpr_count:     59
    .sgpr_spill_count: 0
    .symbol:         _ZN9rocsparseL14kernel_freerunILi1024ELi32E21rocsparse_complex_numIdEiiEEvT3_S3_T2_PKS4_S6_PKS3_PKT1_21rocsparse_index_base_S6_S6_S8_PS9_SD_SC_S6_S6_S8_SD_SD_SC_SD_SD_.kd
    .uniform_work_group_size: 1
    .uses_dynamic_stack: false
    .vgpr_count:     42
    .vgpr_spill_count: 0
    .wavefront_size: 32
    .workgroup_processor_mode: 1
  - .args:
      - .offset:         0
        .size:           4
        .value_kind:     by_value
      - .offset:         4
        .size:           4
        .value_kind:     by_value
      - .offset:         8
        .size:           4
        .value_kind:     by_value
      - .actual_access:  read_only
        .address_space:  global
        .offset:         16
        .size:           8
        .value_kind:     global_buffer
      - .actual_access:  read_only
        .address_space:  global
        .offset:         24
        .size:           8
        .value_kind:     global_buffer
      - .actual_access:  read_only
        .address_space:  global
        .offset:         32
        .size:           8
        .value_kind:     global_buffer
      - .actual_access:  read_only
        .address_space:  global
        .offset:         40
        .size:           8
        .value_kind:     global_buffer
      - .offset:         48
        .size:           4
        .value_kind:     by_value
      - .actual_access:  read_only
        .address_space:  global
        .offset:         56
        .size:           8
        .value_kind:     global_buffer
      - .actual_access:  read_only
        .address_space:  global
        .offset:         64
        .size:           8
        .value_kind:     global_buffer
      - .actual_access:  read_only
        .address_space:  global
        .offset:         72
        .size:           8
        .value_kind:     global_buffer
      - .address_space:  global
        .offset:         80
        .size:           8
        .value_kind:     global_buffer
      - .address_space:  global
        .offset:         88
        .size:           8
        .value_kind:     global_buffer
      - .offset:         96
        .size:           4
        .value_kind:     by_value
      - .actual_access:  read_only
        .address_space:  global
        .offset:         104
        .size:           8
        .value_kind:     global_buffer
      - .actual_access:  read_only
        .address_space:  global
        .offset:         112
        .size:           8
        .value_kind:     global_buffer
      - .actual_access:  read_only
        .address_space:  global
        .offset:         120
        .size:           8
        .value_kind:     global_buffer
      - .address_space:  global
        .offset:         128
        .size:           8
        .value_kind:     global_buffer
      - .address_space:  global
        .offset:         136
        .size:           8
        .value_kind:     global_buffer
      - .offset:         144
        .size:           4
        .value_kind:     by_value
      - .address_space:  global
        .offset:         152
        .size:           8
        .value_kind:     global_buffer
      - .address_space:  global
        .offset:         160
        .size:           8
        .value_kind:     global_buffer
    .group_segment_fixed_size: 0
    .kernarg_segment_align: 8
    .kernarg_segment_size: 168
    .language:       OpenCL C
    .language_version:
      - 2
      - 0
    .max_flat_workgroup_size: 1024
    .name:           _ZN9rocsparseL14kernel_freerunILi1024ELi64E21rocsparse_complex_numIdEiiEEvT3_S3_T2_PKS4_S6_PKS3_PKT1_21rocsparse_index_base_S6_S6_S8_PS9_SD_SC_S6_S6_S8_SD_SD_SC_SD_SD_
    .private_segment_fixed_size: 0
    .sgpr_count:     59
    .sgpr_spill_count: 0
    .symbol:         _ZN9rocsparseL14kernel_freerunILi1024ELi64E21rocsparse_complex_numIdEiiEEvT3_S3_T2_PKS4_S6_PKS3_PKT1_21rocsparse_index_base_S6_S6_S8_PS9_SD_SC_S6_S6_S8_SD_SD_SC_SD_SD_.kd
    .uniform_work_group_size: 1
    .uses_dynamic_stack: false
    .vgpr_count:     42
    .vgpr_spill_count: 0
    .wavefront_size: 32
    .workgroup_processor_mode: 1
  - .args:
      - .offset:         0
        .size:           1
        .value_kind:     by_value
      - .offset:         1
        .size:           1
        .value_kind:     by_value
      - .offset:         2
        .size:           1
        .value_kind:     by_value
      - .offset:         4
        .size:           4
        .value_kind:     by_value
      - .address_space:  global
        .offset:         8
        .size:           8
        .value_kind:     global_buffer
      - .offset:         16
        .size:           8
        .value_kind:     by_value
      - .offset:         24
        .size:           4
        .value_kind:     by_value
      - .offset:         28
        .size:           4
        .value_kind:     by_value
      - .actual_access:  read_only
        .address_space:  global
        .offset:         32
        .size:           8
        .value_kind:     global_buffer
      - .actual_access:  read_only
        .address_space:  global
        .offset:         40
        .size:           8
        .value_kind:     global_buffer
      - .actual_access:  read_only
        .address_space:  global
        .offset:         48
        .size:           8
        .value_kind:     global_buffer
      - .actual_access:  read_only
        .address_space:  global
        .offset:         56
        .size:           8
        .value_kind:     global_buffer
      - .offset:         64
        .size:           4
        .value_kind:     by_value
      - .actual_access:  read_only
        .address_space:  global
        .offset:         72
        .size:           8
        .value_kind:     global_buffer
      - .actual_access:  read_only
        .address_space:  global
        .offset:         80
        .size:           8
        .value_kind:     global_buffer
      - .actual_access:  read_only
        .address_space:  global
        .offset:         88
        .size:           8
        .value_kind:     global_buffer
      - .address_space:  global
        .offset:         96
        .size:           8
        .value_kind:     global_buffer
      - .address_space:  global
        .offset:         104
        .size:           8
        .value_kind:     global_buffer
      - .offset:         112
        .size:           4
        .value_kind:     by_value
      - .actual_access:  read_only
        .address_space:  global
        .offset:         120
        .size:           8
        .value_kind:     global_buffer
      - .actual_access:  read_only
        .address_space:  global
        .offset:         128
        .size:           8
        .value_kind:     global_buffer
      - .actual_access:  read_only
        .address_space:  global
        .offset:         136
        .size:           8
        .value_kind:     global_buffer
      - .address_space:  global
        .offset:         144
        .size:           8
        .value_kind:     global_buffer
      - .address_space:  global
        .offset:         152
        .size:           8
        .value_kind:     global_buffer
      - .offset:         160
        .size:           4
        .value_kind:     by_value
      - .address_space:  global
        .offset:         168
        .size:           8
        .value_kind:     global_buffer
      - .address_space:  global
        .offset:         176
        .size:           8
        .value_kind:     global_buffer
      - .address_space:  global
        .offset:         184
        .size:           8
        .value_kind:     global_buffer
      - .address_space:  global
        .offset:         192
        .size:           8
        .value_kind:     global_buffer
      - .actual_access:  read_only
        .address_space:  global
        .offset:         200
        .size:           8
        .value_kind:     global_buffer
    .group_segment_fixed_size: 12288
    .kernarg_segment_align: 8
    .kernarg_segment_size: 208
    .language:       OpenCL C
    .language_version:
      - 2
      - 0
    .max_flat_workgroup_size: 1024
    .name:           _ZN9rocsparseL6kernelILi1024ELi1E21rocsparse_complex_numIdEiiEEvbbbT3_PS3_NS_15floating_traitsIT1_E6data_tES3_T2_PKS9_SB_PKS3_PKS6_21rocsparse_index_base_SB_SB_SD_PS6_SH_SG_SB_SB_SD_SH_SH_SG_SH_SH_PS8_SI_PKS8_
    .private_segment_fixed_size: 0
    .sgpr_count:     81
    .sgpr_spill_count: 0
    .symbol:         _ZN9rocsparseL6kernelILi1024ELi1E21rocsparse_complex_numIdEiiEEvbbbT3_PS3_NS_15floating_traitsIT1_E6data_tES3_T2_PKS9_SB_PKS3_PKS6_21rocsparse_index_base_SB_SB_SD_PS6_SH_SG_SB_SB_SD_SH_SH_SG_SH_SH_PS8_SI_PKS8_.kd
    .uniform_work_group_size: 1
    .uses_dynamic_stack: false
    .vgpr_count:     53
    .vgpr_spill_count: 0
    .wavefront_size: 32
    .workgroup_processor_mode: 1
  - .args:
      - .offset:         0
        .size:           1
        .value_kind:     by_value
      - .offset:         1
        .size:           1
        .value_kind:     by_value
      - .offset:         2
        .size:           1
        .value_kind:     by_value
      - .offset:         4
        .size:           4
        .value_kind:     by_value
      - .address_space:  global
        .offset:         8
        .size:           8
        .value_kind:     global_buffer
      - .offset:         16
        .size:           8
        .value_kind:     by_value
      - .offset:         24
        .size:           4
        .value_kind:     by_value
      - .offset:         28
        .size:           4
        .value_kind:     by_value
      - .actual_access:  read_only
        .address_space:  global
        .offset:         32
        .size:           8
        .value_kind:     global_buffer
      - .actual_access:  read_only
        .address_space:  global
        .offset:         40
        .size:           8
        .value_kind:     global_buffer
      - .actual_access:  read_only
        .address_space:  global
        .offset:         48
        .size:           8
        .value_kind:     global_buffer
      - .actual_access:  read_only
        .address_space:  global
        .offset:         56
        .size:           8
        .value_kind:     global_buffer
      - .offset:         64
        .size:           4
        .value_kind:     by_value
      - .actual_access:  read_only
        .address_space:  global
        .offset:         72
        .size:           8
        .value_kind:     global_buffer
      - .actual_access:  read_only
        .address_space:  global
        .offset:         80
        .size:           8
        .value_kind:     global_buffer
      - .actual_access:  read_only
        .address_space:  global
        .offset:         88
        .size:           8
        .value_kind:     global_buffer
      - .address_space:  global
        .offset:         96
        .size:           8
        .value_kind:     global_buffer
      - .address_space:  global
        .offset:         104
        .size:           8
        .value_kind:     global_buffer
      - .offset:         112
        .size:           4
        .value_kind:     by_value
      - .actual_access:  read_only
        .address_space:  global
        .offset:         120
        .size:           8
        .value_kind:     global_buffer
      - .actual_access:  read_only
        .address_space:  global
        .offset:         128
        .size:           8
        .value_kind:     global_buffer
      - .actual_access:  read_only
        .address_space:  global
        .offset:         136
        .size:           8
        .value_kind:     global_buffer
      - .address_space:  global
        .offset:         144
        .size:           8
        .value_kind:     global_buffer
      - .address_space:  global
        .offset:         152
        .size:           8
        .value_kind:     global_buffer
      - .offset:         160
        .size:           4
        .value_kind:     by_value
      - .address_space:  global
        .offset:         168
        .size:           8
        .value_kind:     global_buffer
      - .address_space:  global
        .offset:         176
        .size:           8
        .value_kind:     global_buffer
      - .address_space:  global
        .offset:         184
        .size:           8
        .value_kind:     global_buffer
      - .address_space:  global
        .offset:         192
        .size:           8
        .value_kind:     global_buffer
      - .actual_access:  read_only
        .address_space:  global
        .offset:         200
        .size:           8
        .value_kind:     global_buffer
    .group_segment_fixed_size: 6144
    .kernarg_segment_align: 8
    .kernarg_segment_size: 208
    .language:       OpenCL C
    .language_version:
      - 2
      - 0
    .max_flat_workgroup_size: 1024
    .name:           _ZN9rocsparseL6kernelILi1024ELi2E21rocsparse_complex_numIdEiiEEvbbbT3_PS3_NS_15floating_traitsIT1_E6data_tES3_T2_PKS9_SB_PKS3_PKS6_21rocsparse_index_base_SB_SB_SD_PS6_SH_SG_SB_SB_SD_SH_SH_SG_SH_SH_PS8_SI_PKS8_
    .private_segment_fixed_size: 0
    .sgpr_count:     87
    .sgpr_spill_count: 0
    .symbol:         _ZN9rocsparseL6kernelILi1024ELi2E21rocsparse_complex_numIdEiiEEvbbbT3_PS3_NS_15floating_traitsIT1_E6data_tES3_T2_PKS9_SB_PKS3_PKS6_21rocsparse_index_base_SB_SB_SD_PS6_SH_SG_SB_SB_SD_SH_SH_SG_SH_SH_PS8_SI_PKS8_.kd
    .uniform_work_group_size: 1
    .uses_dynamic_stack: false
    .vgpr_count:     60
    .vgpr_spill_count: 0
    .wavefront_size: 32
    .workgroup_processor_mode: 1
  - .args:
      - .offset:         0
        .size:           1
        .value_kind:     by_value
      - .offset:         1
        .size:           1
        .value_kind:     by_value
      - .offset:         2
        .size:           1
        .value_kind:     by_value
      - .offset:         4
        .size:           4
        .value_kind:     by_value
      - .address_space:  global
        .offset:         8
        .size:           8
        .value_kind:     global_buffer
      - .offset:         16
        .size:           8
        .value_kind:     by_value
      - .offset:         24
        .size:           4
        .value_kind:     by_value
      - .offset:         28
        .size:           4
        .value_kind:     by_value
      - .actual_access:  read_only
        .address_space:  global
        .offset:         32
        .size:           8
        .value_kind:     global_buffer
      - .actual_access:  read_only
        .address_space:  global
        .offset:         40
        .size:           8
        .value_kind:     global_buffer
      - .actual_access:  read_only
        .address_space:  global
        .offset:         48
        .size:           8
        .value_kind:     global_buffer
      - .actual_access:  read_only
        .address_space:  global
        .offset:         56
        .size:           8
        .value_kind:     global_buffer
      - .offset:         64
        .size:           4
        .value_kind:     by_value
      - .actual_access:  read_only
        .address_space:  global
        .offset:         72
        .size:           8
        .value_kind:     global_buffer
      - .actual_access:  read_only
        .address_space:  global
        .offset:         80
        .size:           8
        .value_kind:     global_buffer
      - .actual_access:  read_only
        .address_space:  global
        .offset:         88
        .size:           8
        .value_kind:     global_buffer
      - .address_space:  global
        .offset:         96
        .size:           8
        .value_kind:     global_buffer
      - .address_space:  global
        .offset:         104
        .size:           8
        .value_kind:     global_buffer
      - .offset:         112
        .size:           4
        .value_kind:     by_value
      - .actual_access:  read_only
        .address_space:  global
        .offset:         120
        .size:           8
        .value_kind:     global_buffer
      - .actual_access:  read_only
        .address_space:  global
        .offset:         128
        .size:           8
        .value_kind:     global_buffer
      - .actual_access:  read_only
        .address_space:  global
        .offset:         136
        .size:           8
        .value_kind:     global_buffer
      - .address_space:  global
        .offset:         144
        .size:           8
        .value_kind:     global_buffer
      - .address_space:  global
        .offset:         152
        .size:           8
        .value_kind:     global_buffer
      - .offset:         160
        .size:           4
        .value_kind:     by_value
      - .address_space:  global
        .offset:         168
        .size:           8
        .value_kind:     global_buffer
      - .address_space:  global
        .offset:         176
        .size:           8
        .value_kind:     global_buffer
      - .address_space:  global
        .offset:         184
        .size:           8
        .value_kind:     global_buffer
      - .address_space:  global
        .offset:         192
        .size:           8
        .value_kind:     global_buffer
      - .actual_access:  read_only
        .address_space:  global
        .offset:         200
        .size:           8
        .value_kind:     global_buffer
    .group_segment_fixed_size: 3072
    .kernarg_segment_align: 8
    .kernarg_segment_size: 208
    .language:       OpenCL C
    .language_version:
      - 2
      - 0
    .max_flat_workgroup_size: 1024
    .name:           _ZN9rocsparseL6kernelILi1024ELi4E21rocsparse_complex_numIdEiiEEvbbbT3_PS3_NS_15floating_traitsIT1_E6data_tES3_T2_PKS9_SB_PKS3_PKS6_21rocsparse_index_base_SB_SB_SD_PS6_SH_SG_SB_SB_SD_SH_SH_SG_SH_SH_PS8_SI_PKS8_
    .private_segment_fixed_size: 0
    .sgpr_count:     86
    .sgpr_spill_count: 0
    .symbol:         _ZN9rocsparseL6kernelILi1024ELi4E21rocsparse_complex_numIdEiiEEvbbbT3_PS3_NS_15floating_traitsIT1_E6data_tES3_T2_PKS9_SB_PKS3_PKS6_21rocsparse_index_base_SB_SB_SD_PS6_SH_SG_SB_SB_SD_SH_SH_SG_SH_SH_PS8_SI_PKS8_.kd
    .uniform_work_group_size: 1
    .uses_dynamic_stack: false
    .vgpr_count:     60
    .vgpr_spill_count: 0
    .wavefront_size: 32
    .workgroup_processor_mode: 1
  - .args:
      - .offset:         0
        .size:           1
        .value_kind:     by_value
      - .offset:         1
        .size:           1
        .value_kind:     by_value
      - .offset:         2
        .size:           1
        .value_kind:     by_value
      - .offset:         4
        .size:           4
        .value_kind:     by_value
      - .address_space:  global
        .offset:         8
        .size:           8
        .value_kind:     global_buffer
      - .offset:         16
        .size:           8
        .value_kind:     by_value
      - .offset:         24
        .size:           4
        .value_kind:     by_value
      - .offset:         28
        .size:           4
        .value_kind:     by_value
      - .actual_access:  read_only
        .address_space:  global
        .offset:         32
        .size:           8
        .value_kind:     global_buffer
      - .actual_access:  read_only
        .address_space:  global
        .offset:         40
        .size:           8
        .value_kind:     global_buffer
      - .actual_access:  read_only
        .address_space:  global
        .offset:         48
        .size:           8
        .value_kind:     global_buffer
      - .actual_access:  read_only
        .address_space:  global
        .offset:         56
        .size:           8
        .value_kind:     global_buffer
      - .offset:         64
        .size:           4
        .value_kind:     by_value
      - .actual_access:  read_only
        .address_space:  global
        .offset:         72
        .size:           8
        .value_kind:     global_buffer
      - .actual_access:  read_only
        .address_space:  global
        .offset:         80
        .size:           8
        .value_kind:     global_buffer
      - .actual_access:  read_only
        .address_space:  global
        .offset:         88
        .size:           8
        .value_kind:     global_buffer
      - .address_space:  global
        .offset:         96
        .size:           8
        .value_kind:     global_buffer
      - .address_space:  global
        .offset:         104
        .size:           8
        .value_kind:     global_buffer
      - .offset:         112
        .size:           4
        .value_kind:     by_value
      - .actual_access:  read_only
        .address_space:  global
        .offset:         120
        .size:           8
        .value_kind:     global_buffer
      - .actual_access:  read_only
        .address_space:  global
        .offset:         128
        .size:           8
        .value_kind:     global_buffer
      - .actual_access:  read_only
        .address_space:  global
        .offset:         136
        .size:           8
        .value_kind:     global_buffer
      - .address_space:  global
        .offset:         144
        .size:           8
        .value_kind:     global_buffer
      - .address_space:  global
        .offset:         152
        .size:           8
        .value_kind:     global_buffer
      - .offset:         160
        .size:           4
        .value_kind:     by_value
      - .address_space:  global
        .offset:         168
        .size:           8
        .value_kind:     global_buffer
      - .address_space:  global
        .offset:         176
        .size:           8
        .value_kind:     global_buffer
      - .address_space:  global
        .offset:         184
        .size:           8
        .value_kind:     global_buffer
      - .address_space:  global
        .offset:         192
        .size:           8
        .value_kind:     global_buffer
      - .actual_access:  read_only
        .address_space:  global
        .offset:         200
        .size:           8
        .value_kind:     global_buffer
    .group_segment_fixed_size: 1536
    .kernarg_segment_align: 8
    .kernarg_segment_size: 208
    .language:       OpenCL C
    .language_version:
      - 2
      - 0
    .max_flat_workgroup_size: 1024
    .name:           _ZN9rocsparseL6kernelILi1024ELi8E21rocsparse_complex_numIdEiiEEvbbbT3_PS3_NS_15floating_traitsIT1_E6data_tES3_T2_PKS9_SB_PKS3_PKS6_21rocsparse_index_base_SB_SB_SD_PS6_SH_SG_SB_SB_SD_SH_SH_SG_SH_SH_PS8_SI_PKS8_
    .private_segment_fixed_size: 0
    .sgpr_count:     85
    .sgpr_spill_count: 0
    .symbol:         _ZN9rocsparseL6kernelILi1024ELi8E21rocsparse_complex_numIdEiiEEvbbbT3_PS3_NS_15floating_traitsIT1_E6data_tES3_T2_PKS9_SB_PKS3_PKS6_21rocsparse_index_base_SB_SB_SD_PS6_SH_SG_SB_SB_SD_SH_SH_SG_SH_SH_PS8_SI_PKS8_.kd
    .uniform_work_group_size: 1
    .uses_dynamic_stack: false
    .vgpr_count:     60
    .vgpr_spill_count: 0
    .wavefront_size: 32
    .workgroup_processor_mode: 1
  - .args:
      - .offset:         0
        .size:           1
        .value_kind:     by_value
      - .offset:         1
        .size:           1
        .value_kind:     by_value
      - .offset:         2
        .size:           1
        .value_kind:     by_value
      - .offset:         4
        .size:           4
        .value_kind:     by_value
      - .address_space:  global
        .offset:         8
        .size:           8
        .value_kind:     global_buffer
      - .offset:         16
        .size:           8
        .value_kind:     by_value
      - .offset:         24
        .size:           4
        .value_kind:     by_value
      - .offset:         28
        .size:           4
        .value_kind:     by_value
      - .actual_access:  read_only
        .address_space:  global
        .offset:         32
        .size:           8
        .value_kind:     global_buffer
      - .actual_access:  read_only
        .address_space:  global
        .offset:         40
        .size:           8
        .value_kind:     global_buffer
      - .actual_access:  read_only
        .address_space:  global
        .offset:         48
        .size:           8
        .value_kind:     global_buffer
      - .actual_access:  read_only
        .address_space:  global
        .offset:         56
        .size:           8
        .value_kind:     global_buffer
      - .offset:         64
        .size:           4
        .value_kind:     by_value
      - .actual_access:  read_only
        .address_space:  global
        .offset:         72
        .size:           8
        .value_kind:     global_buffer
      - .actual_access:  read_only
        .address_space:  global
        .offset:         80
        .size:           8
        .value_kind:     global_buffer
      - .actual_access:  read_only
        .address_space:  global
        .offset:         88
        .size:           8
        .value_kind:     global_buffer
      - .address_space:  global
        .offset:         96
        .size:           8
        .value_kind:     global_buffer
      - .address_space:  global
        .offset:         104
        .size:           8
        .value_kind:     global_buffer
      - .offset:         112
        .size:           4
        .value_kind:     by_value
      - .actual_access:  read_only
        .address_space:  global
        .offset:         120
        .size:           8
        .value_kind:     global_buffer
      - .actual_access:  read_only
        .address_space:  global
        .offset:         128
        .size:           8
        .value_kind:     global_buffer
      - .actual_access:  read_only
        .address_space:  global
        .offset:         136
        .size:           8
        .value_kind:     global_buffer
      - .address_space:  global
        .offset:         144
        .size:           8
        .value_kind:     global_buffer
      - .address_space:  global
        .offset:         152
        .size:           8
        .value_kind:     global_buffer
      - .offset:         160
        .size:           4
        .value_kind:     by_value
      - .address_space:  global
        .offset:         168
        .size:           8
        .value_kind:     global_buffer
      - .address_space:  global
        .offset:         176
        .size:           8
        .value_kind:     global_buffer
      - .address_space:  global
        .offset:         184
        .size:           8
        .value_kind:     global_buffer
      - .address_space:  global
        .offset:         192
        .size:           8
        .value_kind:     global_buffer
      - .actual_access:  read_only
        .address_space:  global
        .offset:         200
        .size:           8
        .value_kind:     global_buffer
    .group_segment_fixed_size: 768
    .kernarg_segment_align: 8
    .kernarg_segment_size: 208
    .language:       OpenCL C
    .language_version:
      - 2
      - 0
    .max_flat_workgroup_size: 1024
    .name:           _ZN9rocsparseL6kernelILi1024ELi16E21rocsparse_complex_numIdEiiEEvbbbT3_PS3_NS_15floating_traitsIT1_E6data_tES3_T2_PKS9_SB_PKS3_PKS6_21rocsparse_index_base_SB_SB_SD_PS6_SH_SG_SB_SB_SD_SH_SH_SG_SH_SH_PS8_SI_PKS8_
    .private_segment_fixed_size: 0
    .sgpr_count:     84
    .sgpr_spill_count: 0
    .symbol:         _ZN9rocsparseL6kernelILi1024ELi16E21rocsparse_complex_numIdEiiEEvbbbT3_PS3_NS_15floating_traitsIT1_E6data_tES3_T2_PKS9_SB_PKS3_PKS6_21rocsparse_index_base_SB_SB_SD_PS6_SH_SG_SB_SB_SD_SH_SH_SG_SH_SH_PS8_SI_PKS8_.kd
    .uniform_work_group_size: 1
    .uses_dynamic_stack: false
    .vgpr_count:     60
    .vgpr_spill_count: 0
    .wavefront_size: 32
    .workgroup_processor_mode: 1
  - .args:
      - .offset:         0
        .size:           1
        .value_kind:     by_value
      - .offset:         1
        .size:           1
        .value_kind:     by_value
      - .offset:         2
        .size:           1
        .value_kind:     by_value
      - .offset:         4
        .size:           4
        .value_kind:     by_value
      - .address_space:  global
        .offset:         8
        .size:           8
        .value_kind:     global_buffer
      - .offset:         16
        .size:           8
        .value_kind:     by_value
      - .offset:         24
        .size:           4
        .value_kind:     by_value
      - .offset:         28
        .size:           4
        .value_kind:     by_value
      - .actual_access:  read_only
        .address_space:  global
        .offset:         32
        .size:           8
        .value_kind:     global_buffer
      - .actual_access:  read_only
        .address_space:  global
        .offset:         40
        .size:           8
        .value_kind:     global_buffer
      - .actual_access:  read_only
        .address_space:  global
        .offset:         48
        .size:           8
        .value_kind:     global_buffer
      - .actual_access:  read_only
        .address_space:  global
        .offset:         56
        .size:           8
        .value_kind:     global_buffer
      - .offset:         64
        .size:           4
        .value_kind:     by_value
      - .actual_access:  read_only
        .address_space:  global
        .offset:         72
        .size:           8
        .value_kind:     global_buffer
      - .actual_access:  read_only
        .address_space:  global
        .offset:         80
        .size:           8
        .value_kind:     global_buffer
      - .actual_access:  read_only
        .address_space:  global
        .offset:         88
        .size:           8
        .value_kind:     global_buffer
      - .address_space:  global
        .offset:         96
        .size:           8
        .value_kind:     global_buffer
      - .address_space:  global
        .offset:         104
        .size:           8
        .value_kind:     global_buffer
      - .offset:         112
        .size:           4
        .value_kind:     by_value
      - .actual_access:  read_only
        .address_space:  global
        .offset:         120
        .size:           8
        .value_kind:     global_buffer
      - .actual_access:  read_only
        .address_space:  global
        .offset:         128
        .size:           8
        .value_kind:     global_buffer
      - .actual_access:  read_only
        .address_space:  global
        .offset:         136
        .size:           8
        .value_kind:     global_buffer
      - .address_space:  global
        .offset:         144
        .size:           8
        .value_kind:     global_buffer
      - .address_space:  global
        .offset:         152
        .size:           8
        .value_kind:     global_buffer
      - .offset:         160
        .size:           4
        .value_kind:     by_value
      - .address_space:  global
        .offset:         168
        .size:           8
        .value_kind:     global_buffer
      - .address_space:  global
        .offset:         176
        .size:           8
        .value_kind:     global_buffer
      - .address_space:  global
        .offset:         184
        .size:           8
        .value_kind:     global_buffer
      - .address_space:  global
        .offset:         192
        .size:           8
        .value_kind:     global_buffer
      - .actual_access:  read_only
        .address_space:  global
        .offset:         200
        .size:           8
        .value_kind:     global_buffer
    .group_segment_fixed_size: 384
    .kernarg_segment_align: 8
    .kernarg_segment_size: 208
    .language:       OpenCL C
    .language_version:
      - 2
      - 0
    .max_flat_workgroup_size: 1024
    .name:           _ZN9rocsparseL6kernelILi1024ELi32E21rocsparse_complex_numIdEiiEEvbbbT3_PS3_NS_15floating_traitsIT1_E6data_tES3_T2_PKS9_SB_PKS3_PKS6_21rocsparse_index_base_SB_SB_SD_PS6_SH_SG_SB_SB_SD_SH_SH_SG_SH_SH_PS8_SI_PKS8_
    .private_segment_fixed_size: 0
    .sgpr_count:     83
    .sgpr_spill_count: 0
    .symbol:         _ZN9rocsparseL6kernelILi1024ELi32E21rocsparse_complex_numIdEiiEEvbbbT3_PS3_NS_15floating_traitsIT1_E6data_tES3_T2_PKS9_SB_PKS3_PKS6_21rocsparse_index_base_SB_SB_SD_PS6_SH_SG_SB_SB_SD_SH_SH_SG_SH_SH_PS8_SI_PKS8_.kd
    .uniform_work_group_size: 1
    .uses_dynamic_stack: false
    .vgpr_count:     60
    .vgpr_spill_count: 0
    .wavefront_size: 32
    .workgroup_processor_mode: 1
  - .args:
      - .offset:         0
        .size:           1
        .value_kind:     by_value
      - .offset:         1
        .size:           1
        .value_kind:     by_value
      - .offset:         2
        .size:           1
        .value_kind:     by_value
      - .offset:         4
        .size:           4
        .value_kind:     by_value
      - .address_space:  global
        .offset:         8
        .size:           8
        .value_kind:     global_buffer
      - .offset:         16
        .size:           8
        .value_kind:     by_value
      - .offset:         24
        .size:           4
        .value_kind:     by_value
      - .offset:         28
        .size:           4
        .value_kind:     by_value
      - .actual_access:  read_only
        .address_space:  global
        .offset:         32
        .size:           8
        .value_kind:     global_buffer
      - .actual_access:  read_only
        .address_space:  global
        .offset:         40
        .size:           8
        .value_kind:     global_buffer
      - .actual_access:  read_only
        .address_space:  global
        .offset:         48
        .size:           8
        .value_kind:     global_buffer
      - .actual_access:  read_only
        .address_space:  global
        .offset:         56
        .size:           8
        .value_kind:     global_buffer
      - .offset:         64
        .size:           4
        .value_kind:     by_value
      - .actual_access:  read_only
        .address_space:  global
        .offset:         72
        .size:           8
        .value_kind:     global_buffer
      - .actual_access:  read_only
        .address_space:  global
        .offset:         80
        .size:           8
        .value_kind:     global_buffer
      - .actual_access:  read_only
        .address_space:  global
        .offset:         88
        .size:           8
        .value_kind:     global_buffer
      - .address_space:  global
        .offset:         96
        .size:           8
        .value_kind:     global_buffer
      - .address_space:  global
        .offset:         104
        .size:           8
        .value_kind:     global_buffer
      - .offset:         112
        .size:           4
        .value_kind:     by_value
      - .actual_access:  read_only
        .address_space:  global
        .offset:         120
        .size:           8
        .value_kind:     global_buffer
      - .actual_access:  read_only
        .address_space:  global
        .offset:         128
        .size:           8
        .value_kind:     global_buffer
      - .actual_access:  read_only
        .address_space:  global
        .offset:         136
        .size:           8
        .value_kind:     global_buffer
      - .address_space:  global
        .offset:         144
        .size:           8
        .value_kind:     global_buffer
      - .address_space:  global
        .offset:         152
        .size:           8
        .value_kind:     global_buffer
      - .offset:         160
        .size:           4
        .value_kind:     by_value
      - .address_space:  global
        .offset:         168
        .size:           8
        .value_kind:     global_buffer
      - .address_space:  global
        .offset:         176
        .size:           8
        .value_kind:     global_buffer
      - .address_space:  global
        .offset:         184
        .size:           8
        .value_kind:     global_buffer
      - .address_space:  global
        .offset:         192
        .size:           8
        .value_kind:     global_buffer
      - .actual_access:  read_only
        .address_space:  global
        .offset:         200
        .size:           8
        .value_kind:     global_buffer
    .group_segment_fixed_size: 192
    .kernarg_segment_align: 8
    .kernarg_segment_size: 208
    .language:       OpenCL C
    .language_version:
      - 2
      - 0
    .max_flat_workgroup_size: 1024
    .name:           _ZN9rocsparseL6kernelILi1024ELi64E21rocsparse_complex_numIdEiiEEvbbbT3_PS3_NS_15floating_traitsIT1_E6data_tES3_T2_PKS9_SB_PKS3_PKS6_21rocsparse_index_base_SB_SB_SD_PS6_SH_SG_SB_SB_SD_SH_SH_SG_SH_SH_PS8_SI_PKS8_
    .private_segment_fixed_size: 0
    .sgpr_count:     82
    .sgpr_spill_count: 0
    .symbol:         _ZN9rocsparseL6kernelILi1024ELi64E21rocsparse_complex_numIdEiiEEvbbbT3_PS3_NS_15floating_traitsIT1_E6data_tES3_T2_PKS9_SB_PKS3_PKS6_21rocsparse_index_base_SB_SB_SD_PS6_SH_SG_SB_SB_SD_SH_SH_SG_SH_SH_PS8_SI_PKS8_.kd
    .uniform_work_group_size: 1
    .uses_dynamic_stack: false
    .vgpr_count:     60
    .vgpr_spill_count: 0
    .wavefront_size: 32
    .workgroup_processor_mode: 1
amdhsa.target:   amdgcn-amd-amdhsa--gfx1100
amdhsa.version:
  - 1
  - 2
...

	.end_amdgpu_metadata
